;; amdgpu-corpus repo=ROCm/rocBLAS kind=compiled arch=gfx90a opt=O3
	.text
	.amdgcn_target "amdgcn-amd-amdhsa--gfx90a"
	.amdhsa_code_object_version 6
	.section	.text._ZL26rocblas_hemvn_kernel_upperILb1ELi64ELi4ELi33ELi32ELi16ElPK19rocblas_complex_numIfES3_PS1_EviT6_lT7_lT5_lS6_lS7_lS5_lT8_i,"axG",@progbits,_ZL26rocblas_hemvn_kernel_upperILb1ELi64ELi4ELi33ELi32ELi16ElPK19rocblas_complex_numIfES3_PS1_EviT6_lT7_lT5_lS6_lS7_lS5_lT8_i,comdat
	.globl	_ZL26rocblas_hemvn_kernel_upperILb1ELi64ELi4ELi33ELi32ELi16ElPK19rocblas_complex_numIfES3_PS1_EviT6_lT7_lT5_lS6_lS7_lS5_lT8_i ; -- Begin function _ZL26rocblas_hemvn_kernel_upperILb1ELi64ELi4ELi33ELi32ELi16ElPK19rocblas_complex_numIfES3_PS1_EviT6_lT7_lT5_lS6_lS7_lS5_lT8_i
	.p2align	8
	.type	_ZL26rocblas_hemvn_kernel_upperILb1ELi64ELi4ELi33ELi32ELi16ElPK19rocblas_complex_numIfES3_PS1_EviT6_lT7_lT5_lS6_lS7_lS5_lT8_i,@function
_ZL26rocblas_hemvn_kernel_upperILb1ELi64ELi4ELi33ELi32ELi16ElPK19rocblas_complex_numIfES3_PS1_EviT6_lT7_lT5_lS6_lS7_lS5_lT8_i: ; @_ZL26rocblas_hemvn_kernel_upperILb1ELi64ELi4ELi33ELi32ELi16ElPK19rocblas_complex_numIfES3_PS1_EviT6_lT7_lT5_lS6_lS7_lS5_lT8_i
; %bb.0:
	s_load_dwordx2 s[2:3], s[4:5], 0x84
	s_add_u32 s0, s4, 0x78
	s_addc_u32 s1, s5, 0
	s_waitcnt lgkmcnt(0)
	s_lshr_b32 s8, s2, 16
	s_and_b32 s2, s2, 0xffff
	s_and_b32 s3, s3, 0xffff
	s_mul_i32 s2, s8, s2
	s_mul_i32 s2, s2, s3
	s_cmpk_lg_i32 s2, 0x100
	s_cbranch_scc1 .LBB0_180
; %bb.1:
	s_load_dwordx16 s[8:23], s[4:5], 0x8
	s_waitcnt lgkmcnt(0)
	s_mul_i32 s3, s7, s11
	s_mul_hi_u32 s11, s7, s10
	s_mul_i32 s2, s7, s10
	s_add_i32 s3, s11, s3
	s_lshl_b64 s[2:3], s[2:3], 3
	s_add_u32 s2, s8, s2
	s_addc_u32 s3, s9, s3
	s_load_dwordx2 s[8:9], s[2:3], 0x0
	s_load_dwordx2 s[34:35], s[4:5], 0x68
	s_load_dwordx8 s[24:31], s[4:5], 0x48
	s_waitcnt lgkmcnt(0)
	s_or_b32 s2, s8, s9
	s_bitset0_b32 s2, 31
	s_cmp_lg_u32 s2, 0
	s_cselect_b64 s[2:3], -1, 0
	s_mov_b64 s[8:9], -1
	s_and_b64 vcc, exec, s[2:3]
	s_cbranch_vccnz .LBB0_3
; %bb.2:
	s_mul_i32 s8, s7, s31
	s_mul_hi_u32 s9, s7, s30
	s_add_i32 s9, s9, s8
	s_mul_i32 s8, s7, s30
	s_lshl_b64 s[8:9], s[8:9], 3
	s_add_u32 s8, s28, s8
	s_addc_u32 s9, s29, s9
	s_load_dwordx2 s[8:9], s[8:9], 0x0
	s_waitcnt lgkmcnt(0)
	v_cmp_neq_f32_e64 s[10:11], s8, 1.0
	v_cmp_neq_f32_e64 s[8:9], s9, 0
	s_or_b64 s[8:9], s[10:11], s[8:9]
.LBB0_3:
	s_andn2_b64 vcc, exec, s[8:9]
	s_cbranch_vccnz .LBB0_180
; %bb.4:
	s_andn2_b64 vcc, exec, s[2:3]
	s_cbranch_vccnz .LBB0_180
; %bb.5:
	s_load_dword s33, s[0:1], 0x0
	s_load_dword s37, s[4:5], 0x0
	s_mul_i32 s0, s7, s27
	s_mul_hi_u32 s1, s7, s26
	s_add_i32 s1, s1, s0
	s_mul_i32 s0, s7, s26
	s_lshl_b64 s[0:1], s[0:1], 3
	s_add_u32 s2, s20, s0
	s_addc_u32 s3, s21, s1
	s_lshl_b64 s[0:1], s[22:23], 3
	s_add_u32 s2, s2, s0
	s_addc_u32 s3, s3, s1
	s_waitcnt lgkmcnt(0)
	s_ashr_i32 s38, s37, 31
	s_lshr_b32 s1, s38, 26
	v_and_b32_e32 v65, 0x3ff, v0
	s_lshl_b32 s22, s6, 6
	s_add_i32 s1, s37, s1
	s_andn2_b32 s1, s1, 63
	v_add_u32_e32 v28, s22, v65
	s_add_i32 s0, s33, -1
	s_sub_i32 s36, s37, s1
	v_ashrrev_i32_e32 v29, 31, v28
	v_bfe_u32 v109, v0, 10, 10
	s_cmp_eq_u32 s6, s0
	v_mul_lo_u32 v2, v29, s24
	v_mul_lo_u32 v3, v28, s25
	v_mad_u64_u32 v[0:1], s[0:1], v28, s24, 0
	v_add3_u32 v1, v1, v3, v2
	v_lshlrev_b64 v[0:1], 3, v[0:1]
	v_mov_b32_e32 v2, s3
	v_add_co_u32_e32 v14, vcc, s2, v0
	s_cselect_b32 s20, s36, 0
	v_addc_co_u32_e32 v15, vcc, v2, v1, vcc
	v_cmp_eq_u32_e64 s[0:1], 0, v109
	s_and_saveexec_b64 s[2:3], s[0:1]
	s_cbranch_execz .LBB0_10
; %bb.6:
	s_cmp_lg_u32 s20, 0
	s_cselect_b64 s[4:5], -1, 0
	v_cmp_le_i32_e32 vcc, s20, v65
	v_mov_b32_e32 v0, 0x2380
	s_and_b64 s[4:5], s[4:5], vcc
	v_lshl_add_u32 v0, v65, 3, v0
	s_and_saveexec_b64 s[8:9], s[4:5]
	s_xor_b64 s[4:5], exec, s[8:9]
	s_cbranch_execz .LBB0_8
; %bb.7:
	v_mov_b32_e32 v2, 0
	v_mov_b32_e32 v3, v2
	ds_write_b64 v0, v[2:3]
                                        ; implicit-def: $vgpr0
.LBB0_8:
	s_andn2_saveexec_b64 s[4:5], s[4:5]
	s_cbranch_execz .LBB0_10
; %bb.9:
	global_load_dwordx2 v[2:3], v[14:15], off
	s_waitcnt vmcnt(0)
	ds_write_b64 v0, v[2:3]
.LBB0_10:
	s_or_b64 exec, exec, s[2:3]
	s_mul_i32 s2, s7, s19
	s_mul_hi_u32 s3, s7, s18
	s_add_i32 s3, s3, s2
	s_mul_i32 s2, s7, s18
	s_lshl_b64 s[2:3], s[2:3], 3
	s_add_u32 s4, s12, s2
	s_addc_u32 s5, s13, s3
	s_lshl_b64 s[2:3], s[14:15], 3
	s_add_u32 s4, s4, s2
	s_addc_u32 s5, s5, s3
	s_ashr_i32 s23, s22, 31
	v_lshl_add_u32 v22, v109, 6, v65
	s_lshl_b64 s[2:3], s[22:23], 3
	v_and_b32_e32 v0, 31, v65
	v_lshrrev_b32_e32 v10, 5, v22
	s_add_u32 s4, s4, s2
	v_mov_b32_e32 v1, 0
	s_addc_u32 s5, s5, s3
	v_mad_u64_u32 v[2:3], s[2:3], v10, s16, v[0:1]
	v_mov_b32_e32 v4, v3
	v_mad_u64_u32 v[4:5], s[2:3], v10, s17, v[4:5]
	s_mul_i32 s2, s22, s17
	s_mul_hi_u32 s3, s22, s16
	s_add_i32 s2, s3, s2
	s_mul_i32 s3, s23, s16
	s_add_i32 s3, s2, s3
	s_mul_i32 s2, s22, s16
	s_lshl_b64 s[2:3], s[2:3], 3
	s_add_u32 s2, s2, s4
	v_mov_b32_e32 v3, v4
	s_addc_u32 s3, s3, s5
	v_lshlrev_b64 v[12:13], 3, v[2:3]
	s_cmp_eq_u32 s20, 0
	v_mov_b32_e32 v2, s3
	v_add_co_u32_e32 v4, vcc, s2, v12
	s_cselect_b64 s[18:19], -1, 0
	s_cmp_lg_u32 s20, 0
	v_addc_co_u32_e32 v5, vcc, v2, v13, vcc
	s_cselect_b64 s[26:27], -1, 0
	s_and_b64 vcc, exec, s[26:27]
	v_cmp_gt_i32_e64 s[2:3], s20, v0
	v_lshlrev_b32_e32 v11, 3, v0
	s_mul_i32 s39, s17, 0xc0
	s_cbranch_vccz .LBB0_26
; %bb.11:
	v_sub_co_u32_e32 v2, vcc, v4, v11
	s_ashr_i32 s21, s20, 31
	v_subbrev_co_u32_e32 v3, vcc, 0, v5, vcc
	s_lshl_b64 s[4:5], s[20:21], 3
	v_mov_b32_e32 v6, s5
	v_add_co_u32_e32 v2, vcc, s4, v2
	v_addc_co_u32_e32 v3, vcc, v3, v6, vcc
	v_add_co_u32_e32 v2, vcc, -8, v2
	v_addc_co_u32_e32 v3, vcc, -1, v3, vcc
	v_cndmask_b32_e64 v3, v3, v5, s[2:3]
	v_cndmask_b32_e64 v2, v2, v4, s[2:3]
	v_cmp_gt_i32_e32 vcc, s20, v10
	v_mov_b32_e32 v7, 0
	s_and_saveexec_b64 s[8:9], vcc
	s_cbranch_execz .LBB0_13
; %bb.12:
	global_load_dwordx2 v[6:7], v[2:3], off
	s_waitcnt vmcnt(0)
	v_mov_b32_e32 v1, v6
.LBB0_13:
	s_or_b64 exec, exec, s[8:9]
	v_mul_u32_u24_e32 v6, 33, v10
	v_add_lshl_u32 v8, v6, v0, 3
	v_mov_b32_e32 v6, v1
	v_add_u32_e32 v1, 8, v10
	v_cmp_le_i32_e32 vcc, s20, v1
	ds_write_b64 v8, v[6:7]
	s_and_saveexec_b64 s[8:9], vcc
	s_xor_b64 s[8:9], exec, s[8:9]
	s_cbranch_execz .LBB0_15
; %bb.14:
	v_mul_u32_u24_e32 v1, 33, v1
	v_mov_b32_e32 v6, 0
	v_add_lshl_u32 v1, v1, v0, 3
	v_mov_b32_e32 v7, v6
	ds_write_b64 v1, v[6:7]
.LBB0_15:
	s_andn2_saveexec_b64 s[8:9], s[8:9]
	s_cbranch_execz .LBB0_17
; %bb.16:
	s_lshl_b64 s[10:11], s[16:17], 6
	v_mov_b32_e32 v1, s11
	v_add_co_u32_e32 v6, vcc, s10, v2
	v_addc_co_u32_e32 v7, vcc, v3, v1, vcc
	global_load_dwordx2 v[6:7], v[6:7], off
	s_waitcnt vmcnt(0)
	ds_write_b64 v8, v[6:7] offset:2112
.LBB0_17:
	s_or_b64 exec, exec, s[8:9]
	v_add_u32_e32 v1, 16, v10
	v_cmp_le_i32_e32 vcc, s20, v1
	s_and_saveexec_b64 s[8:9], vcc
	s_xor_b64 s[8:9], exec, s[8:9]
	s_cbranch_execz .LBB0_19
; %bb.18:
	v_mov_b32_e32 v6, 0
	v_mov_b32_e32 v7, v6
	ds_write_b64 v8, v[6:7] offset:4224
.LBB0_19:
	s_andn2_saveexec_b64 s[8:9], s[8:9]
	s_cbranch_execz .LBB0_21
; %bb.20:
	s_lshl_b64 s[10:11], s[16:17], 7
	v_mov_b32_e32 v1, s11
	v_add_co_u32_e32 v6, vcc, s10, v2
	v_addc_co_u32_e32 v7, vcc, v3, v1, vcc
	global_load_dwordx2 v[6:7], v[6:7], off
	s_waitcnt vmcnt(0)
	ds_write_b64 v8, v[6:7] offset:4224
.LBB0_21:
	s_or_b64 exec, exec, s[8:9]
	v_add_u32_e32 v1, 24, v10
	v_cmp_le_i32_e32 vcc, s20, v1
	s_and_saveexec_b64 s[8:9], vcc
	s_xor_b64 s[8:9], exec, s[8:9]
	s_cbranch_execz .LBB0_23
; %bb.22:
	v_mov_b32_e32 v6, 0
	v_mov_b32_e32 v7, v6
	ds_write_b64 v8, v[6:7] offset:6336
                                        ; implicit-def: $vgpr8
.LBB0_23:
	s_andn2_saveexec_b64 s[8:9], s[8:9]
	s_cbranch_execz .LBB0_25
; %bb.24:
	v_mov_b32_e32 v1, 0xc0
	v_mad_u64_u32 v[6:7], s[10:11], s16, v1, v[2:3]
	v_add_u32_e32 v7, s39, v7
	global_load_dwordx2 v[6:7], v[6:7], off
	s_waitcnt vmcnt(0)
	ds_write_b64 v8, v[6:7] offset:6336
.LBB0_25:
	s_or_b64 exec, exec, s[8:9]
	v_add_co_u32_e32 v1, vcc, v2, v11
	v_addc_co_u32_e32 v2, vcc, 0, v3, vcc
	v_mov_b32_e32 v3, s5
	v_subrev_co_u32_e32 v1, vcc, s4, v1
	v_subb_co_u32_e32 v2, vcc, v2, v3, vcc
	v_add_co_u32_e32 v1, vcc, 8, v1
	v_addc_co_u32_e32 v2, vcc, 0, v2, vcc
	v_cndmask_b32_e64 v3, v2, v5, s[2:3]
	v_cndmask_b32_e64 v2, v1, v4, s[2:3]
	v_mul_u32_u24_e32 v1, 33, v10
	s_branch .LBB0_28
.LBB0_26:
                                        ; implicit-def: $vgpr2_vgpr3
	v_mul_u32_u24_e32 v1, 33, v10
	s_cbranch_execz .LBB0_28
; %bb.27:
	s_lshl_b64 s[2:3], s[16:17], 6
	v_mov_b32_e32 v16, s3
	v_add_co_u32_e32 v2, vcc, s2, v4
	v_addc_co_u32_e32 v3, vcc, v5, v16, vcc
	global_load_dwordx2 v[6:7], v[4:5], off
	global_load_dwordx2 v[8:9], v[2:3], off
	v_add_co_u32_e32 v2, vcc, s2, v2
	v_addc_co_u32_e32 v3, vcc, v3, v16, vcc
	v_mov_b32_e32 v16, 0xc0
	v_mad_u64_u32 v[16:17], s[2:3], s16, v16, v[4:5]
	v_add_u32_e32 v17, s39, v17
	global_load_dwordx2 v[18:19], v[16:17], off
	global_load_dwordx2 v[20:21], v[2:3], off
	v_add_lshl_u32 v2, v1, v0, 3
	s_waitcnt vmcnt(3)
	ds_write_b64 v2, v[6:7]
	s_waitcnt vmcnt(2)
	ds_write_b64 v2, v[8:9] offset:2112
	s_waitcnt vmcnt(1)
	ds_write_b64 v2, v[18:19] offset:6336
	;; [unrolled: 2-line block ×3, first 2 shown]
	v_pk_mov_b32 v[2:3], v[4:5], v[4:5] op_sel:[0,1]
.LBB0_28:
	v_lshlrev_b32_e32 v21, 2, v10
	v_cmp_le_u32_e64 s[4:5], v21, v0
	s_waitcnt lgkmcnt(0)
	s_barrier
	s_and_saveexec_b64 s[2:3], s[4:5]
	s_xor_b64 s[2:3], exec, s[2:3]
	s_cbranch_execz .LBB0_32
; %bb.29:
	v_cmp_eq_u32_e32 vcc, v21, v0
	s_and_saveexec_b64 s[8:9], vcc
	s_cbranch_execz .LBB0_31
; %bb.30:
	v_mul_u32_u24_e32 v4, 34, v0
	v_lshlrev_b32_e32 v4, 3, v4
	v_mov_b32_e32 v5, 0
	ds_write_b32 v4, v5 offset:4
.LBB0_31:
	s_or_b64 exec, exec, s[8:9]
.LBB0_32:
	s_or_saveexec_b64 s[2:3], s[2:3]
	v_mul_u32_u24_e32 v18, 33, v0
	v_add_lshl_u32 v16, v21, v18, 3
	s_xor_b64 exec, exec, s[2:3]
	s_cbranch_execz .LBB0_34
; %bb.33:
	v_mul_u32_u24_e32 v4, 0x84, v10
	v_add_lshl_u32 v4, v4, v0, 3
	ds_read_b64 v[4:5], v4
	s_waitcnt lgkmcnt(0)
	v_xor_b32_e32 v5, 0x80000000, v5
	ds_write_b64 v16, v[4:5]
.LBB0_34:
	s_or_b64 exec, exec, s[2:3]
	v_or_b32_e32 v17, 1, v21
	v_cmp_ge_u32_e64 s[14:15], v21, v0
	v_mul_u32_u24_e32 v4, 33, v17
	s_and_saveexec_b64 s[2:3], s[14:15]
	s_xor_b64 s[2:3], exec, s[2:3]
	s_cbranch_execz .LBB0_36
; %bb.35:
	v_add_lshl_u32 v5, v4, v0, 3
	ds_read_b64 v[6:7], v5
	s_waitcnt lgkmcnt(0)
	v_xor_b32_e32 v7, 0x80000000, v7
	ds_write_b64 v16, v[6:7] offset:8
.LBB0_36:
	s_andn2_saveexec_b64 s[2:3], s[2:3]
	s_cbranch_execz .LBB0_40
; %bb.37:
	v_cmp_eq_u32_e32 vcc, v17, v0
	s_and_saveexec_b64 s[8:9], vcc
	s_cbranch_execz .LBB0_39
; %bb.38:
	v_mul_u32_u24_e32 v5, 34, v0
	v_lshlrev_b32_e32 v5, 3, v5
	v_mov_b32_e32 v6, 0
	ds_write_b32 v5, v6 offset:4
.LBB0_39:
	s_or_b64 exec, exec, s[8:9]
.LBB0_40:
	s_or_b64 exec, exec, s[2:3]
	v_or_b32_e32 v25, 2, v21
	v_cmp_le_u32_e64 s[8:9], v25, v0
	s_and_saveexec_b64 s[2:3], s[8:9]
	s_xor_b64 s[2:3], exec, s[2:3]
	s_cbranch_execz .LBB0_44
; %bb.41:
	v_cmp_eq_u32_e32 vcc, v25, v0
	s_and_saveexec_b64 s[10:11], vcc
	s_cbranch_execz .LBB0_43
; %bb.42:
	v_mul_u32_u24_e32 v5, 34, v0
	v_lshlrev_b32_e32 v5, 3, v5
	v_mov_b32_e32 v6, 0
	ds_write_b32 v5, v6 offset:4
.LBB0_43:
	s_or_b64 exec, exec, s[10:11]
.LBB0_44:
	s_andn2_saveexec_b64 s[2:3], s[2:3]
	s_cbranch_execz .LBB0_46
; %bb.45:
	v_mul_u32_u24_e32 v5, 33, v25
	v_add_lshl_u32 v5, v5, v0, 3
	ds_read_b64 v[6:7], v5
	s_waitcnt lgkmcnt(0)
	v_xor_b32_e32 v7, 0x80000000, v7
	ds_write_b64 v16, v[6:7] offset:16
.LBB0_46:
	s_or_b64 exec, exec, s[2:3]
	v_or_b32_e32 v26, 3, v21
	v_cmp_le_u32_e64 s[10:11], v26, v0
	s_and_saveexec_b64 s[2:3], s[10:11]
	s_xor_b64 s[2:3], exec, s[2:3]
	s_cbranch_execz .LBB0_50
; %bb.47:
	v_cmp_eq_u32_e32 vcc, v26, v0
	s_and_saveexec_b64 s[12:13], vcc
	s_cbranch_execz .LBB0_49
; %bb.48:
	v_mul_u32_u24_e32 v5, 34, v0
	v_lshlrev_b32_e32 v5, 3, v5
	v_mov_b32_e32 v6, 0
	ds_write_b32 v5, v6 offset:4
.LBB0_49:
	s_or_b64 exec, exec, s[12:13]
.LBB0_50:
	s_andn2_saveexec_b64 s[2:3], s[2:3]
	s_cbranch_execz .LBB0_52
; %bb.51:
	v_mul_u32_u24_e32 v5, 33, v26
	v_add_lshl_u32 v5, v5, v0, 3
	ds_read_b64 v[6:7], v5
	s_waitcnt lgkmcnt(0)
	v_xor_b32_e32 v7, 0x80000000, v7
	ds_write_b64 v16, v[6:7] offset:24
.LBB0_52:
	s_or_b64 exec, exec, s[2:3]
	v_mul_u32_u24_e32 v5, 0x84, v10
	v_lshlrev_b32_e32 v27, 3, v21
	s_waitcnt lgkmcnt(0)
	s_barrier
	v_add_lshl_u32 v20, v5, v0, 3
	v_add_lshl_u32 v19, v4, v0, 3
	ds_read_b128 v[4:7], v27 offset:9088
	ds_read_b64 v[8:9], v20
	ds_read2_b64 v[30:33], v19 offset1:33
	ds_read_b64 v[38:39], v19 offset:528
	ds_read_b128 v[34:37], v27 offset:9104
	s_mov_b32 s12, 0
	s_waitcnt lgkmcnt(3)
	v_pk_mul_f32 v[40:41], v[4:5], v[8:9] op_sel:[0,1]
	v_pk_fma_f32 v[42:43], v[4:5], v[8:9], v[40:41] op_sel:[0,0,1] op_sel_hi:[1,1,0] neg_lo:[0,0,1] neg_hi:[0,0,1]
	v_pk_fma_f32 v[4:5], v[4:5], v[8:9], v[40:41] op_sel:[0,0,1] op_sel_hi:[1,0,0]
	s_waitcnt lgkmcnt(2)
	v_pk_mul_f32 v[8:9], v[6:7], v[30:31] op_sel:[0,1]
	v_pk_fma_f32 v[40:41], v[6:7], v[30:31], v[8:9] op_sel:[0,0,1] op_sel_hi:[1,1,0] neg_lo:[0,0,1] neg_hi:[0,0,1]
	v_pk_fma_f32 v[6:7], v[6:7], v[30:31], v[8:9] op_sel:[0,0,1] op_sel_hi:[1,0,0]
	v_mov_b32_e32 v43, v5
	v_mov_b32_e32 v41, v7
	s_waitcnt lgkmcnt(0)
	v_pk_mul_f32 v[6:7], v[34:35], v[32:33] op_sel:[0,1]
	v_pk_add_f32 v[4:5], v[42:43], 0 op_sel_hi:[1,0]
	v_pk_fma_f32 v[8:9], v[34:35], v[32:33], v[6:7] op_sel:[0,0,1] op_sel_hi:[1,1,0] neg_lo:[0,0,1] neg_hi:[0,0,1]
	v_pk_fma_f32 v[6:7], v[34:35], v[32:33], v[6:7] op_sel:[0,0,1] op_sel_hi:[1,0,0]
	v_pk_add_f32 v[4:5], v[4:5], v[40:41]
	v_mov_b32_e32 v9, v7
	v_pk_mul_f32 v[6:7], v[36:37], v[38:39] op_sel:[0,1]
	v_pk_add_f32 v[4:5], v[4:5], v[8:9]
	v_pk_fma_f32 v[8:9], v[36:37], v[38:39], v[6:7] op_sel:[0,0,1] op_sel_hi:[1,1,0] neg_lo:[0,0,1] neg_hi:[0,0,1]
	v_pk_fma_f32 v[6:7], v[36:37], v[38:39], v[6:7] op_sel:[0,0,1] op_sel_hi:[1,0,0]
	s_mov_b32 s13, s12
	v_mov_b32_e32 v9, v7
	v_add_lshl_u32 v23, v10, v18, 3
	v_pk_add_f32 v[4:5], v[4:5], v[8:9]
	v_cmp_gt_u32_e64 s[2:3], 32, v22
	v_pk_mov_b32 v[30:31], s[12:13], s[12:13] op_sel:[0,1]
	v_lshlrev_b32_e32 v24, 3, v18
	s_barrier
	ds_write_b64 v23, v[4:5]
	s_waitcnt lgkmcnt(0)
	s_barrier
	s_and_saveexec_b64 s[12:13], s[2:3]
	s_cbranch_execz .LBB0_54
; %bb.53:
	ds_read2_b64 v[4:7], v24 offset1:7
	ds_read2_b64 v[30:33], v24 offset0:1 offset1:2
	ds_read2_b64 v[34:37], v24 offset0:3 offset1:4
	s_waitcnt lgkmcnt(1)
	v_add_f32_e32 v4, v30, v4
	v_add_f32_e32 v5, v31, v5
	;; [unrolled: 1-line block ×4, first 2 shown]
	ds_read2_b64 v[30:33], v24 offset0:5 offset1:6
	s_waitcnt lgkmcnt(1)
	v_add_f32_e32 v4, v4, v34
	v_add_f32_e32 v5, v5, v35
	;; [unrolled: 1-line block ×4, first 2 shown]
	s_waitcnt lgkmcnt(0)
	v_add_f32_e32 v4, v4, v30
	v_add_f32_e32 v5, v5, v31
	;; [unrolled: 1-line block ×4, first 2 shown]
	v_pk_add_f32 v[30:31], v[4:5], v[6:7]
.LBB0_54:
	s_or_b64 exec, exec, s[12:13]
	s_lshl_b64 s[12:13], s[16:17], 8
	v_mov_b32_e32 v4, s13
	v_add_co_u32_e32 v6, vcc, s12, v2
	v_addc_co_u32_e32 v7, vcc, v3, v4, vcc
	v_add_co_u32_e32 v4, vcc, 0x100, v6
	v_addc_co_u32_e32 v5, vcc, 0, v7, vcc
	s_and_b64 vcc, exec, s[26:27]
	s_barrier
	s_cbranch_vccz .LBB0_70
; %bb.55:
	v_sub_co_u32_e32 v3, vcc, v4, v11
	s_ashr_i32 s21, s20, 31
	v_subbrev_co_u32_e32 v8, vcc, 0, v5, vcc
	s_lshl_b64 s[28:29], s[20:21], 3
	v_mov_b32_e32 v9, s29
	v_add_co_u32_e32 v3, vcc, s28, v3
	v_addc_co_u32_e32 v8, vcc, v8, v9, vcc
	v_or_b32_e32 v2, 32, v0
	v_add_co_u32_e32 v9, vcc, 0xfffffef8, v3
	v_addc_co_u32_e32 v3, vcc, -1, v8, vcc
	v_cmp_gt_i32_e64 s[12:13], s20, v2
	s_sub_i32 s21, s20, 32
	v_mov_b32_e32 v8, 0
	v_cndmask_b32_e64 v3, v3, v5, s[12:13]
	v_cndmask_b32_e64 v2, v9, v4, s[12:13]
	v_cmp_gt_i32_e32 vcc, s21, v10
	v_mov_b32_e32 v9, v8
	s_and_saveexec_b64 s[30:31], vcc
	s_cbranch_execz .LBB0_57
; %bb.56:
	global_load_dwordx2 v[8:9], v[2:3], off
.LBB0_57:
	s_or_b64 exec, exec, s[30:31]
	v_add_lshl_u32 v32, v1, v0, 3
	s_waitcnt vmcnt(0)
	ds_write_b64 v32, v[8:9]
	v_add_u32_e32 v8, 8, v10
	v_cmp_le_i32_e32 vcc, s21, v8
	s_and_saveexec_b64 s[30:31], vcc
	s_xor_b64 s[30:31], exec, s[30:31]
	s_cbranch_execz .LBB0_59
; %bb.58:
	v_mul_u32_u24_e32 v8, 33, v8
	v_add_lshl_u32 v33, v8, v0, 3
	v_mov_b32_e32 v8, 0
	v_mov_b32_e32 v9, v8
	ds_write_b64 v33, v[8:9]
.LBB0_59:
	s_andn2_saveexec_b64 s[30:31], s[30:31]
	s_cbranch_execz .LBB0_61
; %bb.60:
	s_lshl_b64 s[40:41], s[16:17], 6
	v_mov_b32_e32 v9, s41
	v_add_co_u32_e32 v8, vcc, s40, v2
	v_addc_co_u32_e32 v9, vcc, v3, v9, vcc
	global_load_dwordx2 v[8:9], v[8:9], off
	s_waitcnt vmcnt(0)
	ds_write_b64 v32, v[8:9] offset:2112
.LBB0_61:
	s_or_b64 exec, exec, s[30:31]
	v_add_u32_e32 v8, 16, v10
	v_cmp_le_i32_e32 vcc, s21, v8
	s_and_saveexec_b64 s[30:31], vcc
	s_xor_b64 s[30:31], exec, s[30:31]
	s_cbranch_execz .LBB0_63
; %bb.62:
	v_mov_b32_e32 v8, 0
	v_mov_b32_e32 v9, v8
	ds_write_b64 v32, v[8:9] offset:4224
.LBB0_63:
	s_andn2_saveexec_b64 s[30:31], s[30:31]
	s_cbranch_execz .LBB0_65
; %bb.64:
	s_lshl_b64 s[40:41], s[16:17], 7
	v_mov_b32_e32 v9, s41
	v_add_co_u32_e32 v8, vcc, s40, v2
	v_addc_co_u32_e32 v9, vcc, v3, v9, vcc
	global_load_dwordx2 v[8:9], v[8:9], off
	s_waitcnt vmcnt(0)
	ds_write_b64 v32, v[8:9] offset:4224
.LBB0_65:
	s_or_b64 exec, exec, s[30:31]
	v_add_u32_e32 v8, 24, v10
	v_cmp_le_i32_e32 vcc, s21, v8
	s_and_saveexec_b64 s[30:31], vcc
	s_xor_b64 s[30:31], exec, s[30:31]
	s_cbranch_execz .LBB0_67
; %bb.66:
	v_mov_b32_e32 v8, 0
	v_mov_b32_e32 v9, v8
	ds_write_b64 v32, v[8:9] offset:6336
                                        ; implicit-def: $vgpr32
.LBB0_67:
	s_andn2_saveexec_b64 s[30:31], s[30:31]
	s_cbranch_execz .LBB0_69
; %bb.68:
	v_mov_b32_e32 v8, 0xc0
	v_mad_u64_u32 v[8:9], s[40:41], s16, v8, v[2:3]
	v_add_u32_e32 v9, s39, v9
	global_load_dwordx2 v[8:9], v[8:9], off
	s_waitcnt vmcnt(0)
	ds_write_b64 v32, v[8:9] offset:6336
.LBB0_69:
	s_or_b64 exec, exec, s[30:31]
	v_add_co_u32_e32 v2, vcc, v2, v11
	v_addc_co_u32_e32 v3, vcc, 0, v3, vcc
	v_mov_b32_e32 v8, s29
	v_subrev_co_u32_e32 v2, vcc, s28, v2
	v_subb_co_u32_e32 v3, vcc, v3, v8, vcc
	v_add_co_u32_e32 v2, vcc, 0x108, v2
	v_addc_co_u32_e32 v3, vcc, 0, v3, vcc
	v_cndmask_b32_e64 v3, v3, v5, s[12:13]
	v_cndmask_b32_e64 v2, v2, v4, s[12:13]
	s_branch .LBB0_72
.LBB0_70:
                                        ; implicit-def: $vgpr2_vgpr3
	s_cbranch_execz .LBB0_72
; %bb.71:
	s_lshl_b64 s[12:13], s[16:17], 6
	v_mov_b32_e32 v9, s13
	v_add_co_u32_e32 v2, vcc, s12, v6
	v_addc_co_u32_e32 v3, vcc, v7, v9, vcc
	v_mov_b32_e32 v32, 0xc0
	v_add_co_u32_e32 v8, vcc, s12, v2
	v_mad_u64_u32 v[32:33], s[12:13], s16, v32, v[6:7]
	v_addc_co_u32_e32 v9, vcc, v3, v9, vcc
	v_add_u32_e32 v33, s39, v33
	global_load_dwordx2 v[34:35], v[6:7], off offset:256
	global_load_dwordx2 v[36:37], v[2:3], off offset:256
	;; [unrolled: 1-line block ×4, first 2 shown]
	v_add_lshl_u32 v2, v1, v0, 3
	s_waitcnt vmcnt(3)
	ds_write_b64 v2, v[34:35]
	s_waitcnt vmcnt(2)
	ds_write_b64 v2, v[36:37] offset:2112
	s_waitcnt vmcnt(1)
	ds_write_b64 v2, v[38:39] offset:4224
	s_waitcnt vmcnt(0)
	ds_write_b64 v2, v[40:41] offset:6336
	v_pk_mov_b32 v[2:3], v[4:5], v[4:5] op_sel:[0,1]
.LBB0_72:
	s_waitcnt lgkmcnt(0)
	s_barrier
	s_and_saveexec_b64 s[12:13], s[4:5]
	s_xor_b64 s[4:5], exec, s[12:13]
	s_cbranch_execnz .LBB0_99
; %bb.73:
	s_andn2_saveexec_b64 s[4:5], s[4:5]
	s_cbranch_execnz .LBB0_102
.LBB0_74:
	s_or_b64 exec, exec, s[4:5]
	s_and_saveexec_b64 s[4:5], s[14:15]
	s_xor_b64 s[4:5], exec, s[4:5]
	s_cbranch_execnz .LBB0_103
.LBB0_75:
	s_andn2_saveexec_b64 s[4:5], s[4:5]
	s_cbranch_execnz .LBB0_104
.LBB0_76:
	s_or_b64 exec, exec, s[4:5]
	s_and_saveexec_b64 s[4:5], s[8:9]
	s_xor_b64 s[4:5], exec, s[4:5]
	s_cbranch_execnz .LBB0_107
.LBB0_77:
	s_andn2_saveexec_b64 s[4:5], s[4:5]
	s_cbranch_execnz .LBB0_110
.LBB0_78:
	s_or_b64 exec, exec, s[4:5]
	s_and_saveexec_b64 s[4:5], s[10:11]
	s_xor_b64 s[4:5], exec, s[4:5]
	s_cbranch_execnz .LBB0_111
.LBB0_79:
	s_or_saveexec_b64 s[4:5], s[4:5]
	v_add_u32_e32 v25, 0x2380, v27
	s_xor_b64 exec, exec, s[4:5]
	s_cbranch_execz .LBB0_81
.LBB0_80:
	ds_read_b64 v[4:5], v19 offset:528
	s_waitcnt lgkmcnt(0)
	v_xor_b32_e32 v5, 0x80000000, v5
	ds_write_b64 v16, v[4:5] offset:24
.LBB0_81:
	s_or_b64 exec, exec, s[4:5]
	s_waitcnt lgkmcnt(0)
	s_barrier
	ds_read_b64 v[8:9], v20
	ds_read_b128 v[4:7], v25 offset:256
	ds_read2_b64 v[32:35], v19 offset1:33
	ds_read_b64 v[16:17], v19 offset:528
	ds_read_b128 v[36:39], v25 offset:272
	v_cmp_eq_u32_e64 s[4:5], 1, v10
	s_waitcnt lgkmcnt(3)
	v_pk_mul_f32 v[26:27], v[4:5], v[8:9] op_sel:[0,1]
	v_pk_fma_f32 v[40:41], v[4:5], v[8:9], v[26:27] op_sel:[0,0,1] op_sel_hi:[1,1,0] neg_lo:[0,0,1] neg_hi:[0,0,1]
	v_pk_fma_f32 v[4:5], v[4:5], v[8:9], v[26:27] op_sel:[0,0,1] op_sel_hi:[1,0,0]
	s_waitcnt lgkmcnt(2)
	v_pk_mul_f32 v[8:9], v[6:7], v[32:33] op_sel:[0,1]
	v_pk_fma_f32 v[26:27], v[6:7], v[32:33], v[8:9] op_sel:[0,0,1] op_sel_hi:[1,1,0] neg_lo:[0,0,1] neg_hi:[0,0,1]
	v_pk_fma_f32 v[6:7], v[6:7], v[32:33], v[8:9] op_sel:[0,0,1] op_sel_hi:[1,0,0]
	v_mov_b32_e32 v41, v5
	v_mov_b32_e32 v27, v7
	s_waitcnt lgkmcnt(0)
	v_pk_mul_f32 v[6:7], v[36:37], v[34:35] op_sel:[0,1]
	v_pk_add_f32 v[4:5], v[40:41], 0 op_sel_hi:[1,0]
	v_pk_fma_f32 v[8:9], v[36:37], v[34:35], v[6:7] op_sel:[0,0,1] op_sel_hi:[1,1,0] neg_lo:[0,0,1] neg_hi:[0,0,1]
	v_pk_fma_f32 v[6:7], v[36:37], v[34:35], v[6:7] op_sel:[0,0,1] op_sel_hi:[1,0,0]
	v_pk_add_f32 v[4:5], v[4:5], v[26:27]
	v_mov_b32_e32 v9, v7
	v_pk_mul_f32 v[6:7], v[38:39], v[16:17] op_sel:[0,1]
	v_pk_add_f32 v[4:5], v[4:5], v[8:9]
	v_pk_fma_f32 v[8:9], v[38:39], v[16:17], v[6:7] op_sel:[0,0,1] op_sel_hi:[1,1,0] neg_lo:[0,0,1] neg_hi:[0,0,1]
	v_pk_fma_f32 v[6:7], v[38:39], v[16:17], v[6:7] op_sel:[0,0,1] op_sel_hi:[1,0,0]
	v_mov_b32_e32 v9, v7
	v_pk_add_f32 v[4:5], v[4:5], v[8:9]
	s_barrier
	ds_write_b64 v23, v[4:5]
	s_waitcnt lgkmcnt(0)
	s_barrier
	s_and_saveexec_b64 s[8:9], s[4:5]
	s_cbranch_execz .LBB0_83
; %bb.82:
	ds_read2_b64 v[4:7], v24 offset1:7
	ds_read2_b64 v[30:33], v24 offset0:1 offset1:2
	ds_read2_b64 v[34:37], v24 offset0:3 offset1:4
	s_waitcnt lgkmcnt(1)
	v_add_f32_e32 v4, v30, v4
	v_add_f32_e32 v5, v31, v5
	;; [unrolled: 1-line block ×4, first 2 shown]
	ds_read2_b64 v[30:33], v24 offset0:5 offset1:6
	s_waitcnt lgkmcnt(1)
	v_add_f32_e32 v4, v4, v34
	v_add_f32_e32 v5, v5, v35
	;; [unrolled: 1-line block ×4, first 2 shown]
	s_waitcnt lgkmcnt(0)
	v_add_f32_e32 v4, v4, v30
	v_add_f32_e32 v5, v5, v31
	v_pk_add_f32 v[4:5], v[4:5], v[32:33]
	v_pk_add_f32 v[30:31], v[4:5], v[6:7]
.LBB0_83:
	s_or_b64 exec, exec, s[8:9]
	v_add_co_u32_e32 v4, vcc, 0xffffff00, v2
	v_addc_co_u32_e32 v5, vcc, -1, v3, vcc
	s_and_b64 vcc, exec, s[26:27]
	s_barrier
	s_cbranch_vccz .LBB0_114
; %bb.84:
	v_sub_co_u32_e32 v6, vcc, v2, v11
	s_ashr_i32 s21, s20, 31
	v_subbrev_co_u32_e32 v7, vcc, 0, v3, vcc
	s_lshl_b64 s[10:11], s[20:21], 3
	v_mov_b32_e32 v8, s11
	v_add_co_u32_e32 v6, vcc, s10, v6
	v_addc_co_u32_e32 v7, vcc, v7, v8, vcc
	v_add_co_u32_e32 v6, vcc, 0xfffffef8, v6
	v_addc_co_u32_e32 v7, vcc, -1, v7, vcc
	v_cmp_gt_i32_e32 vcc, s20, v0
	s_sub_i32 s14, s20, 32
	v_mov_b32_e32 v8, 0
	v_cndmask_b32_e32 v7, v7, v5, vcc
	v_cndmask_b32_e32 v6, v6, v4, vcc
	v_cmp_gt_i32_e64 s[8:9], s14, v10
	v_mov_b32_e32 v9, v8
	s_and_saveexec_b64 s[12:13], s[8:9]
	s_cbranch_execz .LBB0_86
; %bb.85:
	global_load_dwordx2 v[8:9], v[6:7], off
.LBB0_86:
	s_or_b64 exec, exec, s[12:13]
	v_add_lshl_u32 v16, v1, v0, 3
	s_waitcnt vmcnt(0)
	ds_write_b64 v16, v[8:9]
	v_add_u32_e32 v8, 8, v10
	v_cmp_le_i32_e64 s[8:9], s14, v8
	s_and_saveexec_b64 s[12:13], s[8:9]
	s_xor_b64 s[8:9], exec, s[12:13]
	s_cbranch_execz .LBB0_88
; %bb.87:
	v_mul_u32_u24_e32 v9, 33, v8
	v_mov_b32_e32 v26, 0
	v_add_lshl_u32 v9, v9, v0, 3
	v_mov_b32_e32 v27, v26
	ds_write_b64 v9, v[26:27]
.LBB0_88:
	s_andn2_saveexec_b64 s[12:13], s[8:9]
	s_cbranch_execz .LBB0_90
; %bb.89:
	s_lshl_b64 s[8:9], s[16:17], 6
	v_mov_b32_e32 v9, s9
	v_add_co_u32_e64 v26, s[8:9], s8, v6
	v_addc_co_u32_e64 v27, s[8:9], v7, v9, s[8:9]
	global_load_dwordx2 v[26:27], v[26:27], off
	s_waitcnt vmcnt(0)
	ds_write_b64 v16, v[26:27] offset:2112
.LBB0_90:
	s_or_b64 exec, exec, s[12:13]
	v_add_u32_e32 v9, 16, v10
	v_cmp_le_i32_e64 s[8:9], s14, v9
	s_and_saveexec_b64 s[12:13], s[8:9]
	s_xor_b64 s[8:9], exec, s[12:13]
	s_cbranch_execz .LBB0_92
; %bb.91:
	v_mov_b32_e32 v26, 0
	v_mov_b32_e32 v27, v26
	ds_write_b64 v16, v[26:27] offset:4224
.LBB0_92:
	s_andn2_saveexec_b64 s[12:13], s[8:9]
	s_cbranch_execz .LBB0_94
; %bb.93:
	s_lshl_b64 s[8:9], s[16:17], 7
	v_mov_b32_e32 v17, s9
	v_add_co_u32_e64 v26, s[8:9], s8, v6
	v_addc_co_u32_e64 v27, s[8:9], v7, v17, s[8:9]
	global_load_dwordx2 v[26:27], v[26:27], off
	s_waitcnt vmcnt(0)
	ds_write_b64 v16, v[26:27] offset:4224
.LBB0_94:
	s_or_b64 exec, exec, s[12:13]
	v_add_u32_e32 v21, 24, v10
	v_cmp_le_i32_e64 s[8:9], s14, v21
	s_and_saveexec_b64 s[12:13], s[8:9]
	s_xor_b64 s[8:9], exec, s[12:13]
	s_cbranch_execz .LBB0_96
; %bb.95:
	v_mov_b32_e32 v26, 0
	v_mov_b32_e32 v27, v26
	ds_write_b64 v16, v[26:27] offset:6336
                                        ; implicit-def: $vgpr16
.LBB0_96:
	s_andn2_saveexec_b64 s[8:9], s[8:9]
	s_cbranch_execz .LBB0_98
; %bb.97:
	v_mov_b32_e32 v17, 0xc0
	v_mad_u64_u32 v[26:27], s[12:13], s16, v17, v[6:7]
	v_add_u32_e32 v27, s39, v27
	global_load_dwordx2 v[26:27], v[26:27], off
	s_waitcnt vmcnt(0)
	ds_write_b64 v16, v[26:27] offset:6336
.LBB0_98:
	s_or_b64 exec, exec, s[8:9]
	v_add_co_u32_e64 v6, s[8:9], v6, v11
	v_addc_co_u32_e64 v7, s[8:9], 0, v7, s[8:9]
	v_mov_b32_e32 v11, s11
	v_subrev_co_u32_e64 v6, s[8:9], s10, v6
	v_subb_co_u32_e64 v7, s[8:9], v7, v11, s[8:9]
	v_add_co_u32_e64 v6, s[8:9], 8, v6
	v_addc_co_u32_e64 v7, s[8:9], 0, v7, s[8:9]
	v_cndmask_b32_e32 v17, v7, v5, vcc
	v_cndmask_b32_e32 v16, v6, v4, vcc
	s_branch .LBB0_116
.LBB0_99:
	v_cmp_eq_u32_e32 vcc, v21, v0
	s_and_saveexec_b64 s[12:13], vcc
	s_cbranch_execz .LBB0_101
; %bb.100:
	v_mul_u32_u24_e32 v4, 34, v0
	v_lshlrev_b32_e32 v4, 3, v4
	v_mov_b32_e32 v5, 0
	ds_write_b32 v4, v5 offset:4
.LBB0_101:
	s_or_b64 exec, exec, s[12:13]
	s_andn2_saveexec_b64 s[4:5], s[4:5]
	s_cbranch_execz .LBB0_74
.LBB0_102:
	ds_read_b64 v[4:5], v20
	s_waitcnt lgkmcnt(0)
	v_xor_b32_e32 v5, 0x80000000, v5
	ds_write_b64 v16, v[4:5]
	s_or_b64 exec, exec, s[4:5]
	s_and_saveexec_b64 s[4:5], s[14:15]
	s_xor_b64 s[4:5], exec, s[4:5]
	s_cbranch_execz .LBB0_75
.LBB0_103:
	ds_read_b64 v[4:5], v19
                                        ; implicit-def: $vgpr17
	s_waitcnt lgkmcnt(0)
	v_xor_b32_e32 v5, 0x80000000, v5
	ds_write_b64 v16, v[4:5] offset:8
	s_andn2_saveexec_b64 s[4:5], s[4:5]
	s_cbranch_execz .LBB0_76
.LBB0_104:
	v_cmp_eq_u32_e32 vcc, v17, v0
	s_and_saveexec_b64 s[12:13], vcc
	s_cbranch_execz .LBB0_106
; %bb.105:
	v_mul_u32_u24_e32 v4, 34, v0
	v_lshlrev_b32_e32 v4, 3, v4
	v_mov_b32_e32 v5, 0
	ds_write_b32 v4, v5 offset:4
.LBB0_106:
	s_or_b64 exec, exec, s[12:13]
	s_or_b64 exec, exec, s[4:5]
	s_and_saveexec_b64 s[4:5], s[8:9]
	s_xor_b64 s[4:5], exec, s[4:5]
	s_cbranch_execz .LBB0_77
.LBB0_107:
	v_cmp_eq_u32_e32 vcc, v25, v0
	s_and_saveexec_b64 s[8:9], vcc
	s_cbranch_execz .LBB0_109
; %bb.108:
	v_mul_u32_u24_e32 v4, 34, v0
	v_lshlrev_b32_e32 v4, 3, v4
	v_mov_b32_e32 v5, 0
	ds_write_b32 v4, v5 offset:4
.LBB0_109:
	s_or_b64 exec, exec, s[8:9]
	s_andn2_saveexec_b64 s[4:5], s[4:5]
	s_cbranch_execz .LBB0_78
.LBB0_110:
	ds_read_b64 v[4:5], v19 offset:264
	s_waitcnt lgkmcnt(0)
	v_xor_b32_e32 v5, 0x80000000, v5
	ds_write_b64 v16, v[4:5] offset:16
	s_or_b64 exec, exec, s[4:5]
	s_and_saveexec_b64 s[4:5], s[10:11]
	s_xor_b64 s[4:5], exec, s[4:5]
	s_cbranch_execz .LBB0_79
.LBB0_111:
	v_cmp_eq_u32_e32 vcc, v26, v0
	s_and_saveexec_b64 s[8:9], vcc
	s_cbranch_execz .LBB0_113
; %bb.112:
	v_mul_u32_u24_e32 v4, 34, v0
	v_lshlrev_b32_e32 v4, 3, v4
	v_mov_b32_e32 v5, 0
	ds_write_b32 v4, v5 offset:4
.LBB0_113:
	s_or_b64 exec, exec, s[8:9]
                                        ; implicit-def: $vgpr16
	s_or_saveexec_b64 s[4:5], s[4:5]
	v_add_u32_e32 v25, 0x2380, v27
	s_xor_b64 exec, exec, s[4:5]
	s_cbranch_execnz .LBB0_80
	s_branch .LBB0_81
.LBB0_114:
                                        ; implicit-def: $vgpr16_vgpr17
                                        ; implicit-def: $vgpr8
                                        ; implicit-def: $vgpr9
                                        ; implicit-def: $vgpr21
	s_cbranch_execz .LBB0_116
; %bb.115:
	s_lshl_b64 s[8:9], s[16:17], 6
	v_mov_b32_e32 v9, s9
	v_add_co_u32_e32 v6, vcc, s8, v2
	v_addc_co_u32_e32 v7, vcc, v3, v9, vcc
	v_add_co_u32_e32 v8, vcc, s8, v6
	v_addc_co_u32_e32 v9, vcc, v7, v9, vcc
	global_load_dwordx2 v[16:17], v[6:7], off offset:-256
	global_load_dwordx2 v[26:27], v[8:9], off offset:-256
	v_mov_b32_e32 v8, 0xc0
	global_load_dwordx2 v[6:7], v[2:3], off offset:-256
	v_mad_u64_u32 v[2:3], s[8:9], s16, v8, v[2:3]
	v_add_u32_e32 v3, s39, v3
	global_load_dwordx2 v[2:3], v[2:3], off offset:-256
	v_add_lshl_u32 v0, v1, v0, 3
	v_add_u32_e32 v8, 8, v10
	v_add_u32_e32 v9, 16, v10
	;; [unrolled: 1-line block ×3, first 2 shown]
	s_waitcnt vmcnt(1)
	ds_write_b64 v0, v[6:7]
	ds_write_b64 v0, v[16:17] offset:2112
	ds_write_b64 v0, v[26:27] offset:4224
	s_waitcnt vmcnt(0)
	ds_write_b64 v0, v[2:3] offset:6336
	v_pk_mov_b32 v[16:17], v[4:5], v[4:5] op_sel:[0,1]
.LBB0_116:
	s_waitcnt lgkmcnt(0)
	s_barrier
	ds_read_b64 v[26:27], v23
	v_add_lshl_u32 v0, v9, v18, 3
	ds_read_b64 v[32:33], v0
	v_lshlrev_b32_e32 v4, 3, v10
	v_add_lshl_u32 v5, v8, v18, 3
	v_lshlrev_b32_e32 v6, 3, v8
	v_lshlrev_b32_e32 v7, 3, v9
	v_add_lshl_u32 v18, v21, v18, 3
	v_lshlrev_b32_e32 v40, 3, v21
	ds_read2_b64 v[0:3], v19 offset1:33
	ds_read_b64 v[20:21], v20
	ds_read_b128 v[8:11], v25 offset:256
	ds_read_b64 v[34:35], v6 offset:9088
	ds_read_b64 v[36:37], v5
	ds_read_b64 v[38:39], v4 offset:9088
	ds_read_b64 v[40:41], v40 offset:9088
	ds_read_b64 v[42:43], v18
	ds_read_b64 v[44:45], v7 offset:9088
	ds_read_b64 v[18:19], v19 offset:528
	ds_read_b128 v[4:7], v25 offset:272
	s_waitcnt lgkmcnt(5)
	v_pk_mul_f32 v[46:47], v[26:27], v[38:39] op_sel:[1,0]
	v_pk_mul_f32 v[48:49], v[36:37], v[34:35] op_sel:[1,0]
	v_pk_fma_f32 v[54:55], v[26:27], v[38:39], v[46:47] op_sel:[0,0,1] op_sel_hi:[1,1,0]
	v_pk_fma_f32 v[26:27], v[26:27], v[38:39], v[46:47] op_sel:[0,0,1] op_sel_hi:[0,1,0] neg_lo:[0,0,1] neg_hi:[0,0,1]
	s_waitcnt lgkmcnt(2)
	v_pk_mul_f32 v[50:51], v[32:33], v[44:45] op_sel:[1,0]
	v_mov_b32_e32 v55, v27
	v_pk_fma_f32 v[38:39], v[36:37], v[34:35], v[48:49] op_sel:[0,0,1] op_sel_hi:[1,1,0]
	v_pk_fma_f32 v[34:35], v[36:37], v[34:35], v[48:49] op_sel:[0,0,1] op_sel_hi:[0,1,0] neg_lo:[0,0,1] neg_hi:[0,0,1]
	v_pk_add_f32 v[26:27], v[54:55], 0 op_sel_hi:[1,0]
	v_mov_b32_e32 v39, v35
	v_pk_fma_f32 v[34:35], v[32:33], v[44:45], v[50:51] op_sel:[0,0,1] op_sel_hi:[1,1,0]
	v_pk_fma_f32 v[32:33], v[32:33], v[44:45], v[50:51] op_sel:[0,0,1] op_sel_hi:[0,1,0] neg_lo:[0,0,1] neg_hi:[0,0,1]
	v_pk_mul_f32 v[52:53], v[42:43], v[40:41] op_sel:[1,0]
	v_pk_add_f32 v[26:27], v[26:27], v[38:39]
	v_mov_b32_e32 v35, v33
	v_pk_add_f32 v[26:27], v[26:27], v[34:35]
	v_pk_fma_f32 v[32:33], v[42:43], v[40:41], v[52:53] op_sel:[0,0,1] op_sel_hi:[1,1,0]
	v_pk_fma_f32 v[34:35], v[42:43], v[40:41], v[52:53] op_sel:[0,0,1] op_sel_hi:[0,1,0] neg_lo:[0,0,1] neg_hi:[0,0,1]
	v_mov_b32_e32 v33, v35
	v_pk_add_f32 v[26:27], v[26:27], v[32:33]
	s_waitcnt lgkmcnt(0)
	s_barrier
	ds_write_b64 v23, v[26:27]
	s_waitcnt lgkmcnt(0)
	s_barrier
	s_and_saveexec_b64 s[8:9], s[4:5]
	s_cbranch_execz .LBB0_118
; %bb.117:
	ds_read2_b64 v[32:35], v24 offset1:1
	ds_read2_b64 v[36:39], v24 offset0:2 offset1:3
	ds_read2_b64 v[40:43], v24 offset0:6 offset1:7
	s_waitcnt lgkmcnt(2)
	v_pk_add_f32 v[26:27], v[30:31], v[32:33]
	ds_read2_b64 v[30:33], v24 offset0:4 offset1:5
	v_pk_add_f32 v[26:27], v[26:27], v[34:35]
	s_waitcnt lgkmcnt(2)
	v_pk_add_f32 v[26:27], v[26:27], v[36:37]
	v_pk_add_f32 v[26:27], v[26:27], v[38:39]
	s_waitcnt lgkmcnt(0)
	v_pk_add_f32 v[26:27], v[26:27], v[30:31]
	v_pk_add_f32 v[26:27], v[26:27], v[32:33]
	;; [unrolled: 1-line block ×4, first 2 shown]
.LBB0_118:
	s_or_b64 exec, exec, s[8:9]
	v_pk_mul_f32 v[26:27], v[8:9], v[20:21] op_sel:[0,1]
	v_pk_fma_f32 v[32:33], v[8:9], v[20:21], v[26:27] op_sel:[0,0,1] op_sel_hi:[1,1,0] neg_lo:[0,0,1] neg_hi:[0,0,1]
	v_pk_fma_f32 v[8:9], v[8:9], v[20:21], v[26:27] op_sel:[0,0,1] op_sel_hi:[1,0,0]
	v_pk_mul_f32 v[20:21], v[10:11], v[0:1] op_sel:[0,1]
	v_mov_b32_e32 v33, v9
	v_pk_fma_f32 v[26:27], v[10:11], v[0:1], v[20:21] op_sel:[0,0,1] op_sel_hi:[1,1,0] neg_lo:[0,0,1] neg_hi:[0,0,1]
	v_pk_fma_f32 v[0:1], v[10:11], v[0:1], v[20:21] op_sel:[0,0,1] op_sel_hi:[1,0,0]
	v_pk_add_f32 v[8:9], v[32:33], 0 op_sel_hi:[1,0]
	v_mov_b32_e32 v27, v1
	v_pk_add_f32 v[0:1], v[8:9], v[26:27]
	v_pk_mul_f32 v[8:9], v[4:5], v[2:3] op_sel:[0,1]
	v_pk_fma_f32 v[10:11], v[4:5], v[2:3], v[8:9] op_sel:[0,0,1] op_sel_hi:[1,1,0] neg_lo:[0,0,1] neg_hi:[0,0,1]
	v_pk_fma_f32 v[2:3], v[4:5], v[2:3], v[8:9] op_sel:[0,0,1] op_sel_hi:[1,0,0]
	v_mov_b32_e32 v11, v3
	v_pk_mul_f32 v[2:3], v[6:7], v[18:19] op_sel:[0,1]
	v_pk_fma_f32 v[4:5], v[6:7], v[18:19], v[2:3] op_sel:[0,0,1] op_sel_hi:[1,1,0] neg_lo:[0,0,1] neg_hi:[0,0,1]
	v_pk_fma_f32 v[2:3], v[6:7], v[18:19], v[2:3] op_sel:[0,0,1] op_sel_hi:[1,0,0]
	v_pk_add_f32 v[0:1], v[0:1], v[10:11]
	v_mov_b32_e32 v5, v3
	v_pk_add_f32 v[0:1], v[0:1], v[4:5]
	s_barrier
	ds_write_b64 v23, v[0:1]
	s_waitcnt lgkmcnt(0)
	s_barrier
	s_and_saveexec_b64 s[4:5], s[2:3]
	s_cbranch_execz .LBB0_120
; %bb.119:
	ds_read2_b64 v[0:3], v24 offset1:1
	ds_read2_b64 v[4:7], v24 offset0:2 offset1:3
	ds_read2_b64 v[8:11], v24 offset0:4 offset1:5
	s_waitcnt lgkmcnt(2)
	v_pk_add_f32 v[0:1], v[30:31], v[0:1]
	v_pk_add_f32 v[18:19], v[0:1], v[2:3]
	ds_read2_b64 v[0:3], v24 offset0:6 offset1:7
	s_waitcnt lgkmcnt(2)
	v_pk_add_f32 v[4:5], v[18:19], v[4:5]
	v_pk_add_f32 v[4:5], v[4:5], v[6:7]
	s_waitcnt lgkmcnt(1)
	v_pk_add_f32 v[4:5], v[4:5], v[8:9]
	v_pk_add_f32 v[4:5], v[4:5], v[10:11]
	;; [unrolled: 3-line block ×3, first 2 shown]
.LBB0_120:
	s_or_b64 exec, exec, s[4:5]
	s_mul_hi_u32 s2, s37, s7
	s_mul_i32 s38, s38, s7
	s_add_i32 s2, s2, s38
	s_mul_i32 s4, s37, s7
	s_mul_i32 s2, s2, s33
	s_mul_hi_u32 s3, s4, s33
	s_add_i32 s3, s3, s2
	s_mul_i32 s2, s4, s33
	s_lshl_b64 s[2:3], s[2:3], 3
	s_add_u32 s4, s34, s2
	s_addc_u32 s5, s35, s3
	s_mul_hi_i32 s3, s37, s6
	s_mul_i32 s2, s37, s6
	s_lshl_b64 s[2:3], s[2:3], 3
	s_add_u32 s7, s4, s2
	s_addc_u32 s21, s5, s3
	s_add_i32 s2, s6, 1
	s_cmp_ge_u32 s2, s33
	v_lshlrev_b32_e32 v32, 3, v65
	s_barrier
	s_cbranch_scc1 .LBB0_178
; %bb.121:
	s_mul_i32 s2, s22, s25
	s_mul_hi_u32 s3, s22, s24
	s_add_i32 s2, s3, s2
	s_mul_i32 s3, s23, s24
	s_add_i32 s3, s2, s3
	s_mul_i32 s2, s22, s24
	s_lshl_b64 s[2:3], s[2:3], 3
	v_mov_b32_e32 v0, s3
	v_subrev_co_u32_e32 v123, vcc, s2, v14
	v_and_b32_e32 v1, 48, v65
	v_subb_co_u32_e32 v124, vcc, v15, v0, vcc
	v_and_b32_e32 v0, 15, v65
	v_lshlrev_b32_e32 v2, 3, v1
	s_movk_i32 s4, 0x218
	v_lshrrev_b32_e32 v4, 4, v22
	v_mad_u32_u24 v125, v0, s4, v2
	v_or_b32_e32 v2, 0x78, v32
	v_lshlrev_b32_e32 v5, 5, v109
	v_mad_u32_u24 v126, v0, s4, v2
	v_lshlrev_b32_e32 v2, 5, v4
	v_add_u32_e32 v3, 0x100, v5
	v_mad_u32_u24 v127, v0, s4, v2
	v_or_b32_e32 v128, v1, v0
	v_mad_u64_u32 v[0:1], s[4:5], s16, v3, 0
	v_mov_b32_e32 v2, v1
	v_mad_u64_u32 v[2:3], s[4:5], s17, v3, v[2:3]
	v_mov_b32_e32 v1, v2
	v_sub_co_u32_e32 v0, vcc, v0, v12
	v_subb_co_u32_e32 v1, vcc, v1, v13, vcc
	v_add_co_u32_e32 v34, vcc, v16, v0
	v_add_u32_e32 v3, 0x110, v5
	v_addc_co_u32_e32 v33, vcc, v17, v1, vcc
	v_mad_u64_u32 v[0:1], s[4:5], s16, v3, 0
	v_mov_b32_e32 v2, v1
	v_mad_u64_u32 v[2:3], s[4:5], s17, v3, v[2:3]
	v_mov_b32_e32 v1, v2
	v_sub_co_u32_e32 v0, vcc, v0, v12
	v_subb_co_u32_e32 v1, vcc, v1, v13, vcc
	v_add_co_u32_e32 v36, vcc, v16, v0
	v_add_u32_e32 v3, 0x108, v5
	v_addc_co_u32_e32 v35, vcc, v17, v1, vcc
	;; [unrolled: 9-line block ×12, first 2 shown]
	v_mad_u64_u32 v[0:1], s[4:5], s16, v3, 0
	v_mov_b32_e32 v2, v1
	v_mad_u64_u32 v[2:3], s[4:5], s17, v3, v[2:3]
	v_mov_b32_e32 v1, v2
	v_sub_co_u32_e32 v6, vcc, v0, v12
	v_add_u32_e32 v3, 0x288, v5
	v_subb_co_u32_e32 v7, vcc, v1, v13, vcc
	v_mad_u64_u32 v[0:1], s[4:5], s16, v3, 0
	v_mov_b32_e32 v2, v1
	v_mad_u64_u32 v[2:3], s[4:5], s17, v3, v[2:3]
	v_mov_b32_e32 v1, v2
	v_sub_co_u32_e32 v8, vcc, v0, v12
	v_add_u32_e32 v3, 0x290, v5
	v_subb_co_u32_e32 v9, vcc, v1, v13, vcc
	;; [unrolled: 7-line block ×3, first 2 shown]
	v_mad_u64_u32 v[0:1], s[4:5], s16, v3, 0
	v_mov_b32_e32 v2, v1
	v_add_co_u32_e32 v58, vcc, v16, v6
	v_mad_u64_u32 v[2:3], s[4:5], s17, v3, v[2:3]
	v_addc_co_u32_e32 v57, vcc, v17, v7, vcc
	v_mov_b32_e32 v1, v2
	v_sub_co_u32_e32 v0, vcc, v0, v12
	v_subb_co_u32_e32 v1, vcc, v1, v13, vcc
	v_add_co_u32_e32 v60, vcc, v16, v8
	v_addc_co_u32_e32 v59, vcc, v17, v9, vcc
	v_add_co_u32_e32 v62, vcc, v16, v10
	v_addc_co_u32_e32 v61, vcc, v17, v11, vcc
	v_add_co_u32_e32 v64, vcc, v16, v0
	s_movk_i32 s4, 0x860
	v_mul_i32_i24_e32 v0, 0xffffffe8, v4
	v_lshlrev_b32_e32 v131, 2, v109
	v_cmp_gt_u32_e64 s[2:3], 64, v22
	v_addc_co_u32_e32 v63, vcc, v17, v1, vcc
	s_add_i32 s23, s33, -2
	v_add_u32_e32 v129, 0x2180, v5
	s_add_i32 s22, s22, 64
	s_lshl_b64 s[10:11], s[16:17], 9
	s_mov_b32 s12, 0
	v_add_u32_e32 v130, v127, v0
	v_add_u32_e32 v132, 0x2180, v32
	;; [unrolled: 1-line block ×3, first 2 shown]
	v_or_b32_e32 v134, 1, v131
	v_or_b32_e32 v135, 2, v131
	;; [unrolled: 1-line block ×3, first 2 shown]
	v_mad_u32_u24 v137, v109, s4, v32
	v_add_u32_e32 v138, 16, v131
	v_add_u32_e32 v139, 17, v131
	;; [unrolled: 1-line block ×12, first 2 shown]
	v_mov_b32_e32 v66, 0
	s_branch .LBB0_123
.LBB0_122:                              ;   in Loop: Header=BB0_123 Depth=1
	s_or_b64 exec, exec, s[4:5]
	v_mul_f32_e32 v0, v69, v77
	v_fma_f32 v0, v68, v76, -v0
	v_mul_f32_e32 v2, v71, v79
	v_add_f32_e32 v0, v30, v0
	v_fma_f32 v2, v70, v78, -v2
	v_add_f32_e32 v0, v0, v2
	v_mul_f32_e32 v2, v73, v81
	v_fma_f32 v2, v72, v80, -v2
	v_mul_f32_e32 v1, v68, v77
	v_add_f32_e32 v0, v0, v2
	v_mul_f32_e32 v2, v75, v83
	v_mul_f32_e32 v3, v70, v79
	v_fma_f32 v2, v74, v82, -v2
	v_fmac_f32_e32 v1, v69, v76
	v_mul_f32_e32 v4, v72, v81
	v_add_f32_e32 v0, v0, v2
	v_add_f32_e32 v1, v31, v1
	v_fmac_f32_e32 v3, v71, v78
	v_mul_f32_e32 v2, v85, v93
	v_mul_f32_e32 v5, v74, v83
	v_add_f32_e32 v1, v1, v3
	v_fmac_f32_e32 v4, v73, v80
	v_fma_f32 v2, v84, v92, -v2
	v_add_f32_e32 v1, v1, v4
	v_fmac_f32_e32 v5, v75, v82
	v_mul_f32_e32 v6, v84, v93
	v_add_f32_e32 v0, v0, v2
	v_mul_f32_e32 v2, v87, v95
	v_add_f32_e32 v1, v1, v5
	v_fma_f32 v2, v86, v94, -v2
	v_mul_f32_e32 v7, v86, v95
	v_fmac_f32_e32 v6, v85, v92
	v_add_f32_e32 v0, v0, v2
	v_mul_f32_e32 v2, v89, v97
	v_mul_f32_e32 v3, v88, v97
	v_add_f32_e32 v1, v1, v6
	v_fmac_f32_e32 v7, v87, v94
	v_fma_f32 v2, v88, v96, -v2
	v_mul_f32_e32 v4, v91, v99
	v_mul_f32_e32 v5, v90, v99
	v_add_f32_e32 v1, v1, v7
	v_fmac_f32_e32 v3, v89, v96
	v_fma_f32 v4, v90, v98, -v4
	v_pk_add_f32 v[0:1], v[0:1], v[2:3]
	v_fmac_f32_e32 v5, v91, v98
	v_pk_mul_f32 v[2:3], v[100:101], v[110:111] op_sel:[1,0]
	v_pk_add_f32 v[0:1], v[0:1], v[4:5]
	v_pk_fma_f32 v[4:5], v[100:101], v[110:111], v[2:3] op_sel:[0,0,1] op_sel_hi:[1,1,0] neg_lo:[0,0,1] neg_hi:[0,0,1]
	v_pk_fma_f32 v[2:3], v[100:101], v[110:111], v[2:3] op_sel:[0,0,1] op_sel_hi:[0,1,0]
	v_mov_b32_e32 v5, v3
	v_pk_mul_f32 v[2:3], v[102:103], v[8:9] op_sel:[1,0]
	v_pk_add_f32 v[0:1], v[0:1], v[4:5]
	v_pk_fma_f32 v[4:5], v[102:103], v[8:9], v[2:3] op_sel:[0,0,1] op_sel_hi:[1,1,0] neg_lo:[0,0,1] neg_hi:[0,0,1]
	v_pk_fma_f32 v[2:3], v[102:103], v[8:9], v[2:3] op_sel:[0,0,1] op_sel_hi:[0,1,0]
	v_mov_b32_e32 v5, v3
	;; [unrolled: 5-line block ×3, first 2 shown]
	v_pk_mul_f32 v[2:3], v[108:109], v[112:113] op_sel_hi:[0,1]
	v_pk_add_f32 v[0:1], v[0:1], v[4:5]
	v_pk_fma_f32 v[4:5], v[106:107], v[112:113], v[2:3] op_sel:[0,0,1] op_sel_hi:[1,1,0] neg_lo:[0,0,1] neg_hi:[0,0,1]
	v_pk_fma_f32 v[2:3], v[106:107], v[112:113], v[2:3] op_sel:[0,0,1] op_sel_hi:[0,1,0]
	v_mov_b32_e32 v5, v3
	v_pk_mul_f32 v[2:3], v[114:115], v[16:17] op_sel:[1,0]
	v_pk_add_f32 v[0:1], v[0:1], v[4:5]
	v_pk_fma_f32 v[4:5], v[114:115], v[16:17], v[2:3] op_sel:[0,0,1] op_sel_hi:[1,1,0] neg_lo:[0,0,1] neg_hi:[0,0,1]
	v_pk_fma_f32 v[2:3], v[114:115], v[16:17], v[2:3] op_sel:[0,0,1] op_sel_hi:[0,1,0]
	v_mov_b32_e32 v5, v3
	v_pk_mul_f32 v[2:3], v[116:117], v[18:19] op_sel:[1,0]
	v_pk_fma_f32 v[6:7], v[116:117], v[18:19], v[2:3] op_sel:[0,0,1] op_sel_hi:[1,1,0] neg_lo:[0,0,1] neg_hi:[0,0,1]
	v_pk_fma_f32 v[2:3], v[116:117], v[18:19], v[2:3] op_sel:[0,0,1] op_sel_hi:[0,1,0]
	v_mov_b32_e32 v7, v3
	v_pk_mul_f32 v[2:3], v[118:119], v[12:13] op_sel:[1,0]
	v_pk_fma_f32 v[8:9], v[118:119], v[12:13], v[2:3] op_sel:[0,0,1] op_sel_hi:[1,1,0] neg_lo:[0,0,1] neg_hi:[0,0,1]
	v_pk_fma_f32 v[2:3], v[118:119], v[12:13], v[2:3] op_sel:[0,0,1] op_sel_hi:[0,1,0]
	v_mov_b32_e32 v9, v3
	v_pk_mul_f32 v[2:3], v[122:123], v[14:15] op_sel_hi:[0,1]
	v_pk_add_f32 v[0:1], v[0:1], v[4:5]
	v_pk_fma_f32 v[10:11], v[120:121], v[14:15], v[2:3] op_sel:[0,0,1] op_sel_hi:[1,1,0] neg_lo:[0,0,1] neg_hi:[0,0,1]
	v_pk_fma_f32 v[2:3], v[120:121], v[14:15], v[2:3] op_sel:[0,0,1] op_sel_hi:[0,1,0]
	v_pk_add_f32 v[0:1], v[0:1], v[6:7]
	v_mov_b32_e32 v11, v3
	v_pk_add_f32 v[0:1], v[0:1], v[8:9]
	v_pk_add_f32 v[30:31], v[0:1], v[10:11]
	v_mov_b32_e32 v0, s11
	v_add_co_u32_e32 v34, vcc, s10, v34
	v_addc_co_u32_e32 v33, vcc, v33, v0, vcc
	v_add_co_u32_e32 v36, vcc, s10, v36
	v_addc_co_u32_e32 v35, vcc, v35, v0, vcc
	;; [unrolled: 2-line block ×15, first 2 shown]
	s_add_i32 s4, s6, 1
	s_add_i32 s22, s22, 64
	;; [unrolled: 1-line block ×3, first 2 shown]
	v_add_co_u32_e32 v64, vcc, s10, v64
	v_addc_co_u32_e32 v63, vcc, v63, v0, vcc
	s_cmp_ge_u32 s5, s33
	s_mov_b32 s6, s4
	s_barrier
	s_cbranch_scc1 .LBB0_178
.LBB0_123:                              ; =>This Inner Loop Header: Depth=1
	s_cmp_eq_u32 s23, s6
	s_cselect_b32 s26, s36, 0
	s_and_saveexec_b64 s[4:5], s[0:1]
	s_cbranch_execz .LBB0_128
; %bb.124:                              ;   in Loop: Header=BB0_123 Depth=1
	s_cmp_lg_u32 s26, 0
	s_cselect_b64 s[8:9], -1, 0
	v_cmp_le_i32_e32 vcc, s26, v65
	s_and_b64 s[8:9], s[8:9], vcc
	s_and_saveexec_b64 s[14:15], s[8:9]
	s_xor_b64 s[8:9], exec, s[14:15]
	s_cbranch_execz .LBB0_126
; %bb.125:                              ;   in Loop: Header=BB0_123 Depth=1
	v_mov_b32_e32 v67, v66
	ds_write_b64 v132, v[66:67]
.LBB0_126:                              ;   in Loop: Header=BB0_123 Depth=1
	s_andn2_saveexec_b64 s[8:9], s[8:9]
	s_cbranch_execz .LBB0_128
; %bb.127:                              ;   in Loop: Header=BB0_123 Depth=1
	s_ashr_i32 s8, s22, 31
	s_mul_i32 s9, s22, s25
	s_mul_hi_u32 s13, s22, s24
	s_add_i32 s9, s13, s9
	s_mul_i32 s8, s8, s24
	s_add_i32 s9, s9, s8
	s_mul_i32 s8, s22, s24
	s_lshl_b64 s[8:9], s[8:9], 3
	v_mov_b32_e32 v1, s9
	v_add_co_u32_e32 v0, vcc, s8, v123
	v_addc_co_u32_e32 v1, vcc, v124, v1, vcc
	global_load_dwordx2 v[0:1], v[0:1], off
	s_waitcnt vmcnt(0)
	ds_write_b64 v132, v[0:1]
.LBB0_128:                              ;   in Loop: Header=BB0_123 Depth=1
	s_or_b64 exec, exec, s[4:5]
	s_cmp_eq_u32 s26, 0
	v_add_co_u32_e32 v0, vcc, v34, v32
	s_cselect_b64 s[14:15], -1, 0
	s_cmp_lg_u32 s26, 0
	v_addc_co_u32_e32 v1, vcc, 0, v33, vcc
	s_cselect_b64 s[8:9], -1, 0
	s_and_b64 vcc, exec, s[8:9]
	s_waitcnt lgkmcnt(0)
	s_barrier
	s_cbranch_vccz .LBB0_136
; %bb.129:                              ;   in Loop: Header=BB0_123 Depth=1
	s_mov_b32 s13, s12
	v_cmp_gt_i32_e32 vcc, s26, v131
	v_pk_mov_b32 v[68:69], s[12:13], s[12:13] op_sel:[0,1]
	s_and_saveexec_b64 s[4:5], vcc
	s_cbranch_execz .LBB0_131
; %bb.130:                              ;   in Loop: Header=BB0_123 Depth=1
	global_load_dwordx2 v[68:69], v[0:1], off
.LBB0_131:                              ;   in Loop: Header=BB0_123 Depth=1
	s_or_b64 exec, exec, s[4:5]
	v_cmp_gt_i32_e32 vcc, s26, v134
	v_pk_mov_b32 v[70:71], s[12:13], s[12:13] op_sel:[0,1]
	s_and_saveexec_b64 s[4:5], vcc
	s_cbranch_execz .LBB0_133
; %bb.132:                              ;   in Loop: Header=BB0_123 Depth=1
	v_add_co_u32_e32 v2, vcc, v38, v32
	v_addc_co_u32_e32 v3, vcc, 0, v37, vcc
	global_load_dwordx2 v[70:71], v[2:3], off
.LBB0_133:                              ;   in Loop: Header=BB0_123 Depth=1
	s_or_b64 exec, exec, s[4:5]
	s_mov_b32 s13, s12
	v_cmp_gt_i32_e32 vcc, s26, v135
	v_pk_mov_b32 v[72:73], s[12:13], s[12:13] op_sel:[0,1]
	s_and_saveexec_b64 s[4:5], vcc
	s_cbranch_execz .LBB0_135
; %bb.134:                              ;   in Loop: Header=BB0_123 Depth=1
	v_add_co_u32_e32 v2, vcc, v36, v32
	v_addc_co_u32_e32 v3, vcc, 0, v35, vcc
	global_load_dwordx2 v[72:73], v[2:3], off
.LBB0_135:                              ;   in Loop: Header=BB0_123 Depth=1
	s_or_b64 exec, exec, s[4:5]
	v_cmp_gt_i32_e64 s[4:5], s26, v136
	s_mov_b32 s13, 0
	s_branch .LBB0_138
.LBB0_136:                              ;   in Loop: Header=BB0_123 Depth=1
	s_mov_b64 s[4:5], 0
                                        ; implicit-def: $sgpr13
                                        ; implicit-def: $vgpr72_vgpr73
                                        ; implicit-def: $vgpr70_vgpr71
                                        ; implicit-def: $vgpr68_vgpr69
	s_cbranch_execz .LBB0_138
; %bb.137:                              ;   in Loop: Header=BB0_123 Depth=1
	global_load_dwordx2 v[68:69], v[0:1], off
	v_add_co_u32_e32 v0, vcc, v38, v32
	v_addc_co_u32_e32 v1, vcc, 0, v37, vcc
	global_load_dwordx2 v[70:71], v[0:1], off
	v_add_co_u32_e32 v0, vcc, v36, v32
	v_addc_co_u32_e32 v1, vcc, 0, v35, vcc
	global_load_dwordx2 v[72:73], v[0:1], off
	s_or_b64 s[4:5], s[4:5], exec
                                        ; implicit-def: $sgpr13
.LBB0_138:                              ;   in Loop: Header=BB0_123 Depth=1
	v_mov_b32_e32 v74, s13
	v_mov_b32_e32 v75, s13
	s_and_saveexec_b64 s[16:17], s[4:5]
	s_cbranch_execz .LBB0_140
; %bb.139:                              ;   in Loop: Header=BB0_123 Depth=1
	v_add_co_u32_e32 v0, vcc, v40, v32
	v_addc_co_u32_e32 v1, vcc, 0, v39, vcc
	global_load_dwordx2 v[74:75], v[0:1], off
.LBB0_140:                              ;   in Loop: Header=BB0_123 Depth=1
	s_or_b64 exec, exec, s[16:17]
	ds_read_b64 v[0:1], v133
	ds_read_b64 v[76:77], v129
	v_cndmask_b32_e64 v8, 0, 1, s[8:9]
	v_cmp_ne_u32_e64 s[4:5], 1, v8
	s_andn2_b64 vcc, exec, s[8:9]
	s_waitcnt vmcnt(0) lgkmcnt(1)
	v_mul_f32_e32 v2, v69, v1
	v_mul_f32_e32 v3, v69, v0
	v_fmac_f32_e32 v2, v68, v0
	v_fma_f32 v3, v68, v1, -v3
	v_mul_f32_e32 v4, v71, v1
	ds_write_b64 v137, v[2:3]
	v_mul_f32_e32 v2, v71, v0
	v_fmac_f32_e32 v4, v70, v0
	v_fma_f32 v5, v70, v1, -v2
	v_mul_f32_e32 v2, v73, v1
	v_mul_f32_e32 v3, v73, v0
	ds_read_b64 v[78:79], v129 offset:8
	ds_write_b64 v137, v[4:5] offset:536
	v_fmac_f32_e32 v2, v72, v0
	v_fma_f32 v3, v72, v1, -v3
	ds_read_b64 v[80:81], v129 offset:16
	ds_write_b64 v137, v[2:3] offset:1072
	v_mul_f32_e32 v2, v75, v1
	v_fmac_f32_e32 v2, v74, v0
	v_mul_f32_e32 v0, v75, v0
	v_fma_f32 v3, v74, v1, -v0
	ds_read_b64 v[82:83], v129 offset:24
	ds_write_b64 v137, v[2:3] offset:1608
	s_waitcnt lgkmcnt(0)
	s_barrier
	ds_read2_b64 v[4:7], v127 offset1:1
	ds_read2_b64 v[0:3], v127 offset0:2 offset1:3
	v_add_co_u32_e64 v8, s[8:9], v42, v32
	v_addc_co_u32_e64 v9, s[8:9], 0, v41, s[8:9]
	s_waitcnt lgkmcnt(0)
	s_barrier
	s_cbranch_vccnz .LBB0_148
; %bb.141:                              ;   in Loop: Header=BB0_123 Depth=1
	s_mov_b32 s13, s12
	v_cmp_gt_i32_e32 vcc, s26, v138
	v_pk_mov_b32 v[84:85], s[12:13], s[12:13] op_sel:[0,1]
	s_and_saveexec_b64 s[8:9], vcc
	s_cbranch_execz .LBB0_143
; %bb.142:                              ;   in Loop: Header=BB0_123 Depth=1
	global_load_dwordx2 v[84:85], v[8:9], off
.LBB0_143:                              ;   in Loop: Header=BB0_123 Depth=1
	s_or_b64 exec, exec, s[8:9]
	v_cmp_gt_i32_e32 vcc, s26, v139
	v_pk_mov_b32 v[86:87], s[12:13], s[12:13] op_sel:[0,1]
	s_and_saveexec_b64 s[8:9], vcc
	s_cbranch_execz .LBB0_145
; %bb.144:                              ;   in Loop: Header=BB0_123 Depth=1
	v_add_co_u32_e32 v10, vcc, v44, v32
	v_addc_co_u32_e32 v11, vcc, 0, v43, vcc
	global_load_dwordx2 v[86:87], v[10:11], off
.LBB0_145:                              ;   in Loop: Header=BB0_123 Depth=1
	s_or_b64 exec, exec, s[8:9]
	s_mov_b32 s13, s12
	v_cmp_gt_i32_e32 vcc, s26, v140
	v_pk_mov_b32 v[88:89], s[12:13], s[12:13] op_sel:[0,1]
	s_and_saveexec_b64 s[8:9], vcc
	s_cbranch_execz .LBB0_147
; %bb.146:                              ;   in Loop: Header=BB0_123 Depth=1
	v_add_co_u32_e32 v10, vcc, v46, v32
	v_addc_co_u32_e32 v11, vcc, 0, v45, vcc
	global_load_dwordx2 v[88:89], v[10:11], off
.LBB0_147:                              ;   in Loop: Header=BB0_123 Depth=1
	s_or_b64 exec, exec, s[8:9]
	v_cmp_gt_i32_e64 s[8:9], s26, v141
	s_mov_b32 s13, 0
	s_branch .LBB0_150
.LBB0_148:                              ;   in Loop: Header=BB0_123 Depth=1
	s_mov_b64 s[8:9], 0
                                        ; implicit-def: $sgpr13
                                        ; implicit-def: $vgpr88_vgpr89
                                        ; implicit-def: $vgpr86_vgpr87
                                        ; implicit-def: $vgpr84_vgpr85
	s_cbranch_execz .LBB0_150
; %bb.149:                              ;   in Loop: Header=BB0_123 Depth=1
	global_load_dwordx2 v[84:85], v[8:9], off
	v_add_co_u32_e32 v8, vcc, v44, v32
	v_addc_co_u32_e32 v9, vcc, 0, v43, vcc
	global_load_dwordx2 v[86:87], v[8:9], off
	v_add_co_u32_e32 v8, vcc, v46, v32
	v_addc_co_u32_e32 v9, vcc, 0, v45, vcc
	global_load_dwordx2 v[88:89], v[8:9], off
	s_or_b64 s[8:9], s[8:9], exec
                                        ; implicit-def: $sgpr13
.LBB0_150:                              ;   in Loop: Header=BB0_123 Depth=1
	v_mov_b32_e32 v90, s13
	v_mov_b32_e32 v91, s13
	s_and_saveexec_b64 s[16:17], s[8:9]
	s_cbranch_execz .LBB0_152
; %bb.151:                              ;   in Loop: Header=BB0_123 Depth=1
	v_add_co_u32_e32 v8, vcc, v48, v32
	v_addc_co_u32_e32 v9, vcc, 0, v47, vcc
	global_load_dwordx2 v[90:91], v[8:9], off
.LBB0_152:                              ;   in Loop: Header=BB0_123 Depth=1
	s_or_b64 exec, exec, s[16:17]
	ds_read_b64 v[8:9], v133
	ds_read_b64 v[92:93], v129 offset:128
	s_and_b64 vcc, exec, s[4:5]
	s_waitcnt vmcnt(0) lgkmcnt(1)
	v_mul_f32_e32 v10, v85, v9
	v_mul_f32_e32 v11, v85, v8
	v_fmac_f32_e32 v10, v84, v8
	v_fma_f32 v11, v84, v9, -v11
	v_mul_f32_e32 v12, v87, v9
	ds_write_b64 v137, v[10:11]
	v_mul_f32_e32 v10, v87, v8
	v_fmac_f32_e32 v12, v86, v8
	v_fma_f32 v13, v86, v9, -v10
	v_mul_f32_e32 v10, v89, v9
	v_mul_f32_e32 v11, v89, v8
	ds_read_b64 v[94:95], v129 offset:136
	ds_write_b64 v137, v[12:13] offset:536
	v_fmac_f32_e32 v10, v88, v8
	v_fma_f32 v11, v88, v9, -v11
	ds_read_b64 v[96:97], v129 offset:144
	ds_write_b64 v137, v[10:11] offset:1072
	v_mul_f32_e32 v10, v91, v9
	v_fmac_f32_e32 v10, v90, v8
	v_mul_f32_e32 v8, v91, v8
	v_fma_f32 v11, v90, v9, -v8
	ds_read_b64 v[98:99], v129 offset:152
	ds_write_b64 v137, v[10:11] offset:1608
	s_waitcnt lgkmcnt(0)
	s_barrier
	ds_read2_b64 v[16:19], v127 offset1:1
	ds_read2_b64 v[12:15], v127 offset0:2 offset1:3
	v_add_co_u32_e64 v8, s[8:9], v50, v32
	v_addc_co_u32_e64 v9, s[8:9], 0, v49, s[8:9]
	s_waitcnt lgkmcnt(0)
	s_barrier
	s_cbranch_vccnz .LBB0_160
; %bb.153:                              ;   in Loop: Header=BB0_123 Depth=1
	s_mov_b32 s13, s12
	v_cmp_gt_i32_e32 vcc, s26, v142
	v_pk_mov_b32 v[100:101], s[12:13], s[12:13] op_sel:[0,1]
	s_and_saveexec_b64 s[8:9], vcc
	s_cbranch_execz .LBB0_155
; %bb.154:                              ;   in Loop: Header=BB0_123 Depth=1
	global_load_dwordx2 v[100:101], v[8:9], off
.LBB0_155:                              ;   in Loop: Header=BB0_123 Depth=1
	s_or_b64 exec, exec, s[8:9]
	v_cmp_gt_i32_e32 vcc, s26, v143
	v_pk_mov_b32 v[102:103], s[12:13], s[12:13] op_sel:[0,1]
	s_and_saveexec_b64 s[8:9], vcc
	s_cbranch_execz .LBB0_157
; %bb.156:                              ;   in Loop: Header=BB0_123 Depth=1
	v_add_co_u32_e32 v10, vcc, v52, v32
	v_addc_co_u32_e32 v11, vcc, 0, v51, vcc
	global_load_dwordx2 v[102:103], v[10:11], off
.LBB0_157:                              ;   in Loop: Header=BB0_123 Depth=1
	s_or_b64 exec, exec, s[8:9]
	s_mov_b32 s13, s12
	v_cmp_gt_i32_e32 vcc, s26, v144
	v_pk_mov_b32 v[104:105], s[12:13], s[12:13] op_sel:[0,1]
	s_and_saveexec_b64 s[8:9], vcc
	s_cbranch_execz .LBB0_159
; %bb.158:                              ;   in Loop: Header=BB0_123 Depth=1
	v_add_co_u32_e32 v10, vcc, v54, v32
	v_addc_co_u32_e32 v11, vcc, 0, v53, vcc
	global_load_dwordx2 v[104:105], v[10:11], off
.LBB0_159:                              ;   in Loop: Header=BB0_123 Depth=1
	s_or_b64 exec, exec, s[8:9]
	v_cmp_gt_i32_e64 s[8:9], s26, v145
	s_mov_b32 s13, 0
	s_branch .LBB0_162
.LBB0_160:                              ;   in Loop: Header=BB0_123 Depth=1
	s_mov_b64 s[8:9], 0
                                        ; implicit-def: $sgpr13
                                        ; implicit-def: $vgpr104_vgpr105
                                        ; implicit-def: $vgpr102_vgpr103
                                        ; implicit-def: $vgpr100_vgpr101
	s_cbranch_execz .LBB0_162
; %bb.161:                              ;   in Loop: Header=BB0_123 Depth=1
	global_load_dwordx2 v[100:101], v[8:9], off
	v_add_co_u32_e32 v8, vcc, v52, v32
	v_addc_co_u32_e32 v9, vcc, 0, v51, vcc
	global_load_dwordx2 v[102:103], v[8:9], off
	v_add_co_u32_e32 v8, vcc, v54, v32
	v_addc_co_u32_e32 v9, vcc, 0, v53, vcc
	global_load_dwordx2 v[104:105], v[8:9], off
	s_or_b64 s[8:9], s[8:9], exec
                                        ; implicit-def: $sgpr13
.LBB0_162:                              ;   in Loop: Header=BB0_123 Depth=1
	v_mov_b32_e32 v106, s13
	v_mov_b32_e32 v108, s13
	s_and_saveexec_b64 s[16:17], s[8:9]
	s_cbranch_execz .LBB0_164
; %bb.163:                              ;   in Loop: Header=BB0_123 Depth=1
	v_add_co_u32_e32 v8, vcc, v56, v32
	v_addc_co_u32_e32 v9, vcc, 0, v55, vcc
	global_load_dwordx2 v[106:107], v[8:9], off
	s_waitcnt vmcnt(0)
	v_mov_b32_e32 v108, v107
.LBB0_164:                              ;   in Loop: Header=BB0_123 Depth=1
	s_or_b64 exec, exec, s[16:17]
	ds_read_b64 v[8:9], v133
	ds_read_b64 v[110:111], v129 offset:256
	s_and_b64 vcc, exec, s[4:5]
	v_add_co_u32_e64 v120, s[4:5], v58, v32
	s_waitcnt vmcnt(0) lgkmcnt(1)
	v_mul_f32_e32 v10, v101, v9
	v_mul_f32_e32 v11, v101, v8
	;; [unrolled: 1-line block ×4, first 2 shown]
	v_fmac_f32_e32 v10, v100, v8
	v_fma_f32 v11, v100, v9, -v11
	v_fmac_f32_e32 v20, v102, v8
	v_fma_f32 v21, v102, v9, -v21
	ds_write2_b64 v137, v[10:11], v[20:21] offset1:67
	v_mul_f32_e32 v10, v105, v9
	v_mul_f32_e32 v20, v108, v9
	v_fmac_f32_e32 v10, v104, v8
	v_mul_f32_e32 v11, v105, v8
	v_fmac_f32_e32 v20, v106, v8
	v_mul_f32_e32 v8, v108, v8
	v_fma_f32 v11, v104, v9, -v11
	v_fma_f32 v21, v106, v9, -v8
	ds_write2_b64 v137, v[10:11], v[20:21] offset0:134 offset1:201
	ds_read2_b64 v[8:11], v129 offset0:33 offset1:34
	ds_read_b64 v[112:113], v129 offset:280
	s_waitcnt lgkmcnt(0)
	s_barrier
	ds_read2_b64 v[24:27], v127 offset1:1
	ds_read2_b64 v[20:23], v127 offset0:2 offset1:3
	v_addc_co_u32_e64 v121, s[4:5], 0, v57, s[4:5]
	s_waitcnt lgkmcnt(0)
	s_barrier
	s_cbranch_vccnz .LBB0_172
; %bb.165:                              ;   in Loop: Header=BB0_123 Depth=1
	s_mov_b32 s13, s12
	v_cmp_gt_i32_e32 vcc, s26, v146
	v_pk_mov_b32 v[114:115], s[12:13], s[12:13] op_sel:[0,1]
	s_and_saveexec_b64 s[4:5], vcc
	s_cbranch_execz .LBB0_167
; %bb.166:                              ;   in Loop: Header=BB0_123 Depth=1
	global_load_dwordx2 v[114:115], v[120:121], off
.LBB0_167:                              ;   in Loop: Header=BB0_123 Depth=1
	s_or_b64 exec, exec, s[4:5]
	v_cmp_gt_i32_e32 vcc, s26, v147
	v_pk_mov_b32 v[116:117], s[12:13], s[12:13] op_sel:[0,1]
	s_and_saveexec_b64 s[4:5], vcc
	s_cbranch_execz .LBB0_169
; %bb.168:                              ;   in Loop: Header=BB0_123 Depth=1
	v_add_co_u32_e32 v116, vcc, v60, v32
	v_addc_co_u32_e32 v117, vcc, 0, v59, vcc
	global_load_dwordx2 v[116:117], v[116:117], off
.LBB0_169:                              ;   in Loop: Header=BB0_123 Depth=1
	s_or_b64 exec, exec, s[4:5]
	s_mov_b32 s13, s12
	v_cmp_gt_i32_e32 vcc, s26, v148
	v_pk_mov_b32 v[118:119], s[12:13], s[12:13] op_sel:[0,1]
	s_and_saveexec_b64 s[4:5], vcc
	s_cbranch_execz .LBB0_171
; %bb.170:                              ;   in Loop: Header=BB0_123 Depth=1
	v_add_co_u32_e32 v118, vcc, v62, v32
	v_addc_co_u32_e32 v119, vcc, 0, v61, vcc
	global_load_dwordx2 v[118:119], v[118:119], off
.LBB0_171:                              ;   in Loop: Header=BB0_123 Depth=1
	s_or_b64 exec, exec, s[4:5]
	v_cmp_gt_i32_e64 s[4:5], s26, v149
	s_mov_b32 s13, 0
	s_branch .LBB0_174
.LBB0_172:                              ;   in Loop: Header=BB0_123 Depth=1
	s_mov_b64 s[4:5], 0
                                        ; implicit-def: $sgpr13
                                        ; implicit-def: $vgpr118_vgpr119
                                        ; implicit-def: $vgpr116_vgpr117
                                        ; implicit-def: $vgpr114_vgpr115
	s_cbranch_execz .LBB0_174
; %bb.173:                              ;   in Loop: Header=BB0_123 Depth=1
	s_waitcnt vmcnt(0)
	v_add_co_u32_e32 v116, vcc, v60, v32
	v_addc_co_u32_e32 v117, vcc, 0, v59, vcc
	v_add_co_u32_e32 v118, vcc, v62, v32
	v_addc_co_u32_e32 v119, vcc, 0, v61, vcc
	global_load_dwordx2 v[114:115], v[120:121], off
	s_or_b64 s[4:5], s[4:5], exec
	global_load_dwordx2 v[116:117], v[116:117], off
                                        ; implicit-def: $sgpr13
	s_nop 0
	global_load_dwordx2 v[118:119], v[118:119], off
.LBB0_174:                              ;   in Loop: Header=BB0_123 Depth=1
	v_mov_b32_e32 v120, s13
	v_mov_b32_e32 v122, s13
	s_and_saveexec_b64 s[8:9], s[4:5]
	s_cbranch_execz .LBB0_176
; %bb.175:                              ;   in Loop: Header=BB0_123 Depth=1
	v_add_co_u32_e32 v120, vcc, v64, v32
	v_addc_co_u32_e32 v121, vcc, 0, v63, vcc
	global_load_dwordx2 v[120:121], v[120:121], off
	s_waitcnt vmcnt(0)
	v_mov_b32_e32 v122, v121
.LBB0_176:                              ;   in Loop: Header=BB0_123 Depth=1
	s_or_b64 exec, exec, s[8:9]
	v_pk_add_f32 v[24:25], v[24:25], 0 op_sel_hi:[1,0]
	v_pk_add_f32 v[24:25], v[24:25], v[26:27]
	v_pk_add_f32 v[20:21], v[24:25], v[20:21]
	v_pk_add_f32 v[24:25], v[20:21], v[22:23]
	ds_read_b64 v[20:21], v133
	v_pk_add_f32 v[16:17], v[16:17], 0 op_sel_hi:[1,0]
	v_pk_add_f32 v[16:17], v[16:17], v[18:19]
	v_pk_add_f32 v[12:13], v[16:17], v[12:13]
	;; [unrolled: 1-line block ×3, first 2 shown]
	s_waitcnt vmcnt(0) lgkmcnt(0)
	v_mul_f32_e32 v12, v115, v21
	v_mul_f32_e32 v13, v115, v20
	;; [unrolled: 1-line block ×4, first 2 shown]
	v_fmac_f32_e32 v12, v114, v20
	v_fma_f32 v13, v114, v21, -v13
	v_fmac_f32_e32 v14, v116, v20
	v_fma_f32 v15, v116, v21, -v15
	ds_write2_b64 v137, v[12:13], v[14:15] offset1:67
	v_mul_f32_e32 v12, v119, v21
	v_mul_f32_e32 v13, v119, v20
	;; [unrolled: 1-line block ×4, first 2 shown]
	v_fmac_f32_e32 v12, v118, v20
	v_fma_f32 v13, v118, v21, -v13
	v_fmac_f32_e32 v14, v120, v20
	v_fma_f32 v15, v120, v21, -v15
	ds_write2_b64 v137, v[12:13], v[14:15] offset0:134 offset1:201
	ds_read_b128 v[16:19], v129 offset:384
	ds_read_b128 v[12:15], v129 offset:400
	s_waitcnt lgkmcnt(0)
	s_barrier
	ds_read2_b64 v[20:23], v127 offset1:1
	v_pk_add_f32 v[4:5], v[4:5], 0 op_sel_hi:[1,0]
	v_pk_add_f32 v[150:151], v[4:5], v[6:7]
	ds_read2_b64 v[4:7], v127 offset0:2 offset1:3
	v_pk_add_f32 v[0:1], v[150:151], v[0:1]
	v_pk_add_f32 v[0:1], v[0:1], v[2:3]
	s_waitcnt lgkmcnt(1)
	v_pk_add_f32 v[2:3], v[20:21], 0 op_sel_hi:[1,0]
	v_cmp_gt_i32_e32 vcc, s26, v65
	v_pk_add_f32 v[2:3], v[2:3], v[22:23]
	s_or_b64 s[4:5], s[14:15], vcc
	s_waitcnt lgkmcnt(0)
	v_pk_add_f32 v[2:3], v[2:3], v[4:5]
	s_and_b64 s[8:9], s[2:3], s[4:5]
	v_pk_add_f32 v[2:3], v[2:3], v[6:7]
	s_barrier
	ds_write2_b64 v130, v[0:1], v[26:27] offset1:16
	ds_write2_b64 v130, v[24:25], v[2:3] offset0:32 offset1:48
	s_waitcnt lgkmcnt(0)
	s_barrier
	s_and_saveexec_b64 s[4:5], s[8:9]
	s_cbranch_execz .LBB0_122
; %bb.177:                              ;   in Loop: Header=BB0_123 Depth=1
	ds_read_b64 v[20:21], v125
	ds_read2_b64 v[0:3], v125 offset0:1 offset1:2
	ds_read2_b64 v[4:7], v125 offset0:3 offset1:4
	v_mov_b32_e32 v25, s21
	s_waitcnt lgkmcnt(1)
	v_add_f32_e32 v0, v0, v20
	v_add_f32_e32 v1, v1, v21
	;; [unrolled: 1-line block ×4, first 2 shown]
	ds_read2_b64 v[0:3], v125 offset0:5 offset1:6
	s_waitcnt lgkmcnt(1)
	v_add_f32_e32 v4, v20, v4
	v_add_f32_e32 v5, v21, v5
	;; [unrolled: 1-line block ×3, first 2 shown]
	v_add_u32_e32 v4, s22, v128
	v_add_f32_e32 v21, v5, v7
	v_ashrrev_i32_e32 v5, 31, v4
	v_lshlrev_b64 v[22:23], 3, v[4:5]
	ds_read2_b64 v[4:7], v125 offset0:7 offset1:8
	v_add_co_u32_e32 v24, vcc, s7, v22
	v_addc_co_u32_e32 v25, vcc, v25, v23, vcc
	s_waitcnt lgkmcnt(1)
	v_pk_add_f32 v[0:1], v[20:21], v[0:1]
	ds_read2_b64 v[20:23], v125 offset0:9 offset1:10
	v_pk_add_f32 v[0:1], v[0:1], v[2:3]
	s_waitcnt lgkmcnt(1)
	v_pk_add_f32 v[0:1], v[0:1], v[4:5]
	v_pk_add_f32 v[4:5], v[0:1], v[6:7]
	ds_read2_b64 v[0:3], v125 offset0:11 offset1:12
	s_waitcnt lgkmcnt(1)
	v_pk_add_f32 v[20:21], v[4:5], v[20:21]
	ds_read2_b64 v[4:7], v125 offset0:13 offset1:14
	v_pk_add_f32 v[20:21], v[20:21], v[22:23]
	ds_read_b64 v[22:23], v126
	s_waitcnt lgkmcnt(2)
	v_pk_add_f32 v[0:1], v[20:21], v[0:1]
	v_pk_add_f32 v[0:1], v[0:1], v[2:3]
	s_waitcnt lgkmcnt(1)
	v_pk_add_f32 v[0:1], v[0:1], v[4:5]
	v_pk_add_f32 v[0:1], v[0:1], v[6:7]
	s_waitcnt lgkmcnt(0)
	v_pk_add_f32 v[0:1], v[0:1], v[22:23]
	global_store_dwordx2 v[24:25], v[0:1], off
	s_branch .LBB0_122
.LBB0_178:
	s_movk_i32 s2, 0x218
	v_cmp_gt_i32_e32 vcc, s20, v65
	v_mad_u32_u24 v0, v109, s2, v32
	s_or_b64 s[2:3], s[18:19], vcc
	s_and_b64 s[0:1], s[0:1], s[2:3]
	ds_write_b64 v0, v[30:31]
	s_waitcnt lgkmcnt(0)
	s_barrier
	s_and_saveexec_b64 s[2:3], s[0:1]
	s_cbranch_execz .LBB0_180
; %bb.179:
	ds_read2_b64 v[0:3], v32 offset1:67
	ds_read2_b64 v[4:7], v32 offset0:134 offset1:201
	v_lshlrev_b64 v[8:9], 3, v[28:29]
	v_mov_b32_e32 v10, s21
	v_add_co_u32_e32 v8, vcc, s7, v8
	s_waitcnt lgkmcnt(1)
	v_pk_add_f32 v[0:1], v[2:3], v[0:1]
	s_waitcnt lgkmcnt(0)
	v_pk_add_f32 v[0:1], v[0:1], v[4:5]
	v_addc_co_u32_e32 v9, vcc, v10, v9, vcc
	v_pk_add_f32 v[0:1], v[0:1], v[6:7]
	global_store_dwordx2 v[8:9], v[0:1], off
.LBB0_180:
	s_endpgm
	.section	.rodata,"a",@progbits
	.p2align	6, 0x0
	.amdhsa_kernel _ZL26rocblas_hemvn_kernel_upperILb1ELi64ELi4ELi33ELi32ELi16ElPK19rocblas_complex_numIfES3_PS1_EviT6_lT7_lT5_lS6_lS7_lS5_lT8_i
		.amdhsa_group_segment_fixed_size 9600
		.amdhsa_private_segment_fixed_size 0
		.amdhsa_kernarg_size 376
		.amdhsa_user_sgpr_count 6
		.amdhsa_user_sgpr_private_segment_buffer 1
		.amdhsa_user_sgpr_dispatch_ptr 0
		.amdhsa_user_sgpr_queue_ptr 0
		.amdhsa_user_sgpr_kernarg_segment_ptr 1
		.amdhsa_user_sgpr_dispatch_id 0
		.amdhsa_user_sgpr_flat_scratch_init 0
		.amdhsa_user_sgpr_kernarg_preload_length 0
		.amdhsa_user_sgpr_kernarg_preload_offset 0
		.amdhsa_user_sgpr_private_segment_size 0
		.amdhsa_uses_dynamic_stack 0
		.amdhsa_system_sgpr_private_segment_wavefront_offset 0
		.amdhsa_system_sgpr_workgroup_id_x 1
		.amdhsa_system_sgpr_workgroup_id_y 0
		.amdhsa_system_sgpr_workgroup_id_z 1
		.amdhsa_system_sgpr_workgroup_info 0
		.amdhsa_system_vgpr_workitem_id 1
		.amdhsa_next_free_vgpr 152
		.amdhsa_next_free_sgpr 42
		.amdhsa_accum_offset 152
		.amdhsa_reserve_vcc 1
		.amdhsa_reserve_flat_scratch 0
		.amdhsa_float_round_mode_32 0
		.amdhsa_float_round_mode_16_64 0
		.amdhsa_float_denorm_mode_32 3
		.amdhsa_float_denorm_mode_16_64 3
		.amdhsa_dx10_clamp 1
		.amdhsa_ieee_mode 1
		.amdhsa_fp16_overflow 0
		.amdhsa_tg_split 0
		.amdhsa_exception_fp_ieee_invalid_op 0
		.amdhsa_exception_fp_denorm_src 0
		.amdhsa_exception_fp_ieee_div_zero 0
		.amdhsa_exception_fp_ieee_overflow 0
		.amdhsa_exception_fp_ieee_underflow 0
		.amdhsa_exception_fp_ieee_inexact 0
		.amdhsa_exception_int_div_zero 0
	.end_amdhsa_kernel
	.section	.text._ZL26rocblas_hemvn_kernel_upperILb1ELi64ELi4ELi33ELi32ELi16ElPK19rocblas_complex_numIfES3_PS1_EviT6_lT7_lT5_lS6_lS7_lS5_lT8_i,"axG",@progbits,_ZL26rocblas_hemvn_kernel_upperILb1ELi64ELi4ELi33ELi32ELi16ElPK19rocblas_complex_numIfES3_PS1_EviT6_lT7_lT5_lS6_lS7_lS5_lT8_i,comdat
.Lfunc_end0:
	.size	_ZL26rocblas_hemvn_kernel_upperILb1ELi64ELi4ELi33ELi32ELi16ElPK19rocblas_complex_numIfES3_PS1_EviT6_lT7_lT5_lS6_lS7_lS5_lT8_i, .Lfunc_end0-_ZL26rocblas_hemvn_kernel_upperILb1ELi64ELi4ELi33ELi32ELi16ElPK19rocblas_complex_numIfES3_PS1_EviT6_lT7_lT5_lS6_lS7_lS5_lT8_i
                                        ; -- End function
	.section	.AMDGPU.csdata,"",@progbits
; Kernel info:
; codeLenInByte = 9208
; NumSgprs: 46
; NumVgprs: 152
; NumAgprs: 0
; TotalNumVgprs: 152
; ScratchSize: 0
; MemoryBound: 1
; FloatMode: 240
; IeeeMode: 1
; LDSByteSize: 9600 bytes/workgroup (compile time only)
; SGPRBlocks: 5
; VGPRBlocks: 18
; NumSGPRsForWavesPerEU: 46
; NumVGPRsForWavesPerEU: 152
; AccumOffset: 152
; Occupancy: 3
; WaveLimiterHint : 0
; COMPUTE_PGM_RSRC2:SCRATCH_EN: 0
; COMPUTE_PGM_RSRC2:USER_SGPR: 6
; COMPUTE_PGM_RSRC2:TRAP_HANDLER: 0
; COMPUTE_PGM_RSRC2:TGID_X_EN: 1
; COMPUTE_PGM_RSRC2:TGID_Y_EN: 0
; COMPUTE_PGM_RSRC2:TGID_Z_EN: 1
; COMPUTE_PGM_RSRC2:TIDIG_COMP_CNT: 1
; COMPUTE_PGM_RSRC3_GFX90A:ACCUM_OFFSET: 37
; COMPUTE_PGM_RSRC3_GFX90A:TG_SPLIT: 0
	.section	.text._ZL36rocblas_hemvn_kernel_upper_block_sumILi64ElPK19rocblas_complex_numIfEPS1_S1_EviT1_lS5_lT2_lT0_lPT3_i,"axG",@progbits,_ZL36rocblas_hemvn_kernel_upper_block_sumILi64ElPK19rocblas_complex_numIfEPS1_S1_EviT1_lS5_lT2_lT0_lPT3_i,comdat
	.globl	_ZL36rocblas_hemvn_kernel_upper_block_sumILi64ElPK19rocblas_complex_numIfEPS1_S1_EviT1_lS5_lT2_lT0_lPT3_i ; -- Begin function _ZL36rocblas_hemvn_kernel_upper_block_sumILi64ElPK19rocblas_complex_numIfEPS1_S1_EviT1_lS5_lT2_lT0_lPT3_i
	.p2align	8
	.type	_ZL36rocblas_hemvn_kernel_upper_block_sumILi64ElPK19rocblas_complex_numIfEPS1_S1_EviT1_lS5_lT2_lT0_lPT3_i,@function
_ZL36rocblas_hemvn_kernel_upper_block_sumILi64ElPK19rocblas_complex_numIfEPS1_S1_EviT1_lS5_lT2_lT0_lPT3_i: ; @_ZL36rocblas_hemvn_kernel_upper_block_sumILi64ElPK19rocblas_complex_numIfEPS1_S1_EviT1_lS5_lT2_lT0_lPT3_i
; %bb.0:
	s_load_dwordx8 s[8:15], s[4:5], 0x8
	s_waitcnt lgkmcnt(0)
	s_mul_i32 s0, s7, s11
	s_mul_hi_u32 s1, s7, s10
	s_add_i32 s1, s1, s0
	s_mul_i32 s0, s7, s10
	s_lshl_b64 s[0:1], s[0:1], 3
	s_add_u32 s0, s8, s0
	s_mul_i32 s2, s7, s15
	s_mul_hi_u32 s3, s7, s14
	s_addc_u32 s1, s9, s1
	s_add_i32 s9, s3, s2
	s_mul_i32 s8, s7, s14
	s_load_dwordx2 s[2:3], s[0:1], 0x0
	s_lshl_b64 s[0:1], s[8:9], 3
	s_add_u32 s0, s12, s0
	s_addc_u32 s1, s13, s1
	s_load_dwordx2 s[16:17], s[0:1], 0x0
	s_waitcnt lgkmcnt(0)
	s_or_b32 s0, s2, s3
	s_bitset0_b32 s0, 31
	s_cmp_eq_u32 s0, 0
	s_cselect_b64 s[0:1], -1, 0
	v_cmp_eq_f32_e64 s[8:9], s16, 1.0
	v_cmp_eq_f32_e64 s[10:11], s17, 0
	s_and_b64 s[8:9], s[8:9], s[10:11]
	s_and_b64 s[8:9], s[0:1], s[8:9]
	s_and_b64 vcc, exec, s[8:9]
	s_cbranch_vccnz .LBB1_17
; %bb.1:
	s_load_dwordx8 s[8:15], s[4:5], 0x30
	s_load_dwordx2 s[20:21], s[4:5], 0x28
	s_load_dword s18, s[4:5], 0x0
	v_lshl_or_b32 v0, s6, 6, v0
	s_waitcnt lgkmcnt(0)
	s_mul_i32 s13, s7, s13
	s_mul_hi_u32 s19, s7, s12
	s_mul_i32 s12, s7, s12
	s_add_i32 s13, s19, s13
	s_lshl_b64 s[12:13], s[12:13], 3
	s_add_u32 s12, s20, s12
	s_addc_u32 s13, s21, s13
	s_lshl_b64 s[8:9], s[8:9], 3
	s_add_u32 s12, s12, s8
	s_addc_u32 s13, s13, s9
	s_mov_b64 s[8:9], -1
	s_andn2_b64 vcc, exec, s[0:1]
	v_cmp_gt_i32_e64 s[0:1], s18, v0
	s_cbranch_vccnz .LBB1_7
; %bb.2:
	s_and_saveexec_b64 s[8:9], s[0:1]
	s_cbranch_execz .LBB1_6
; %bb.3:
	v_ashrrev_i32_e32 v1, 31, v0
	v_cmp_neq_f32_e64 s[0:1], s16, 0
	v_cmp_neq_f32_e64 s[20:21], s17, 0
	v_mul_lo_u32 v4, v0, s11
	v_mul_lo_u32 v1, v1, s10
	v_mad_u64_u32 v[2:3], s[22:23], v0, s10, 0
	v_add3_u32 v3, v3, v4, v1
	s_or_b64 s[0:1], s[0:1], s[20:21]
	s_andn2_b64 vcc, exec, s[0:1]
	v_mov_b32_e32 v4, 0
	v_lshlrev_b64 v[2:3], 3, v[2:3]
	v_mov_b32_e32 v5, 0
	s_cbranch_vccnz .LBB1_5
; %bb.4:
	v_mov_b32_e32 v1, s13
	v_add_co_u32_e32 v4, vcc, s12, v2
	v_addc_co_u32_e32 v5, vcc, v1, v3, vcc
	global_load_dwordx2 v[6:7], v[4:5], off
	s_waitcnt vmcnt(0)
	v_pk_mul_f32 v[8:9], v[6:7], s[16:17] op_sel:[1,0]
	v_pk_fma_f32 v[4:5], v[6:7], s[16:17], v[8:9] op_sel:[0,0,1] op_sel_hi:[1,1,0] neg_lo:[0,0,1] neg_hi:[0,0,1]
	v_pk_fma_f32 v[6:7], v[6:7], s[16:17], v[8:9] op_sel:[0,0,1] op_sel_hi:[0,1,0]
	v_mov_b32_e32 v5, v7
.LBB1_5:
	v_mov_b32_e32 v1, s13
	v_add_co_u32_e32 v2, vcc, s12, v2
	v_addc_co_u32_e32 v3, vcc, v1, v3, vcc
	global_store_dwordx2 v[2:3], v[4:5], off
.LBB1_6:
	s_or_b64 exec, exec, s[8:9]
	s_mov_b64 s[8:9], 0
.LBB1_7:
	s_andn2_b64 vcc, exec, s[8:9]
	s_cbranch_vccnz .LBB1_17
; %bb.8:
	v_cmp_gt_i32_e32 vcc, s18, v0
	s_and_saveexec_b64 s[0:1], vcc
	s_cbranch_execz .LBB1_17
; %bb.9:
	v_mov_b32_e32 v3, 0
	v_ashrrev_i32_e32 v1, 31, v0
	s_cmp_lt_i32 s6, 0
	v_mov_b32_e32 v2, v3
	s_cbranch_scc1 .LBB1_12
; %bb.10:
	s_load_dword s0, s[4:5], 0x58
	s_ashr_i32 s19, s18, 31
	s_mul_hi_u32 s1, s18, s7
	s_mul_i32 s4, s19, s7
	s_add_i32 s1, s1, s4
	s_mul_i32 s4, s18, s7
	s_waitcnt lgkmcnt(0)
	s_mul_i32 s1, s1, s0
	s_mul_hi_u32 s5, s4, s0
	s_add_i32 s1, s5, s1
	s_mul_i32 s0, s4, s0
	s_lshl_b64 s[0:1], s[0:1], 3
	s_add_u32 s0, s14, s0
	s_addc_u32 s1, s15, s1
	v_lshlrev_b64 v[2:3], 3, v[0:1]
	v_mov_b32_e32 v5, s1
	v_add_co_u32_e32 v4, vcc, s0, v2
	s_lshl_b64 s[0:1], s[18:19], 3
	v_mov_b32_e32 v2, 0
	v_addc_co_u32_e32 v5, vcc, v5, v3, vcc
	s_add_i32 s4, s6, 1
	v_mov_b32_e32 v6, s1
	v_mov_b32_e32 v3, v2
.LBB1_11:                               ; =>This Inner Loop Header: Depth=1
	global_load_dwordx2 v[8:9], v[4:5], off
	s_add_i32 s4, s4, -1
	v_add_co_u32_e32 v4, vcc, s0, v4
	v_addc_co_u32_e32 v5, vcc, v5, v6, vcc
	s_cmp_eq_u32 s4, 0
	s_waitcnt vmcnt(0)
	v_pk_add_f32 v[2:3], v[2:3], v[8:9]
	s_cbranch_scc0 .LBB1_11
.LBB1_12:
	v_cmp_neq_f32_e64 s[0:1], s16, 0
	v_cmp_neq_f32_e64 s[4:5], s17, 0
	s_or_b64 s[0:1], s[0:1], s[4:5]
	v_pk_mul_f32 v[8:9], v[2:3], s[2:3] op_sel:[1,0]
	s_andn2_b64 vcc, exec, s[0:1]
	v_pk_fma_f32 v[4:5], v[2:3], s[2:3], v[8:9] op_sel:[0,0,1] op_sel_hi:[0,1,0]
	v_mul_lo_u32 v1, v1, s10
	v_mul_lo_u32 v10, v0, s11
	s_cbranch_vccz .LBB1_14
; %bb.13:
	v_pk_mul_f32 v[12:13], v[2:3], s[2:3] op_sel_hi:[0,1]
	v_mad_u64_u32 v[6:7], s[0:1], v0, s10, 0
	v_add3_u32 v7, v7, v10, v1
	v_sub_f32_e32 v4, v12, v9
	s_cbranch_execz .LBB1_15
	s_branch .LBB1_16
.LBB1_14:
                                        ; implicit-def: $vgpr6_vgpr7
.LBB1_15:
	v_mad_u64_u32 v[6:7], s[0:1], v0, s10, 0
	v_add3_u32 v7, v7, v10, v1
	v_lshlrev_b64 v[0:1], 3, v[6:7]
	v_mov_b32_e32 v4, s13
	v_add_co_u32_e32 v0, vcc, s12, v0
	v_addc_co_u32_e32 v1, vcc, v4, v1, vcc
	global_load_dwordx2 v[0:1], v[0:1], off
	v_pk_fma_f32 v[2:3], v[2:3], s[2:3], v[8:9] op_sel:[0,0,1] op_sel_hi:[1,1,0] neg_lo:[0,0,1] neg_hi:[0,0,1]
	v_mov_b32_e32 v3, v5
	s_waitcnt vmcnt(0)
	v_pk_mul_f32 v[8:9], v[0:1], s[16:17] op_sel:[1,0]
	v_pk_fma_f32 v[10:11], v[0:1], s[16:17], v[8:9] op_sel:[0,0,1] op_sel_hi:[1,1,0] neg_lo:[0,0,1] neg_hi:[0,0,1]
	v_pk_fma_f32 v[0:1], v[0:1], s[16:17], v[8:9] op_sel:[0,0,1] op_sel_hi:[0,1,0]
	v_mov_b32_e32 v11, v1
	v_pk_add_f32 v[4:5], v[2:3], v[10:11]
.LBB1_16:
	v_lshlrev_b64 v[0:1], 3, v[6:7]
	v_mov_b32_e32 v2, s13
	v_add_co_u32_e32 v0, vcc, s12, v0
	v_addc_co_u32_e32 v1, vcc, v2, v1, vcc
	global_store_dwordx2 v[0:1], v[4:5], off
.LBB1_17:
	s_endpgm
	.section	.rodata,"a",@progbits
	.p2align	6, 0x0
	.amdhsa_kernel _ZL36rocblas_hemvn_kernel_upper_block_sumILi64ElPK19rocblas_complex_numIfEPS1_S1_EviT1_lS5_lT2_lT0_lPT3_i
		.amdhsa_group_segment_fixed_size 0
		.amdhsa_private_segment_fixed_size 0
		.amdhsa_kernarg_size 344
		.amdhsa_user_sgpr_count 6
		.amdhsa_user_sgpr_private_segment_buffer 1
		.amdhsa_user_sgpr_dispatch_ptr 0
		.amdhsa_user_sgpr_queue_ptr 0
		.amdhsa_user_sgpr_kernarg_segment_ptr 1
		.amdhsa_user_sgpr_dispatch_id 0
		.amdhsa_user_sgpr_flat_scratch_init 0
		.amdhsa_user_sgpr_kernarg_preload_length 0
		.amdhsa_user_sgpr_kernarg_preload_offset 0
		.amdhsa_user_sgpr_private_segment_size 0
		.amdhsa_uses_dynamic_stack 0
		.amdhsa_system_sgpr_private_segment_wavefront_offset 0
		.amdhsa_system_sgpr_workgroup_id_x 1
		.amdhsa_system_sgpr_workgroup_id_y 0
		.amdhsa_system_sgpr_workgroup_id_z 1
		.amdhsa_system_sgpr_workgroup_info 0
		.amdhsa_system_vgpr_workitem_id 0
		.amdhsa_next_free_vgpr 14
		.amdhsa_next_free_sgpr 24
		.amdhsa_accum_offset 16
		.amdhsa_reserve_vcc 1
		.amdhsa_reserve_flat_scratch 0
		.amdhsa_float_round_mode_32 0
		.amdhsa_float_round_mode_16_64 0
		.amdhsa_float_denorm_mode_32 3
		.amdhsa_float_denorm_mode_16_64 3
		.amdhsa_dx10_clamp 1
		.amdhsa_ieee_mode 1
		.amdhsa_fp16_overflow 0
		.amdhsa_tg_split 0
		.amdhsa_exception_fp_ieee_invalid_op 0
		.amdhsa_exception_fp_denorm_src 0
		.amdhsa_exception_fp_ieee_div_zero 0
		.amdhsa_exception_fp_ieee_overflow 0
		.amdhsa_exception_fp_ieee_underflow 0
		.amdhsa_exception_fp_ieee_inexact 0
		.amdhsa_exception_int_div_zero 0
	.end_amdhsa_kernel
	.section	.text._ZL36rocblas_hemvn_kernel_upper_block_sumILi64ElPK19rocblas_complex_numIfEPS1_S1_EviT1_lS5_lT2_lT0_lPT3_i,"axG",@progbits,_ZL36rocblas_hemvn_kernel_upper_block_sumILi64ElPK19rocblas_complex_numIfEPS1_S1_EviT1_lS5_lT2_lT0_lPT3_i,comdat
.Lfunc_end1:
	.size	_ZL36rocblas_hemvn_kernel_upper_block_sumILi64ElPK19rocblas_complex_numIfEPS1_S1_EviT1_lS5_lT2_lT0_lPT3_i, .Lfunc_end1-_ZL36rocblas_hemvn_kernel_upper_block_sumILi64ElPK19rocblas_complex_numIfEPS1_S1_EviT1_lS5_lT2_lT0_lPT3_i
                                        ; -- End function
	.section	.AMDGPU.csdata,"",@progbits
; Kernel info:
; codeLenInByte = 804
; NumSgprs: 28
; NumVgprs: 14
; NumAgprs: 0
; TotalNumVgprs: 14
; ScratchSize: 0
; MemoryBound: 0
; FloatMode: 240
; IeeeMode: 1
; LDSByteSize: 0 bytes/workgroup (compile time only)
; SGPRBlocks: 3
; VGPRBlocks: 1
; NumSGPRsForWavesPerEU: 28
; NumVGPRsForWavesPerEU: 14
; AccumOffset: 16
; Occupancy: 8
; WaveLimiterHint : 0
; COMPUTE_PGM_RSRC2:SCRATCH_EN: 0
; COMPUTE_PGM_RSRC2:USER_SGPR: 6
; COMPUTE_PGM_RSRC2:TRAP_HANDLER: 0
; COMPUTE_PGM_RSRC2:TGID_X_EN: 1
; COMPUTE_PGM_RSRC2:TGID_Y_EN: 0
; COMPUTE_PGM_RSRC2:TGID_Z_EN: 1
; COMPUTE_PGM_RSRC2:TIDIG_COMP_CNT: 0
; COMPUTE_PGM_RSRC3_GFX90A:ACCUM_OFFSET: 3
; COMPUTE_PGM_RSRC3_GFX90A:TG_SPLIT: 0
	.section	.text._ZL26rocblas_hemvn_kernel_upperILb1ELi64ELi4ELi33ELi32ELi16EiPK19rocblas_complex_numIfES3_PS1_EviT6_lT7_lT5_lS6_lS7_lS5_lT8_i,"axG",@progbits,_ZL26rocblas_hemvn_kernel_upperILb1ELi64ELi4ELi33ELi32ELi16EiPK19rocblas_complex_numIfES3_PS1_EviT6_lT7_lT5_lS6_lS7_lS5_lT8_i,comdat
	.globl	_ZL26rocblas_hemvn_kernel_upperILb1ELi64ELi4ELi33ELi32ELi16EiPK19rocblas_complex_numIfES3_PS1_EviT6_lT7_lT5_lS6_lS7_lS5_lT8_i ; -- Begin function _ZL26rocblas_hemvn_kernel_upperILb1ELi64ELi4ELi33ELi32ELi16EiPK19rocblas_complex_numIfES3_PS1_EviT6_lT7_lT5_lS6_lS7_lS5_lT8_i
	.p2align	8
	.type	_ZL26rocblas_hemvn_kernel_upperILb1ELi64ELi4ELi33ELi32ELi16EiPK19rocblas_complex_numIfES3_PS1_EviT6_lT7_lT5_lS6_lS7_lS5_lT8_i,@function
_ZL26rocblas_hemvn_kernel_upperILb1ELi64ELi4ELi33ELi32ELi16EiPK19rocblas_complex_numIfES3_PS1_EviT6_lT7_lT5_lS6_lS7_lS5_lT8_i: ; @_ZL26rocblas_hemvn_kernel_upperILb1ELi64ELi4ELi33ELi32ELi16EiPK19rocblas_complex_numIfES3_PS1_EviT6_lT7_lT5_lS6_lS7_lS5_lT8_i
; %bb.0:
	s_load_dwordx2 s[2:3], s[4:5], 0x84
	s_add_u32 s0, s4, 0x78
	s_addc_u32 s1, s5, 0
	s_waitcnt lgkmcnt(0)
	s_lshr_b32 s8, s2, 16
	s_and_b32 s2, s2, 0xffff
	s_and_b32 s3, s3, 0xffff
	s_mul_i32 s2, s8, s2
	s_mul_i32 s2, s2, s3
	s_cmpk_lg_i32 s2, 0x100
	s_cbranch_scc1 .LBB2_180
; %bb.1:
	s_load_dwordx8 s[16:23], s[4:5], 0x8
	s_waitcnt lgkmcnt(0)
	s_mul_i32 s3, s7, s19
	s_mul_hi_u32 s8, s7, s18
	s_mul_i32 s2, s7, s18
	s_add_i32 s3, s8, s3
	s_lshl_b64 s[2:3], s[2:3], 3
	s_add_u32 s2, s16, s2
	s_addc_u32 s3, s17, s3
	s_load_dwordx2 s[8:9], s[2:3], 0x0
	s_load_dwordx8 s[12:19], s[4:5], 0x50
	s_waitcnt lgkmcnt(0)
	s_or_b32 s2, s8, s9
	s_bitset0_b32 s2, 31
	s_cmp_lg_u32 s2, 0
	s_cselect_b64 s[2:3], -1, 0
	s_mov_b64 s[8:9], -1
	s_and_b64 vcc, exec, s[2:3]
	s_cbranch_vccnz .LBB2_3
; %bb.2:
	s_mul_i32 s8, s7, s17
	s_mul_hi_u32 s9, s7, s16
	s_add_i32 s9, s9, s8
	s_mul_i32 s8, s7, s16
	s_lshl_b64 s[8:9], s[8:9], 3
	s_add_u32 s8, s14, s8
	s_addc_u32 s9, s15, s9
	s_load_dwordx2 s[8:9], s[8:9], 0x0
	s_waitcnt lgkmcnt(0)
	v_cmp_neq_f32_e64 s[10:11], s8, 1.0
	v_cmp_neq_f32_e64 s[8:9], s9, 0
	s_or_b64 s[8:9], s[10:11], s[8:9]
.LBB2_3:
	s_andn2_b64 vcc, exec, s[8:9]
	s_cbranch_vccnz .LBB2_180
; %bb.4:
	s_andn2_b64 vcc, exec, s[2:3]
	s_cbranch_vccnz .LBB2_180
; %bb.5:
	s_load_dword s33, s[0:1], 0x0
	s_load_dword s40, s[4:5], 0x0
	s_load_dwordx4 s[8:11], s[4:5], 0x30
	s_load_dwordx2 s[2:3], s[4:5], 0x40
	s_load_dword s39, s[4:5], 0x48
	s_mul_i32 s0, s7, s13
	s_mul_hi_u32 s1, s7, s12
	s_add_i32 s1, s1, s0
	s_mul_i32 s0, s7, s12
	s_lshl_b64 s[0:1], s[0:1], 3
	s_waitcnt lgkmcnt(0)
	s_add_u32 s10, s10, s0
	s_addc_u32 s11, s11, s1
	s_lshl_b64 s[0:1], s[2:3], 3
	s_add_u32 s0, s10, s0
	s_addc_u32 s1, s11, s1
	v_and_b32_e32 v30, 0x3ff, v0
	s_lshl_b32 s24, s6, 6
	s_ashr_i32 s41, s40, 31
	s_lshr_b32 s3, s41, 26
	v_add_u32_e32 v28, s24, v30
	v_bfe_u32 v71, v0, 10, 10
	s_add_i32 s3, s40, s3
	v_mul_lo_u32 v0, v28, s39
	s_andn2_b32 s3, s3, 63
	v_ashrrev_i32_e32 v1, 31, v0
	s_add_i32 s2, s33, -1
	s_sub_i32 s38, s40, s3
	v_lshlrev_b64 v[0:1], 3, v[0:1]
	s_cmp_eq_u32 s6, s2
	v_mov_b32_e32 v2, s1
	v_add_co_u32_e32 v12, vcc, s0, v0
	s_cselect_b32 s16, s38, 0
	v_addc_co_u32_e32 v13, vcc, v2, v1, vcc
	v_cmp_eq_u32_e64 s[0:1], 0, v71
	s_and_saveexec_b64 s[2:3], s[0:1]
	s_cbranch_execz .LBB2_10
; %bb.6:
	s_cmp_lg_u32 s16, 0
	s_cselect_b64 s[10:11], -1, 0
	v_cmp_le_i32_e32 vcc, s16, v30
	v_mov_b32_e32 v0, 0x2380
	s_and_b64 s[10:11], s[10:11], vcc
	v_lshl_add_u32 v0, v30, 3, v0
	s_and_saveexec_b64 s[12:13], s[10:11]
	s_xor_b64 s[10:11], exec, s[12:13]
	s_cbranch_execz .LBB2_8
; %bb.7:
	v_mov_b32_e32 v2, 0
	v_mov_b32_e32 v3, v2
	ds_write_b64 v0, v[2:3]
                                        ; implicit-def: $vgpr0
.LBB2_8:
	s_andn2_saveexec_b64 s[10:11], s[10:11]
	s_cbranch_execz .LBB2_10
; %bb.9:
	global_load_dwordx2 v[2:3], v[12:13], off
	s_waitcnt vmcnt(0)
	ds_write_b64 v0, v[2:3]
.LBB2_10:
	s_or_b64 exec, exec, s[2:3]
	s_mul_i32 s2, s7, s9
	s_mul_hi_u32 s3, s7, s8
	s_add_i32 s3, s3, s2
	s_mul_i32 s2, s7, s8
	s_lshl_b64 s[2:3], s[2:3], 3
	s_add_u32 s8, s20, s2
	s_addc_u32 s9, s21, s3
	s_lshl_b64 s[2:3], s[22:23], 3
	s_load_dword s22, s[4:5], 0x28
	s_add_u32 s8, s8, s2
	s_addc_u32 s9, s9, s3
	s_ashr_i32 s25, s24, 31
	v_lshl_add_u32 v22, v71, 6, v30
	s_lshl_b64 s[2:3], s[24:25], 3
	v_and_b32_e32 v0, 31, v30
	v_lshrrev_b32_e32 v1, 5, v22
	s_add_u32 s4, s8, s2
	s_addc_u32 s5, s9, s3
	s_waitcnt lgkmcnt(0)
	v_mad_u64_u32 v[2:3], s[2:3], v1, s22, v[0:1]
	s_mul_i32 s2, s24, s22
	s_ashr_i32 s3, s2, 31
	s_lshl_b64 s[2:3], s[2:3], 3
	s_add_u32 s2, s2, s4
	v_ashrrev_i32_e32 v3, 31, v2
	s_addc_u32 s3, s3, s5
	v_lshlrev_b64 v[14:15], 3, v[2:3]
	s_cmp_eq_u32 s16, 0
	v_mov_b32_e32 v2, s3
	v_add_co_u32_e32 v4, vcc, s2, v14
	s_cselect_b64 s[20:21], -1, 0
	s_cmp_lg_u32 s16, 0
	v_addc_co_u32_e32 v5, vcc, v2, v15, vcc
	s_cselect_b64 s[30:31], -1, 0
	s_and_b64 vcc, exec, s[30:31]
	v_cmp_gt_i32_e64 s[2:3], s16, v0
	v_lshlrev_b32_e32 v10, 3, v0
	s_cbranch_vccz .LBB2_26
; %bb.11:
	v_sub_co_u32_e32 v2, vcc, v4, v10
	s_ashr_i32 s17, s16, 31
	v_subbrev_co_u32_e32 v3, vcc, 0, v5, vcc
	s_lshl_b64 s[4:5], s[16:17], 3
	v_mov_b32_e32 v6, s5
	v_add_co_u32_e32 v2, vcc, s4, v2
	v_addc_co_u32_e32 v3, vcc, v3, v6, vcc
	v_add_co_u32_e32 v2, vcc, -8, v2
	v_addc_co_u32_e32 v3, vcc, -1, v3, vcc
	v_mov_b32_e32 v6, 0
	v_cndmask_b32_e64 v3, v3, v5, s[2:3]
	v_cndmask_b32_e64 v2, v2, v4, s[2:3]
	v_cmp_gt_i32_e32 vcc, s16, v1
	v_mov_b32_e32 v7, v6
	s_and_saveexec_b64 s[8:9], vcc
	s_cbranch_execz .LBB2_13
; %bb.12:
	global_load_dwordx2 v[6:7], v[2:3], off
.LBB2_13:
	s_or_b64 exec, exec, s[8:9]
	v_mul_u32_u24_e32 v8, 33, v1
	v_add_lshl_u32 v8, v8, v0, 3
	s_waitcnt vmcnt(0)
	ds_write_b64 v8, v[6:7]
	v_add_u32_e32 v6, 8, v1
	v_cmp_le_i32_e32 vcc, s16, v6
	s_and_saveexec_b64 s[8:9], vcc
	s_xor_b64 s[8:9], exec, s[8:9]
	s_cbranch_execz .LBB2_15
; %bb.14:
	v_mul_u32_u24_e32 v6, 33, v6
	v_add_lshl_u32 v9, v6, v0, 3
	v_mov_b32_e32 v6, 0
	v_mov_b32_e32 v7, v6
	ds_write_b64 v9, v[6:7]
.LBB2_15:
	s_andn2_saveexec_b64 s[8:9], s[8:9]
	s_cbranch_execz .LBB2_17
; %bb.16:
	s_lshl_b32 s10, s22, 3
	s_ashr_i32 s11, s10, 31
	s_lshl_b64 s[10:11], s[10:11], 3
	v_mov_b32_e32 v7, s11
	v_add_co_u32_e32 v6, vcc, s10, v2
	v_addc_co_u32_e32 v7, vcc, v3, v7, vcc
	global_load_dwordx2 v[6:7], v[6:7], off
	s_waitcnt vmcnt(0)
	ds_write_b64 v8, v[6:7] offset:2112
.LBB2_17:
	s_or_b64 exec, exec, s[8:9]
	v_add_u32_e32 v6, 16, v1
	v_cmp_le_i32_e32 vcc, s16, v6
	s_and_saveexec_b64 s[8:9], vcc
	s_xor_b64 s[8:9], exec, s[8:9]
	s_cbranch_execz .LBB2_19
; %bb.18:
	v_mov_b32_e32 v6, 0
	v_mov_b32_e32 v7, v6
	ds_write_b64 v8, v[6:7] offset:4224
.LBB2_19:
	s_andn2_saveexec_b64 s[8:9], s[8:9]
	s_cbranch_execz .LBB2_21
; %bb.20:
	s_lshl_b32 s10, s22, 4
	s_ashr_i32 s11, s10, 31
	s_lshl_b64 s[10:11], s[10:11], 3
	v_mov_b32_e32 v7, s11
	v_add_co_u32_e32 v6, vcc, s10, v2
	v_addc_co_u32_e32 v7, vcc, v3, v7, vcc
	global_load_dwordx2 v[6:7], v[6:7], off
	s_waitcnt vmcnt(0)
	ds_write_b64 v8, v[6:7] offset:4224
.LBB2_21:
	s_or_b64 exec, exec, s[8:9]
	v_add_u32_e32 v6, 24, v1
	v_cmp_le_i32_e32 vcc, s16, v6
	s_and_saveexec_b64 s[8:9], vcc
	s_xor_b64 s[8:9], exec, s[8:9]
	s_cbranch_execz .LBB2_23
; %bb.22:
	v_mov_b32_e32 v6, 0
	v_mov_b32_e32 v7, v6
	ds_write_b64 v8, v[6:7] offset:6336
                                        ; implicit-def: $vgpr8
.LBB2_23:
	s_andn2_saveexec_b64 s[8:9], s[8:9]
	s_cbranch_execz .LBB2_25
; %bb.24:
	s_mul_i32 s10, s22, 24
	s_ashr_i32 s11, s10, 31
	s_lshl_b64 s[10:11], s[10:11], 3
	v_mov_b32_e32 v7, s11
	v_add_co_u32_e32 v6, vcc, s10, v2
	v_addc_co_u32_e32 v7, vcc, v3, v7, vcc
	global_load_dwordx2 v[6:7], v[6:7], off
	s_waitcnt vmcnt(0)
	ds_write_b64 v8, v[6:7] offset:6336
.LBB2_25:
	s_or_b64 exec, exec, s[8:9]
	v_add_co_u32_e32 v2, vcc, v2, v10
	v_addc_co_u32_e32 v3, vcc, 0, v3, vcc
	v_mov_b32_e32 v6, s5
	v_subrev_co_u32_e32 v2, vcc, s4, v2
	v_subb_co_u32_e32 v3, vcc, v3, v6, vcc
	v_add_co_u32_e32 v2, vcc, 8, v2
	v_addc_co_u32_e32 v3, vcc, 0, v3, vcc
	v_cndmask_b32_e64 v3, v3, v5, s[2:3]
	v_cndmask_b32_e64 v2, v2, v4, s[2:3]
	v_mul_u32_u24_e32 v11, 33, v1
	s_branch .LBB2_28
.LBB2_26:
                                        ; implicit-def: $vgpr2_vgpr3
	v_mul_u32_u24_e32 v11, 33, v1
	s_cbranch_execz .LBB2_28
; %bb.27:
	s_lshl_b32 s2, s22, 3
	s_ashr_i32 s3, s2, 31
	s_lshl_b64 s[2:3], s[2:3], 3
	v_mov_b32_e32 v3, s3
	v_add_co_u32_e32 v2, vcc, s2, v4
	s_ashr_i32 s23, s22, 31
	v_addc_co_u32_e32 v3, vcc, v5, v3, vcc
	s_lshl_b64 s[2:3], s[22:23], 6
	global_load_dwordx2 v[6:7], v[4:5], off
	global_load_dwordx2 v[8:9], v[2:3], off
	v_mov_b32_e32 v18, s3
	v_add_co_u32_e32 v2, vcc, s2, v2
	v_addc_co_u32_e32 v3, vcc, v3, v18, vcc
	global_load_dwordx2 v[16:17], v[2:3], off
	v_add_co_u32_e32 v2, vcc, s2, v2
	v_addc_co_u32_e32 v3, vcc, v3, v18, vcc
	global_load_dwordx2 v[2:3], v[2:3], off
	v_add_lshl_u32 v18, v11, v0, 3
	s_waitcnt vmcnt(3)
	ds_write_b64 v18, v[6:7]
	s_waitcnt vmcnt(2)
	ds_write_b64 v18, v[8:9] offset:2112
	s_waitcnt vmcnt(1)
	ds_write_b64 v18, v[16:17] offset:4224
	;; [unrolled: 2-line block ×3, first 2 shown]
	v_pk_mov_b32 v[2:3], v[4:5], v[4:5] op_sel:[0,1]
.LBB2_28:
	v_lshlrev_b32_e32 v21, 2, v1
	v_cmp_le_u32_e64 s[4:5], v21, v0
	s_waitcnt lgkmcnt(0)
	s_barrier
	s_and_saveexec_b64 s[2:3], s[4:5]
	s_xor_b64 s[2:3], exec, s[2:3]
	s_cbranch_execz .LBB2_32
; %bb.29:
	v_cmp_eq_u32_e32 vcc, v21, v0
	s_and_saveexec_b64 s[8:9], vcc
	s_cbranch_execz .LBB2_31
; %bb.30:
	v_mul_u32_u24_e32 v4, 34, v0
	v_lshlrev_b32_e32 v4, 3, v4
	v_mov_b32_e32 v5, 0
	ds_write_b32 v4, v5 offset:4
.LBB2_31:
	s_or_b64 exec, exec, s[8:9]
.LBB2_32:
	s_or_saveexec_b64 s[2:3], s[2:3]
	v_mul_u32_u24_e32 v18, 33, v0
	v_add_lshl_u32 v16, v21, v18, 3
	s_xor_b64 exec, exec, s[2:3]
	s_cbranch_execz .LBB2_34
; %bb.33:
	v_mul_u32_u24_e32 v4, 0x84, v1
	v_add_lshl_u32 v4, v4, v0, 3
	ds_read_b64 v[4:5], v4
	s_waitcnt lgkmcnt(0)
	v_xor_b32_e32 v5, 0x80000000, v5
	ds_write_b64 v16, v[4:5]
.LBB2_34:
	s_or_b64 exec, exec, s[2:3]
	v_or_b32_e32 v17, 1, v21
	v_cmp_ge_u32_e64 s[14:15], v21, v0
	v_mul_u32_u24_e32 v4, 33, v17
	s_and_saveexec_b64 s[2:3], s[14:15]
	s_xor_b64 s[2:3], exec, s[2:3]
	s_cbranch_execz .LBB2_36
; %bb.35:
	v_add_lshl_u32 v5, v4, v0, 3
	ds_read_b64 v[6:7], v5
	s_waitcnt lgkmcnt(0)
	v_xor_b32_e32 v7, 0x80000000, v7
	ds_write_b64 v16, v[6:7] offset:8
.LBB2_36:
	s_andn2_saveexec_b64 s[2:3], s[2:3]
	s_cbranch_execz .LBB2_40
; %bb.37:
	v_cmp_eq_u32_e32 vcc, v17, v0
	s_and_saveexec_b64 s[8:9], vcc
	s_cbranch_execz .LBB2_39
; %bb.38:
	v_mul_u32_u24_e32 v5, 34, v0
	v_lshlrev_b32_e32 v5, 3, v5
	v_mov_b32_e32 v6, 0
	ds_write_b32 v5, v6 offset:4
.LBB2_39:
	s_or_b64 exec, exec, s[8:9]
.LBB2_40:
	s_or_b64 exec, exec, s[2:3]
	v_or_b32_e32 v25, 2, v21
	v_cmp_le_u32_e64 s[8:9], v25, v0
	s_and_saveexec_b64 s[2:3], s[8:9]
	s_xor_b64 s[2:3], exec, s[2:3]
	s_cbranch_execz .LBB2_44
; %bb.41:
	v_cmp_eq_u32_e32 vcc, v25, v0
	s_and_saveexec_b64 s[10:11], vcc
	s_cbranch_execz .LBB2_43
; %bb.42:
	v_mul_u32_u24_e32 v5, 34, v0
	v_lshlrev_b32_e32 v5, 3, v5
	v_mov_b32_e32 v6, 0
	ds_write_b32 v5, v6 offset:4
.LBB2_43:
	s_or_b64 exec, exec, s[10:11]
.LBB2_44:
	s_andn2_saveexec_b64 s[2:3], s[2:3]
	s_cbranch_execz .LBB2_46
; %bb.45:
	v_mul_u32_u24_e32 v5, 33, v25
	v_add_lshl_u32 v5, v5, v0, 3
	ds_read_b64 v[6:7], v5
	s_waitcnt lgkmcnt(0)
	v_xor_b32_e32 v7, 0x80000000, v7
	ds_write_b64 v16, v[6:7] offset:16
.LBB2_46:
	s_or_b64 exec, exec, s[2:3]
	v_or_b32_e32 v26, 3, v21
	v_cmp_le_u32_e64 s[10:11], v26, v0
	s_and_saveexec_b64 s[2:3], s[10:11]
	s_xor_b64 s[2:3], exec, s[2:3]
	s_cbranch_execz .LBB2_50
; %bb.47:
	v_cmp_eq_u32_e32 vcc, v26, v0
	s_and_saveexec_b64 s[12:13], vcc
	s_cbranch_execz .LBB2_49
; %bb.48:
	v_mul_u32_u24_e32 v5, 34, v0
	v_lshlrev_b32_e32 v5, 3, v5
	v_mov_b32_e32 v6, 0
	ds_write_b32 v5, v6 offset:4
.LBB2_49:
	s_or_b64 exec, exec, s[12:13]
.LBB2_50:
	s_andn2_saveexec_b64 s[2:3], s[2:3]
	s_cbranch_execz .LBB2_52
; %bb.51:
	v_mul_u32_u24_e32 v5, 33, v26
	v_add_lshl_u32 v5, v5, v0, 3
	ds_read_b64 v[6:7], v5
	s_waitcnt lgkmcnt(0)
	v_xor_b32_e32 v7, 0x80000000, v7
	ds_write_b64 v16, v[6:7] offset:24
.LBB2_52:
	s_or_b64 exec, exec, s[2:3]
	v_mul_u32_u24_e32 v5, 0x84, v1
	v_lshlrev_b32_e32 v27, 3, v21
	s_waitcnt lgkmcnt(0)
	s_barrier
	v_add_lshl_u32 v20, v5, v0, 3
	v_add_lshl_u32 v19, v4, v0, 3
	ds_read_b128 v[4:7], v27 offset:9088
	ds_read_b64 v[8:9], v20
	ds_read2_b64 v[32:35], v19 offset1:33
	ds_read_b64 v[40:41], v19 offset:528
	ds_read_b128 v[36:39], v27 offset:9104
	s_mov_b32 s12, 0
	s_waitcnt lgkmcnt(3)
	v_pk_mul_f32 v[42:43], v[4:5], v[8:9] op_sel:[0,1]
	v_pk_fma_f32 v[44:45], v[4:5], v[8:9], v[42:43] op_sel:[0,0,1] op_sel_hi:[1,1,0] neg_lo:[0,0,1] neg_hi:[0,0,1]
	v_pk_fma_f32 v[4:5], v[4:5], v[8:9], v[42:43] op_sel:[0,0,1] op_sel_hi:[1,0,0]
	s_waitcnt lgkmcnt(2)
	v_pk_mul_f32 v[8:9], v[6:7], v[32:33] op_sel:[0,1]
	v_pk_fma_f32 v[42:43], v[6:7], v[32:33], v[8:9] op_sel:[0,0,1] op_sel_hi:[1,1,0] neg_lo:[0,0,1] neg_hi:[0,0,1]
	v_pk_fma_f32 v[6:7], v[6:7], v[32:33], v[8:9] op_sel:[0,0,1] op_sel_hi:[1,0,0]
	v_mov_b32_e32 v45, v5
	v_mov_b32_e32 v43, v7
	s_waitcnt lgkmcnt(0)
	v_pk_mul_f32 v[6:7], v[36:37], v[34:35] op_sel:[0,1]
	v_pk_add_f32 v[4:5], v[44:45], 0 op_sel_hi:[1,0]
	v_pk_fma_f32 v[8:9], v[36:37], v[34:35], v[6:7] op_sel:[0,0,1] op_sel_hi:[1,1,0] neg_lo:[0,0,1] neg_hi:[0,0,1]
	v_pk_fma_f32 v[6:7], v[36:37], v[34:35], v[6:7] op_sel:[0,0,1] op_sel_hi:[1,0,0]
	v_pk_add_f32 v[4:5], v[4:5], v[42:43]
	v_mov_b32_e32 v9, v7
	v_pk_mul_f32 v[6:7], v[38:39], v[40:41] op_sel:[0,1]
	v_pk_add_f32 v[4:5], v[4:5], v[8:9]
	v_pk_fma_f32 v[8:9], v[38:39], v[40:41], v[6:7] op_sel:[0,0,1] op_sel_hi:[1,1,0] neg_lo:[0,0,1] neg_hi:[0,0,1]
	v_pk_fma_f32 v[6:7], v[38:39], v[40:41], v[6:7] op_sel:[0,0,1] op_sel_hi:[1,0,0]
	s_mov_b32 s13, s12
	v_mov_b32_e32 v9, v7
	v_add_lshl_u32 v23, v1, v18, 3
	v_pk_add_f32 v[4:5], v[4:5], v[8:9]
	v_cmp_gt_u32_e64 s[2:3], 32, v22
	v_pk_mov_b32 v[32:33], s[12:13], s[12:13] op_sel:[0,1]
	v_lshlrev_b32_e32 v24, 3, v18
	s_barrier
	ds_write_b64 v23, v[4:5]
	s_waitcnt lgkmcnt(0)
	s_barrier
	s_and_saveexec_b64 s[12:13], s[2:3]
	s_cbranch_execz .LBB2_54
; %bb.53:
	ds_read2_b64 v[4:7], v24 offset1:7
	ds_read2_b64 v[32:35], v24 offset0:1 offset1:2
	ds_read2_b64 v[36:39], v24 offset0:3 offset1:4
	s_waitcnt lgkmcnt(1)
	v_add_f32_e32 v4, v32, v4
	v_add_f32_e32 v5, v33, v5
	;; [unrolled: 1-line block ×4, first 2 shown]
	ds_read2_b64 v[32:35], v24 offset0:5 offset1:6
	s_waitcnt lgkmcnt(1)
	v_add_f32_e32 v4, v4, v36
	v_add_f32_e32 v5, v5, v37
	;; [unrolled: 1-line block ×4, first 2 shown]
	s_waitcnt lgkmcnt(0)
	v_add_f32_e32 v4, v4, v32
	v_add_f32_e32 v5, v5, v33
	;; [unrolled: 1-line block ×4, first 2 shown]
	v_pk_add_f32 v[32:33], v[4:5], v[6:7]
.LBB2_54:
	s_or_b64 exec, exec, s[12:13]
	s_lshl_b32 s26, s22, 5
	s_ashr_i32 s27, s26, 31
	s_lshl_b64 s[28:29], s[26:27], 3
	v_mov_b32_e32 v4, s29
	v_add_co_u32_e32 v6, vcc, s28, v2
	v_addc_co_u32_e32 v7, vcc, v3, v4, vcc
	v_add_co_u32_e32 v4, vcc, 0x100, v6
	v_addc_co_u32_e32 v5, vcc, 0, v7, vcc
	s_and_b64 vcc, exec, s[30:31]
	s_barrier
	s_cbranch_vccz .LBB2_70
; %bb.55:
	v_sub_co_u32_e32 v3, vcc, v4, v10
	s_ashr_i32 s17, s16, 31
	v_subbrev_co_u32_e32 v8, vcc, 0, v5, vcc
	s_lshl_b64 s[34:35], s[16:17], 3
	v_mov_b32_e32 v9, s35
	v_add_co_u32_e32 v3, vcc, s34, v3
	v_addc_co_u32_e32 v8, vcc, v8, v9, vcc
	v_or_b32_e32 v2, 32, v0
	v_add_co_u32_e32 v9, vcc, 0xfffffef8, v3
	v_addc_co_u32_e32 v3, vcc, -1, v8, vcc
	v_cmp_gt_i32_e64 s[12:13], s16, v2
	s_sub_i32 s17, s16, 32
	v_mov_b32_e32 v8, 0
	v_cndmask_b32_e64 v3, v3, v5, s[12:13]
	v_cndmask_b32_e64 v2, v9, v4, s[12:13]
	v_cmp_gt_i32_e32 vcc, s17, v1
	v_mov_b32_e32 v9, v8
	s_and_saveexec_b64 s[36:37], vcc
	s_cbranch_execz .LBB2_57
; %bb.56:
	global_load_dwordx2 v[8:9], v[2:3], off
.LBB2_57:
	s_or_b64 exec, exec, s[36:37]
	v_add_lshl_u32 v29, v11, v0, 3
	s_waitcnt vmcnt(0)
	ds_write_b64 v29, v[8:9]
	v_add_u32_e32 v8, 8, v1
	v_cmp_le_i32_e32 vcc, s17, v8
	s_and_saveexec_b64 s[36:37], vcc
	s_xor_b64 s[36:37], exec, s[36:37]
	s_cbranch_execz .LBB2_59
; %bb.58:
	v_mul_u32_u24_e32 v8, 33, v8
	v_add_lshl_u32 v31, v8, v0, 3
	v_mov_b32_e32 v8, 0
	v_mov_b32_e32 v9, v8
	ds_write_b64 v31, v[8:9]
.LBB2_59:
	s_andn2_saveexec_b64 s[36:37], s[36:37]
	s_cbranch_execz .LBB2_61
; %bb.60:
	s_lshl_b32 s42, s22, 3
	s_ashr_i32 s43, s42, 31
	s_lshl_b64 s[42:43], s[42:43], 3
	v_mov_b32_e32 v9, s43
	v_add_co_u32_e32 v8, vcc, s42, v2
	v_addc_co_u32_e32 v9, vcc, v3, v9, vcc
	global_load_dwordx2 v[8:9], v[8:9], off
	s_waitcnt vmcnt(0)
	ds_write_b64 v29, v[8:9] offset:2112
.LBB2_61:
	s_or_b64 exec, exec, s[36:37]
	v_add_u32_e32 v8, 16, v1
	v_cmp_le_i32_e32 vcc, s17, v8
	s_and_saveexec_b64 s[36:37], vcc
	s_xor_b64 s[36:37], exec, s[36:37]
	s_cbranch_execz .LBB2_63
; %bb.62:
	v_mul_u32_u24_e32 v8, 33, v8
	v_add_lshl_u32 v31, v8, v0, 3
	v_mov_b32_e32 v8, 0
	v_mov_b32_e32 v9, v8
	ds_write_b64 v31, v[8:9]
.LBB2_63:
	s_andn2_saveexec_b64 s[36:37], s[36:37]
	s_cbranch_execz .LBB2_65
; %bb.64:
	s_lshl_b32 s42, s22, 4
	s_ashr_i32 s43, s42, 31
	s_lshl_b64 s[42:43], s[42:43], 3
	v_mov_b32_e32 v9, s43
	v_add_co_u32_e32 v8, vcc, s42, v2
	v_addc_co_u32_e32 v9, vcc, v3, v9, vcc
	global_load_dwordx2 v[8:9], v[8:9], off
	s_waitcnt vmcnt(0)
	ds_write_b64 v29, v[8:9] offset:4224
.LBB2_65:
	s_or_b64 exec, exec, s[36:37]
	v_add_u32_e32 v8, 24, v1
	v_cmp_le_i32_e32 vcc, s17, v8
	s_and_saveexec_b64 s[36:37], vcc
	s_xor_b64 s[36:37], exec, s[36:37]
	s_cbranch_execz .LBB2_67
; %bb.66:
	v_mov_b32_e32 v8, 0
	v_mov_b32_e32 v9, v8
	ds_write_b64 v29, v[8:9] offset:6336
                                        ; implicit-def: $vgpr29
.LBB2_67:
	s_andn2_saveexec_b64 s[36:37], s[36:37]
	s_cbranch_execz .LBB2_69
; %bb.68:
	s_mul_i32 s42, s22, 24
	s_ashr_i32 s43, s42, 31
	s_lshl_b64 s[42:43], s[42:43], 3
	v_mov_b32_e32 v9, s43
	v_add_co_u32_e32 v8, vcc, s42, v2
	v_addc_co_u32_e32 v9, vcc, v3, v9, vcc
	global_load_dwordx2 v[8:9], v[8:9], off
	s_waitcnt vmcnt(0)
	ds_write_b64 v29, v[8:9] offset:6336
.LBB2_69:
	s_or_b64 exec, exec, s[36:37]
	v_add_co_u32_e32 v2, vcc, v2, v10
	v_addc_co_u32_e32 v3, vcc, 0, v3, vcc
	v_mov_b32_e32 v8, s35
	v_subrev_co_u32_e32 v2, vcc, s34, v2
	v_subb_co_u32_e32 v3, vcc, v3, v8, vcc
	v_add_co_u32_e32 v2, vcc, 0x108, v2
	v_addc_co_u32_e32 v3, vcc, 0, v3, vcc
	v_cndmask_b32_e64 v3, v3, v5, s[12:13]
	v_cndmask_b32_e64 v2, v2, v4, s[12:13]
	s_branch .LBB2_72
.LBB2_70:
                                        ; implicit-def: $vgpr2_vgpr3
	s_cbranch_execz .LBB2_72
; %bb.71:
	s_lshl_b32 s12, s22, 3
	s_ashr_i32 s13, s12, 31
	s_lshl_b64 s[12:13], s[12:13], 3
	v_mov_b32_e32 v3, s13
	v_add_co_u32_e32 v2, vcc, s12, v6
	s_ashr_i32 s23, s22, 31
	v_addc_co_u32_e32 v3, vcc, v7, v3, vcc
	s_lshl_b64 s[12:13], s[22:23], 6
	v_mov_b32_e32 v29, s13
	v_add_co_u32_e32 v8, vcc, s12, v2
	v_addc_co_u32_e32 v9, vcc, v3, v29, vcc
	v_add_co_u32_e32 v34, vcc, s12, v8
	v_addc_co_u32_e32 v35, vcc, v9, v29, vcc
	global_load_dwordx2 v[36:37], v[6:7], off offset:256
	global_load_dwordx2 v[38:39], v[2:3], off offset:256
	;; [unrolled: 1-line block ×4, first 2 shown]
	v_add_lshl_u32 v2, v11, v0, 3
	s_waitcnt vmcnt(3)
	ds_write_b64 v2, v[36:37]
	s_waitcnt vmcnt(2)
	ds_write_b64 v2, v[38:39] offset:2112
	s_waitcnt vmcnt(1)
	ds_write_b64 v2, v[40:41] offset:4224
	;; [unrolled: 2-line block ×3, first 2 shown]
	v_pk_mov_b32 v[2:3], v[4:5], v[4:5] op_sel:[0,1]
.LBB2_72:
	s_waitcnt lgkmcnt(0)
	s_barrier
	s_and_saveexec_b64 s[12:13], s[4:5]
	s_xor_b64 s[4:5], exec, s[12:13]
	s_cbranch_execnz .LBB2_99
; %bb.73:
	s_andn2_saveexec_b64 s[4:5], s[4:5]
	s_cbranch_execnz .LBB2_102
.LBB2_74:
	s_or_b64 exec, exec, s[4:5]
	s_and_saveexec_b64 s[4:5], s[14:15]
	s_xor_b64 s[4:5], exec, s[4:5]
	s_cbranch_execnz .LBB2_103
.LBB2_75:
	s_andn2_saveexec_b64 s[4:5], s[4:5]
	s_cbranch_execnz .LBB2_104
.LBB2_76:
	s_or_b64 exec, exec, s[4:5]
	s_and_saveexec_b64 s[4:5], s[8:9]
	s_xor_b64 s[4:5], exec, s[4:5]
	s_cbranch_execnz .LBB2_107
.LBB2_77:
	s_andn2_saveexec_b64 s[4:5], s[4:5]
	s_cbranch_execnz .LBB2_110
.LBB2_78:
	s_or_b64 exec, exec, s[4:5]
	s_and_saveexec_b64 s[4:5], s[10:11]
	s_xor_b64 s[4:5], exec, s[4:5]
	s_cbranch_execnz .LBB2_111
.LBB2_79:
	s_or_saveexec_b64 s[4:5], s[4:5]
	v_add_u32_e32 v25, 0x2380, v27
	s_xor_b64 exec, exec, s[4:5]
	s_cbranch_execz .LBB2_81
.LBB2_80:
	ds_read_b64 v[4:5], v19 offset:528
	s_waitcnt lgkmcnt(0)
	v_xor_b32_e32 v5, 0x80000000, v5
	ds_write_b64 v16, v[4:5] offset:24
.LBB2_81:
	s_or_b64 exec, exec, s[4:5]
	s_waitcnt lgkmcnt(0)
	s_barrier
	ds_read_b64 v[8:9], v20
	ds_read_b128 v[4:7], v25 offset:256
	ds_read2_b64 v[34:37], v19 offset1:33
	ds_read_b64 v[16:17], v19 offset:528
	ds_read_b128 v[38:41], v25 offset:272
	v_cmp_eq_u32_e64 s[4:5], 1, v1
	s_waitcnt lgkmcnt(3)
	v_pk_mul_f32 v[26:27], v[4:5], v[8:9] op_sel:[0,1]
	v_pk_fma_f32 v[42:43], v[4:5], v[8:9], v[26:27] op_sel:[0,0,1] op_sel_hi:[1,1,0] neg_lo:[0,0,1] neg_hi:[0,0,1]
	v_pk_fma_f32 v[4:5], v[4:5], v[8:9], v[26:27] op_sel:[0,0,1] op_sel_hi:[1,0,0]
	s_waitcnt lgkmcnt(2)
	v_pk_mul_f32 v[8:9], v[6:7], v[34:35] op_sel:[0,1]
	v_pk_fma_f32 v[26:27], v[6:7], v[34:35], v[8:9] op_sel:[0,0,1] op_sel_hi:[1,1,0] neg_lo:[0,0,1] neg_hi:[0,0,1]
	v_pk_fma_f32 v[6:7], v[6:7], v[34:35], v[8:9] op_sel:[0,0,1] op_sel_hi:[1,0,0]
	v_mov_b32_e32 v43, v5
	v_mov_b32_e32 v27, v7
	s_waitcnt lgkmcnt(0)
	v_pk_mul_f32 v[6:7], v[38:39], v[36:37] op_sel:[0,1]
	v_pk_add_f32 v[4:5], v[42:43], 0 op_sel_hi:[1,0]
	v_pk_fma_f32 v[8:9], v[38:39], v[36:37], v[6:7] op_sel:[0,0,1] op_sel_hi:[1,1,0] neg_lo:[0,0,1] neg_hi:[0,0,1]
	v_pk_fma_f32 v[6:7], v[38:39], v[36:37], v[6:7] op_sel:[0,0,1] op_sel_hi:[1,0,0]
	v_pk_add_f32 v[4:5], v[4:5], v[26:27]
	v_mov_b32_e32 v9, v7
	v_pk_mul_f32 v[6:7], v[40:41], v[16:17] op_sel:[0,1]
	v_pk_add_f32 v[4:5], v[4:5], v[8:9]
	v_pk_fma_f32 v[8:9], v[40:41], v[16:17], v[6:7] op_sel:[0,0,1] op_sel_hi:[1,1,0] neg_lo:[0,0,1] neg_hi:[0,0,1]
	v_pk_fma_f32 v[6:7], v[40:41], v[16:17], v[6:7] op_sel:[0,0,1] op_sel_hi:[1,0,0]
	v_mov_b32_e32 v9, v7
	v_pk_add_f32 v[4:5], v[4:5], v[8:9]
	s_barrier
	ds_write_b64 v23, v[4:5]
	s_waitcnt lgkmcnt(0)
	s_barrier
	s_and_saveexec_b64 s[8:9], s[4:5]
	s_cbranch_execz .LBB2_83
; %bb.82:
	ds_read2_b64 v[4:7], v24 offset1:7
	ds_read2_b64 v[32:35], v24 offset0:1 offset1:2
	ds_read2_b64 v[36:39], v24 offset0:3 offset1:4
	s_waitcnt lgkmcnt(1)
	v_add_f32_e32 v4, v32, v4
	v_add_f32_e32 v5, v33, v5
	;; [unrolled: 1-line block ×4, first 2 shown]
	ds_read2_b64 v[32:35], v24 offset0:5 offset1:6
	s_waitcnt lgkmcnt(1)
	v_add_f32_e32 v4, v4, v36
	v_add_f32_e32 v5, v5, v37
	;; [unrolled: 1-line block ×4, first 2 shown]
	s_waitcnt lgkmcnt(0)
	v_add_f32_e32 v4, v4, v32
	v_add_f32_e32 v5, v5, v33
	v_pk_add_f32 v[4:5], v[4:5], v[34:35]
	v_pk_add_f32 v[32:33], v[4:5], v[6:7]
.LBB2_83:
	s_or_b64 exec, exec, s[8:9]
	v_add_co_u32_e32 v4, vcc, 0xffffff00, v2
	v_addc_co_u32_e32 v5, vcc, -1, v3, vcc
	s_and_b64 vcc, exec, s[30:31]
	s_barrier
	s_cbranch_vccz .LBB2_114
; %bb.84:
	v_sub_co_u32_e32 v6, vcc, v2, v10
	s_ashr_i32 s17, s16, 31
	v_subbrev_co_u32_e32 v7, vcc, 0, v3, vcc
	s_lshl_b64 s[10:11], s[16:17], 3
	v_mov_b32_e32 v8, s11
	v_add_co_u32_e32 v6, vcc, s10, v6
	v_addc_co_u32_e32 v7, vcc, v7, v8, vcc
	v_add_co_u32_e32 v6, vcc, 0xfffffef8, v6
	v_addc_co_u32_e32 v7, vcc, -1, v7, vcc
	v_cmp_gt_i32_e32 vcc, s16, v0
	s_sub_i32 s14, s16, 32
	v_mov_b32_e32 v8, 0
	v_cndmask_b32_e32 v7, v7, v5, vcc
	v_cndmask_b32_e32 v6, v6, v4, vcc
	v_cmp_gt_i32_e64 s[8:9], s14, v1
	v_mov_b32_e32 v9, v8
	s_and_saveexec_b64 s[12:13], s[8:9]
	s_cbranch_execz .LBB2_86
; %bb.85:
	global_load_dwordx2 v[8:9], v[6:7], off
.LBB2_86:
	s_or_b64 exec, exec, s[12:13]
	v_add_lshl_u32 v16, v11, v0, 3
	s_waitcnt vmcnt(0)
	ds_write_b64 v16, v[8:9]
	v_add_u32_e32 v8, 8, v1
	v_cmp_le_i32_e64 s[8:9], s14, v8
	s_and_saveexec_b64 s[12:13], s[8:9]
	s_xor_b64 s[8:9], exec, s[12:13]
	s_cbranch_execz .LBB2_88
; %bb.87:
	v_mul_u32_u24_e32 v9, 33, v8
	v_mov_b32_e32 v26, 0
	v_add_lshl_u32 v9, v9, v0, 3
	v_mov_b32_e32 v27, v26
	ds_write_b64 v9, v[26:27]
.LBB2_88:
	s_andn2_saveexec_b64 s[12:13], s[8:9]
	s_cbranch_execz .LBB2_90
; %bb.89:
	s_lshl_b32 s8, s22, 3
	s_ashr_i32 s9, s8, 31
	s_lshl_b64 s[8:9], s[8:9], 3
	v_mov_b32_e32 v9, s9
	v_add_co_u32_e64 v26, s[8:9], s8, v6
	v_addc_co_u32_e64 v27, s[8:9], v7, v9, s[8:9]
	global_load_dwordx2 v[26:27], v[26:27], off
	s_waitcnt vmcnt(0)
	ds_write_b64 v16, v[26:27] offset:2112
.LBB2_90:
	s_or_b64 exec, exec, s[12:13]
	v_add_u32_e32 v9, 16, v1
	v_cmp_le_i32_e64 s[8:9], s14, v9
	s_and_saveexec_b64 s[12:13], s[8:9]
	s_xor_b64 s[8:9], exec, s[12:13]
	s_cbranch_execz .LBB2_92
; %bb.91:
	v_mov_b32_e32 v26, 0
	v_mov_b32_e32 v27, v26
	ds_write_b64 v16, v[26:27] offset:4224
.LBB2_92:
	s_andn2_saveexec_b64 s[12:13], s[8:9]
	s_cbranch_execz .LBB2_94
; %bb.93:
	s_lshl_b32 s8, s22, 4
	s_ashr_i32 s9, s8, 31
	s_lshl_b64 s[8:9], s[8:9], 3
	v_mov_b32_e32 v17, s9
	v_add_co_u32_e64 v26, s[8:9], s8, v6
	v_addc_co_u32_e64 v27, s[8:9], v7, v17, s[8:9]
	global_load_dwordx2 v[26:27], v[26:27], off
	s_waitcnt vmcnt(0)
	ds_write_b64 v16, v[26:27] offset:4224
.LBB2_94:
	s_or_b64 exec, exec, s[12:13]
	v_add_u32_e32 v21, 24, v1
	v_cmp_le_i32_e64 s[8:9], s14, v21
	s_and_saveexec_b64 s[12:13], s[8:9]
	s_xor_b64 s[8:9], exec, s[12:13]
	s_cbranch_execz .LBB2_96
; %bb.95:
	v_mov_b32_e32 v26, 0
	v_mov_b32_e32 v27, v26
	ds_write_b64 v16, v[26:27] offset:6336
                                        ; implicit-def: $vgpr16
.LBB2_96:
	s_andn2_saveexec_b64 s[12:13], s[8:9]
	s_cbranch_execz .LBB2_98
; %bb.97:
	s_mul_i32 s8, s22, 24
	s_ashr_i32 s9, s8, 31
	s_lshl_b64 s[8:9], s[8:9], 3
	v_mov_b32_e32 v17, s9
	v_add_co_u32_e64 v26, s[8:9], s8, v6
	v_addc_co_u32_e64 v27, s[8:9], v7, v17, s[8:9]
	global_load_dwordx2 v[26:27], v[26:27], off
	s_waitcnt vmcnt(0)
	ds_write_b64 v16, v[26:27] offset:6336
.LBB2_98:
	s_or_b64 exec, exec, s[12:13]
	v_add_co_u32_e64 v6, s[8:9], v6, v10
	v_addc_co_u32_e64 v7, s[8:9], 0, v7, s[8:9]
	v_mov_b32_e32 v10, s11
	v_subrev_co_u32_e64 v6, s[8:9], s10, v6
	v_subb_co_u32_e64 v7, s[8:9], v7, v10, s[8:9]
	v_add_co_u32_e64 v6, s[8:9], 8, v6
	v_addc_co_u32_e64 v7, s[8:9], 0, v7, s[8:9]
	v_cndmask_b32_e32 v17, v7, v5, vcc
	v_cndmask_b32_e32 v16, v6, v4, vcc
	s_branch .LBB2_116
.LBB2_99:
	v_cmp_eq_u32_e32 vcc, v21, v0
	s_and_saveexec_b64 s[12:13], vcc
	s_cbranch_execz .LBB2_101
; %bb.100:
	v_mul_u32_u24_e32 v4, 34, v0
	v_lshlrev_b32_e32 v4, 3, v4
	v_mov_b32_e32 v5, 0
	ds_write_b32 v4, v5 offset:4
.LBB2_101:
	s_or_b64 exec, exec, s[12:13]
	s_andn2_saveexec_b64 s[4:5], s[4:5]
	s_cbranch_execz .LBB2_74
.LBB2_102:
	ds_read_b64 v[4:5], v20
	s_waitcnt lgkmcnt(0)
	v_xor_b32_e32 v5, 0x80000000, v5
	ds_write_b64 v16, v[4:5]
	s_or_b64 exec, exec, s[4:5]
	s_and_saveexec_b64 s[4:5], s[14:15]
	s_xor_b64 s[4:5], exec, s[4:5]
	s_cbranch_execz .LBB2_75
.LBB2_103:
	ds_read_b64 v[4:5], v19
                                        ; implicit-def: $vgpr17
	s_waitcnt lgkmcnt(0)
	v_xor_b32_e32 v5, 0x80000000, v5
	ds_write_b64 v16, v[4:5] offset:8
	s_andn2_saveexec_b64 s[4:5], s[4:5]
	s_cbranch_execz .LBB2_76
.LBB2_104:
	v_cmp_eq_u32_e32 vcc, v17, v0
	s_and_saveexec_b64 s[12:13], vcc
	s_cbranch_execz .LBB2_106
; %bb.105:
	v_mul_u32_u24_e32 v4, 34, v0
	v_lshlrev_b32_e32 v4, 3, v4
	v_mov_b32_e32 v5, 0
	ds_write_b32 v4, v5 offset:4
.LBB2_106:
	s_or_b64 exec, exec, s[12:13]
	s_or_b64 exec, exec, s[4:5]
	s_and_saveexec_b64 s[4:5], s[8:9]
	s_xor_b64 s[4:5], exec, s[4:5]
	s_cbranch_execz .LBB2_77
.LBB2_107:
	v_cmp_eq_u32_e32 vcc, v25, v0
	s_and_saveexec_b64 s[8:9], vcc
	s_cbranch_execz .LBB2_109
; %bb.108:
	v_mul_u32_u24_e32 v4, 34, v0
	v_lshlrev_b32_e32 v4, 3, v4
	v_mov_b32_e32 v5, 0
	ds_write_b32 v4, v5 offset:4
.LBB2_109:
	s_or_b64 exec, exec, s[8:9]
	s_andn2_saveexec_b64 s[4:5], s[4:5]
	s_cbranch_execz .LBB2_78
.LBB2_110:
	ds_read_b64 v[4:5], v19 offset:264
	s_waitcnt lgkmcnt(0)
	v_xor_b32_e32 v5, 0x80000000, v5
	ds_write_b64 v16, v[4:5] offset:16
	s_or_b64 exec, exec, s[4:5]
	s_and_saveexec_b64 s[4:5], s[10:11]
	s_xor_b64 s[4:5], exec, s[4:5]
	s_cbranch_execz .LBB2_79
.LBB2_111:
	v_cmp_eq_u32_e32 vcc, v26, v0
	s_and_saveexec_b64 s[8:9], vcc
	s_cbranch_execz .LBB2_113
; %bb.112:
	v_mul_u32_u24_e32 v4, 34, v0
	v_lshlrev_b32_e32 v4, 3, v4
	v_mov_b32_e32 v5, 0
	ds_write_b32 v4, v5 offset:4
.LBB2_113:
	s_or_b64 exec, exec, s[8:9]
                                        ; implicit-def: $vgpr16
	s_or_saveexec_b64 s[4:5], s[4:5]
	v_add_u32_e32 v25, 0x2380, v27
	s_xor_b64 exec, exec, s[4:5]
	s_cbranch_execnz .LBB2_80
	s_branch .LBB2_81
.LBB2_114:
                                        ; implicit-def: $vgpr16_vgpr17
                                        ; implicit-def: $vgpr8
                                        ; implicit-def: $vgpr9
                                        ; implicit-def: $vgpr21
	s_cbranch_execz .LBB2_116
; %bb.115:
	s_lshl_b32 s8, s22, 3
	s_ashr_i32 s9, s8, 31
	s_lshl_b64 s[8:9], s[8:9], 3
	global_load_dwordx2 v[6:7], v[2:3], off offset:-256
	v_mov_b32_e32 v8, s9
	v_add_co_u32_e32 v2, vcc, s8, v2
	s_ashr_i32 s23, s22, 31
	v_addc_co_u32_e32 v3, vcc, v3, v8, vcc
	s_lshl_b64 s[8:9], s[22:23], 6
	v_mov_b32_e32 v10, s9
	v_add_co_u32_e32 v8, vcc, s8, v2
	v_addc_co_u32_e32 v9, vcc, v3, v10, vcc
	global_load_dwordx2 v[16:17], v[2:3], off offset:-256
	global_load_dwordx2 v[26:27], v[8:9], off offset:-256
	v_add_co_u32_e32 v2, vcc, s8, v8
	v_addc_co_u32_e32 v3, vcc, v9, v10, vcc
	global_load_dwordx2 v[2:3], v[2:3], off offset:-256
	v_add_lshl_u32 v0, v11, v0, 3
	v_add_u32_e32 v8, 8, v1
	v_add_u32_e32 v9, 16, v1
	;; [unrolled: 1-line block ×3, first 2 shown]
	s_waitcnt vmcnt(3)
	ds_write_b64 v0, v[6:7]
	s_waitcnt vmcnt(2)
	ds_write_b64 v0, v[16:17] offset:2112
	s_waitcnt vmcnt(1)
	ds_write_b64 v0, v[26:27] offset:4224
	;; [unrolled: 2-line block ×3, first 2 shown]
	v_pk_mov_b32 v[16:17], v[4:5], v[4:5] op_sel:[0,1]
.LBB2_116:
	s_waitcnt lgkmcnt(0)
	s_barrier
	ds_read_b64 v[26:27], v23
	v_add_lshl_u32 v0, v9, v18, 3
	ds_read_b64 v[34:35], v0
	v_lshlrev_b32_e32 v4, 3, v1
	v_add_lshl_u32 v5, v8, v18, 3
	v_lshlrev_b32_e32 v6, 3, v8
	v_lshlrev_b32_e32 v7, 3, v9
	v_add_lshl_u32 v18, v21, v18, 3
	v_lshlrev_b32_e32 v29, 3, v21
	ds_read2_b64 v[0:3], v19 offset1:33
	ds_read_b64 v[20:21], v20
	ds_read_b128 v[8:11], v25 offset:256
	ds_read_b64 v[36:37], v6 offset:9088
	ds_read_b64 v[38:39], v5
	ds_read_b64 v[40:41], v4 offset:9088
	ds_read_b64 v[42:43], v29 offset:9088
	ds_read_b64 v[44:45], v18
	ds_read_b64 v[46:47], v7 offset:9088
	ds_read_b64 v[18:19], v19 offset:528
	ds_read_b128 v[4:7], v25 offset:272
	s_waitcnt lgkmcnt(5)
	v_pk_mul_f32 v[48:49], v[26:27], v[40:41] op_sel:[1,0]
	v_pk_mul_f32 v[50:51], v[38:39], v[36:37] op_sel:[1,0]
	v_pk_fma_f32 v[56:57], v[26:27], v[40:41], v[48:49] op_sel:[0,0,1] op_sel_hi:[1,1,0]
	v_pk_fma_f32 v[26:27], v[26:27], v[40:41], v[48:49] op_sel:[0,0,1] op_sel_hi:[0,1,0] neg_lo:[0,0,1] neg_hi:[0,0,1]
	s_waitcnt lgkmcnt(2)
	v_pk_mul_f32 v[52:53], v[34:35], v[46:47] op_sel:[1,0]
	v_mov_b32_e32 v57, v27
	v_pk_fma_f32 v[40:41], v[38:39], v[36:37], v[50:51] op_sel:[0,0,1] op_sel_hi:[1,1,0]
	v_pk_fma_f32 v[36:37], v[38:39], v[36:37], v[50:51] op_sel:[0,0,1] op_sel_hi:[0,1,0] neg_lo:[0,0,1] neg_hi:[0,0,1]
	v_pk_add_f32 v[26:27], v[56:57], 0 op_sel_hi:[1,0]
	v_mov_b32_e32 v41, v37
	v_pk_fma_f32 v[36:37], v[34:35], v[46:47], v[52:53] op_sel:[0,0,1] op_sel_hi:[1,1,0]
	v_pk_fma_f32 v[34:35], v[34:35], v[46:47], v[52:53] op_sel:[0,0,1] op_sel_hi:[0,1,0] neg_lo:[0,0,1] neg_hi:[0,0,1]
	v_pk_mul_f32 v[54:55], v[44:45], v[42:43] op_sel:[1,0]
	v_pk_add_f32 v[26:27], v[26:27], v[40:41]
	v_mov_b32_e32 v37, v35
	v_pk_add_f32 v[26:27], v[26:27], v[36:37]
	v_pk_fma_f32 v[34:35], v[44:45], v[42:43], v[54:55] op_sel:[0,0,1] op_sel_hi:[1,1,0]
	v_pk_fma_f32 v[36:37], v[44:45], v[42:43], v[54:55] op_sel:[0,0,1] op_sel_hi:[0,1,0] neg_lo:[0,0,1] neg_hi:[0,0,1]
	v_mov_b32_e32 v35, v37
	v_pk_add_f32 v[26:27], v[26:27], v[34:35]
	s_waitcnt lgkmcnt(0)
	s_barrier
	ds_write_b64 v23, v[26:27]
	s_waitcnt lgkmcnt(0)
	s_barrier
	s_and_saveexec_b64 s[8:9], s[4:5]
	s_cbranch_execz .LBB2_118
; %bb.117:
	ds_read2_b64 v[34:37], v24 offset1:1
	ds_read2_b64 v[38:41], v24 offset0:2 offset1:3
	ds_read2_b64 v[42:45], v24 offset0:6 offset1:7
	s_waitcnt lgkmcnt(2)
	v_pk_add_f32 v[26:27], v[32:33], v[34:35]
	ds_read2_b64 v[32:35], v24 offset0:4 offset1:5
	v_pk_add_f32 v[26:27], v[26:27], v[36:37]
	s_waitcnt lgkmcnt(2)
	v_pk_add_f32 v[26:27], v[26:27], v[38:39]
	v_pk_add_f32 v[26:27], v[26:27], v[40:41]
	s_waitcnt lgkmcnt(0)
	v_pk_add_f32 v[26:27], v[26:27], v[32:33]
	v_pk_add_f32 v[26:27], v[26:27], v[34:35]
	;; [unrolled: 1-line block ×4, first 2 shown]
.LBB2_118:
	s_or_b64 exec, exec, s[8:9]
	v_pk_mul_f32 v[26:27], v[8:9], v[20:21] op_sel:[0,1]
	v_pk_fma_f32 v[34:35], v[8:9], v[20:21], v[26:27] op_sel:[0,0,1] op_sel_hi:[1,1,0] neg_lo:[0,0,1] neg_hi:[0,0,1]
	v_pk_fma_f32 v[8:9], v[8:9], v[20:21], v[26:27] op_sel:[0,0,1] op_sel_hi:[1,0,0]
	v_pk_mul_f32 v[20:21], v[10:11], v[0:1] op_sel:[0,1]
	v_mov_b32_e32 v35, v9
	v_pk_fma_f32 v[26:27], v[10:11], v[0:1], v[20:21] op_sel:[0,0,1] op_sel_hi:[1,1,0] neg_lo:[0,0,1] neg_hi:[0,0,1]
	v_pk_fma_f32 v[0:1], v[10:11], v[0:1], v[20:21] op_sel:[0,0,1] op_sel_hi:[1,0,0]
	v_pk_add_f32 v[8:9], v[34:35], 0 op_sel_hi:[1,0]
	v_mov_b32_e32 v27, v1
	v_pk_add_f32 v[0:1], v[8:9], v[26:27]
	v_pk_mul_f32 v[8:9], v[4:5], v[2:3] op_sel:[0,1]
	v_pk_fma_f32 v[10:11], v[4:5], v[2:3], v[8:9] op_sel:[0,0,1] op_sel_hi:[1,1,0] neg_lo:[0,0,1] neg_hi:[0,0,1]
	v_pk_fma_f32 v[2:3], v[4:5], v[2:3], v[8:9] op_sel:[0,0,1] op_sel_hi:[1,0,0]
	v_mov_b32_e32 v11, v3
	v_pk_mul_f32 v[2:3], v[6:7], v[18:19] op_sel:[0,1]
	v_pk_fma_f32 v[4:5], v[6:7], v[18:19], v[2:3] op_sel:[0,0,1] op_sel_hi:[1,1,0] neg_lo:[0,0,1] neg_hi:[0,0,1]
	v_pk_fma_f32 v[2:3], v[6:7], v[18:19], v[2:3] op_sel:[0,0,1] op_sel_hi:[1,0,0]
	v_pk_add_f32 v[0:1], v[0:1], v[10:11]
	v_mov_b32_e32 v5, v3
	v_pk_add_f32 v[0:1], v[0:1], v[4:5]
	s_barrier
	ds_write_b64 v23, v[0:1]
	s_waitcnt lgkmcnt(0)
	s_barrier
	s_and_saveexec_b64 s[4:5], s[2:3]
	s_cbranch_execz .LBB2_120
; %bb.119:
	ds_read2_b64 v[0:3], v24 offset1:1
	ds_read2_b64 v[4:7], v24 offset0:2 offset1:3
	ds_read2_b64 v[8:11], v24 offset0:4 offset1:5
	s_waitcnt lgkmcnt(2)
	v_pk_add_f32 v[0:1], v[32:33], v[0:1]
	v_pk_add_f32 v[18:19], v[0:1], v[2:3]
	ds_read2_b64 v[0:3], v24 offset0:6 offset1:7
	s_waitcnt lgkmcnt(2)
	v_pk_add_f32 v[4:5], v[18:19], v[4:5]
	v_pk_add_f32 v[4:5], v[4:5], v[6:7]
	s_waitcnt lgkmcnt(1)
	v_pk_add_f32 v[4:5], v[4:5], v[8:9]
	v_pk_add_f32 v[4:5], v[4:5], v[10:11]
	;; [unrolled: 3-line block ×3, first 2 shown]
.LBB2_120:
	s_or_b64 exec, exec, s[4:5]
	s_mul_hi_u32 s2, s40, s7
	s_mul_i32 s41, s41, s7
	s_add_i32 s2, s2, s41
	s_mul_i32 s4, s40, s7
	s_mul_i32 s2, s2, s33
	s_mul_hi_u32 s3, s4, s33
	s_add_i32 s3, s3, s2
	s_mul_i32 s2, s4, s33
	s_lshl_b64 s[2:3], s[2:3], 3
	s_add_u32 s4, s18, s2
	s_addc_u32 s5, s19, s3
	s_mul_hi_i32 s3, s40, s6
	s_mul_i32 s2, s40, s6
	s_lshl_b64 s[2:3], s[2:3], 3
	s_add_u32 s7, s4, s2
	s_addc_u32 s17, s5, s3
	s_add_i32 s8, s6, 1
	s_cmp_ge_u32 s8, s33
	v_lshlrev_b32_e32 v73, 3, v30
	s_barrier
	s_cbranch_scc1 .LBB2_178
; %bb.121:
	s_mul_i32 s2, s24, s39
	s_ashr_i32 s3, s2, 31
	s_lshl_b64 s[2:3], s[2:3], 3
	v_lshlrev_b32_e32 v119, 2, v71
	v_mov_b32_e32 v0, s3
	v_subrev_co_u32_e32 v133, vcc, s2, v12
	v_subb_co_u32_e32 v134, vcc, v13, v0, vcc
	v_mad_u64_u32 v[0:1], s[2:3], v119, s22, v[30:31]
	v_ashrrev_i32_e32 v1, 31, v0
	v_sub_co_u32_e32 v135, vcc, 0, v14
	s_lshl_b32 s2, s22, 4
	v_subb_co_u32_e32 v136, vcc, 0, v15, vcc
	v_lshlrev_b64 v[2:3], 3, v[0:1]
	s_lshl_b32 s30, s39, 6
	s_ashr_i32 s3, s2, 31
	s_ashr_i32 s23, s22, 31
	s_lshl_b32 s14, s22, 1
	s_mul_i32 s34, s22, 3
	s_mul_i32 s39, s39, s8
	v_mov_b32_e32 v4, s29
	v_add_co_u32_e32 v5, vcc, s28, v2
	s_add_i32 s25, s33, -2
	s_ashr_i32 s15, s14, 31
	s_ashr_i32 s35, s34, 31
	s_lshl_b64 s[4:5], s[22:23], 3
	s_lshl_b32 s10, s39, 6
	v_addc_co_u32_e32 v4, vcc, v4, v3, vcc
	s_lshl_b64 s[12:13], s[2:3], 5
	s_lshl_b64 s[8:9], s[22:23], 4
	v_add_co_u32_e32 v34, vcc, v16, v5
	s_add_u32 s11, s8, s28
	v_addc_co_u32_e32 v29, vcc, v17, v4, vcc
	s_addc_u32 s23, s9, s29
	v_mov_b32_e32 v4, s23
	v_add_co_u32_e32 v5, vcc, s11, v2
	v_addc_co_u32_e32 v4, vcc, v4, v3, vcc
	v_add_co_u32_e32 v36, vcc, v16, v5
	s_add_u32 s31, s4, s28
	v_addc_co_u32_e32 v31, vcc, v17, v4, vcc
	s_addc_u32 s36, s5, s29
	v_mov_b32_e32 v4, s36
	v_add_co_u32_e32 v5, vcc, s31, v2
	v_addc_co_u32_e32 v4, vcc, v4, v3, vcc
	s_lshl_b64 s[18:19], s[14:15], 3
	v_add_co_u32_e32 v38, vcc, v16, v5
	s_add_u32 s14, s28, s18
	v_addc_co_u32_e32 v35, vcc, v17, v4, vcc
	s_addc_u32 s15, s29, s19
	v_mov_b32_e32 v4, s15
	v_add_co_u32_e32 v5, vcc, s14, v2
	v_addc_co_u32_e32 v4, vcc, v4, v3, vcc
	s_lshl_b64 s[14:15], s[34:35], 3
	;; [unrolled: 8-line block ×3, first 2 shown]
	v_add_co_u32_e32 v42, vcc, v16, v5
	s_add_u32 s37, s28, s34
	v_addc_co_u32_e32 v39, vcc, v17, v4, vcc
	s_addc_u32 s39, s29, s35
	v_mov_b32_e32 v4, s39
	v_add_co_u32_e32 v5, vcc, s37, v2
	v_addc_co_u32_e32 v4, vcc, v4, v3, vcc
	v_add_co_u32_e32 v44, vcc, v16, v5
	s_add_u32 s31, s31, s34
	v_addc_co_u32_e32 v41, vcc, v17, v4, vcc
	s_addc_u32 s36, s36, s35
	v_mov_b32_e32 v4, s36
	v_add_co_u32_e32 v5, vcc, s31, v2
	v_addc_co_u32_e32 v4, vcc, v4, v3, vcc
	;; [unrolled: 7-line block ×5, first 2 shown]
	s_lshl_b64 s[34:35], s[2:3], 4
	v_add_co_u32_e32 v52, vcc, v16, v5
	s_add_u32 s3, s34, s28
	v_addc_co_u32_e32 v49, vcc, v17, v4, vcc
	s_addc_u32 s28, s35, s29
	v_mov_b32_e32 v4, s28
	v_add_co_u32_e32 v5, vcc, s3, v2
	v_addc_co_u32_e32 v4, vcc, v4, v3, vcc
	v_add_co_u32_e32 v54, vcc, v16, v5
	s_add_u32 s29, s3, s4
	v_addc_co_u32_e32 v51, vcc, v17, v4, vcc
	s_addc_u32 s31, s28, s5
	v_mov_b32_e32 v4, s31
	v_add_co_u32_e32 v5, vcc, s29, v2
	s_add_u32 s29, s3, s18
	v_addc_co_u32_e32 v4, vcc, v4, v3, vcc
	s_addc_u32 s31, s28, s19
	v_mov_b32_e32 v6, s31
	;; [unrolled: 5-line block ×4, first 2 shown]
	v_add_co_u32_e32 v11, vcc, s3, v2
	v_addc_co_u32_e32 v10, vcc, v10, v3, vcc
	v_mov_b32_e32 v2, s27
	v_add_co_u32_e32 v0, vcc, s26, v0
	v_addc_co_u32_e32 v1, vcc, v2, v1, vcc
	v_lshlrev_b64 v[0:1], 3, v[0:1]
	s_mul_i32 s11, s22, 0x180
	s_mul_hi_i32 s22, s2, 24
	v_mad_i64_i32 v[2:3], s[2:3], s2, 24, v[0:1]
	v_mov_b32_e32 v12, s5
	v_add_co_u32_e32 v13, vcc, s4, v2
	v_addc_co_u32_e32 v12, vcc, v3, v12, vcc
	v_mov_b32_e32 v14, s19
	v_add_co_u32_e32 v15, vcc, s18, v2
	s_add_u32 s2, s11, s8
	v_addc_co_u32_e32 v14, vcc, v3, v14, vcc
	s_addc_u32 s3, s22, s9
	v_mov_b32_e32 v18, s3
	v_add_co_u32_e32 v0, vcc, s2, v0
	v_addc_co_u32_e32 v1, vcc, v18, v1, vcc
	v_mov_b32_e32 v18, s15
	v_add_co_u32_e32 v19, vcc, s14, v2
	v_addc_co_u32_e32 v18, vcc, v3, v18, vcc
	v_add_co_u32_e32 v56, vcc, v16, v2
	v_addc_co_u32_e32 v53, vcc, v17, v3, vcc
	;; [unrolled: 2-line block ×8, first 2 shown]
	v_add_co_u32_e32 v70, vcc, v16, v0
	v_and_b32_e32 v2, 48, v30
	v_addc_co_u32_e32 v67, vcc, v17, v1, vcc
	s_movk_i32 s4, 0x218
	v_and_b32_e32 v1, 15, v30
	v_lshlrev_b32_e32 v3, 3, v2
	v_lshrrev_b32_e32 v0, 4, v22
	v_mad_u32_u24 v137, v1, s4, v3
	v_or_b32_e32 v3, 0x78, v73
	v_mad_u32_u24 v138, v1, s4, v3
	v_lshlrev_b32_e32 v3, 5, v0
	v_add_co_u32_e32 v72, vcc, v16, v19
	v_mad_u32_u24 v139, v1, s4, v3
	v_mov_b32_e32 v3, 0x2180
	s_movk_i32 s4, 0x860
	v_mul_i32_i24_e32 v0, 0xffffffe8, v0
	v_add_u32_e32 v2, s24, v2
	v_addc_co_u32_e32 v69, vcc, v17, v18, vcc
	v_cmp_gt_u32_e64 s[2:3], 64, v22
	v_lshl_add_u32 v140, v71, 5, v3
	v_add3_u32 v74, v2, v1, 64
	s_mov_b32 s14, 0
	v_add_u32_e32 v141, v139, v0
	v_add_u32_e32 v142, 0x2180, v73
	;; [unrolled: 1-line block ×3, first 2 shown]
	v_or_b32_e32 v144, 1, v119
	v_or_b32_e32 v145, 2, v119
	;; [unrolled: 1-line block ×3, first 2 shown]
	v_mad_u32_u24 v147, v71, s4, v73
	v_add_u32_e32 v148, 16, v119
	v_add_u32_e32 v149, 17, v119
	v_add_u32_e32 v150, 18, v119
	v_add_u32_e32 v151, 19, v119
	v_add_u32_e32 v152, 32, v119
	v_add_u32_e32 v153, 33, v119
	v_add_u32_e32 v154, 34, v119
	v_add_u32_e32 v155, 35, v119
	v_add_u32_e32 v156, 48, v119
	v_add_u32_e32 v157, 49, v119
	v_add_u32_e32 v158, 50, v119
	v_add_u32_e32 v159, 51, v119
	v_mov_b32_e32 v76, 0
	s_branch .LBB2_123
.LBB2_122:                              ;   in Loop: Header=BB2_123 Depth=1
	s_or_b64 exec, exec, s[4:5]
	v_mul_f32_e32 v0, v79, v87
	v_fma_f32 v0, v78, v86, -v0
	v_mul_f32_e32 v2, v81, v89
	v_add_f32_e32 v0, v32, v0
	v_fma_f32 v2, v80, v88, -v2
	v_add_f32_e32 v0, v0, v2
	v_mul_f32_e32 v2, v83, v91
	v_fma_f32 v2, v82, v90, -v2
	v_mul_f32_e32 v1, v78, v87
	v_add_f32_e32 v0, v0, v2
	v_mul_f32_e32 v2, v85, v93
	v_mul_f32_e32 v3, v80, v89
	v_fma_f32 v2, v84, v92, -v2
	v_fmac_f32_e32 v1, v79, v86
	v_mul_f32_e32 v4, v82, v91
	v_add_f32_e32 v0, v0, v2
	v_add_f32_e32 v1, v33, v1
	v_fmac_f32_e32 v3, v81, v88
	v_mul_f32_e32 v2, v95, v103
	v_mul_f32_e32 v5, v84, v93
	v_add_f32_e32 v1, v1, v3
	v_fmac_f32_e32 v4, v83, v90
	v_fma_f32 v2, v94, v102, -v2
	v_add_f32_e32 v1, v1, v4
	v_fmac_f32_e32 v5, v85, v92
	v_mul_f32_e32 v6, v94, v103
	v_add_f32_e32 v0, v0, v2
	v_mul_f32_e32 v2, v97, v105
	v_add_f32_e32 v1, v1, v5
	v_fma_f32 v2, v96, v104, -v2
	v_mul_f32_e32 v7, v96, v105
	v_fmac_f32_e32 v6, v95, v102
	v_add_f32_e32 v0, v0, v2
	v_mul_f32_e32 v2, v99, v107
	v_mul_f32_e32 v3, v98, v107
	v_add_f32_e32 v1, v1, v6
	v_fmac_f32_e32 v7, v97, v104
	v_fma_f32 v2, v98, v106, -v2
	v_mul_f32_e32 v4, v101, v109
	v_mul_f32_e32 v5, v100, v109
	v_add_f32_e32 v1, v1, v7
	v_fmac_f32_e32 v3, v99, v106
	v_fma_f32 v4, v100, v108, -v4
	v_pk_add_f32 v[0:1], v[0:1], v[2:3]
	v_fmac_f32_e32 v5, v101, v108
	v_pk_mul_f32 v[2:3], v[110:111], v[120:121] op_sel:[1,0]
	v_pk_add_f32 v[0:1], v[0:1], v[4:5]
	v_pk_fma_f32 v[4:5], v[110:111], v[120:121], v[2:3] op_sel:[0,0,1] op_sel_hi:[1,1,0] neg_lo:[0,0,1] neg_hi:[0,0,1]
	v_pk_fma_f32 v[2:3], v[110:111], v[120:121], v[2:3] op_sel:[0,0,1] op_sel_hi:[0,1,0]
	v_mov_b32_e32 v5, v3
	v_pk_mul_f32 v[2:3], v[112:113], v[8:9] op_sel:[1,0]
	v_pk_add_f32 v[0:1], v[0:1], v[4:5]
	v_pk_fma_f32 v[4:5], v[112:113], v[8:9], v[2:3] op_sel:[0,0,1] op_sel_hi:[1,1,0] neg_lo:[0,0,1] neg_hi:[0,0,1]
	v_pk_fma_f32 v[2:3], v[112:113], v[8:9], v[2:3] op_sel:[0,0,1] op_sel_hi:[0,1,0]
	v_mov_b32_e32 v5, v3
	;; [unrolled: 5-line block ×3, first 2 shown]
	v_pk_mul_f32 v[2:3], v[118:119], v[122:123] op_sel_hi:[0,1]
	v_pk_add_f32 v[0:1], v[0:1], v[4:5]
	v_pk_fma_f32 v[4:5], v[116:117], v[122:123], v[2:3] op_sel:[0,0,1] op_sel_hi:[1,1,0] neg_lo:[0,0,1] neg_hi:[0,0,1]
	v_pk_fma_f32 v[2:3], v[116:117], v[122:123], v[2:3] op_sel:[0,0,1] op_sel_hi:[0,1,0]
	v_mov_b32_e32 v5, v3
	v_pk_mul_f32 v[2:3], v[124:125], v[16:17] op_sel:[1,0]
	v_pk_add_f32 v[0:1], v[0:1], v[4:5]
	v_pk_fma_f32 v[4:5], v[124:125], v[16:17], v[2:3] op_sel:[0,0,1] op_sel_hi:[1,1,0] neg_lo:[0,0,1] neg_hi:[0,0,1]
	v_pk_fma_f32 v[2:3], v[124:125], v[16:17], v[2:3] op_sel:[0,0,1] op_sel_hi:[0,1,0]
	v_mov_b32_e32 v5, v3
	v_pk_mul_f32 v[2:3], v[126:127], v[18:19] op_sel:[1,0]
	v_pk_fma_f32 v[6:7], v[126:127], v[18:19], v[2:3] op_sel:[0,0,1] op_sel_hi:[1,1,0] neg_lo:[0,0,1] neg_hi:[0,0,1]
	v_pk_fma_f32 v[2:3], v[126:127], v[18:19], v[2:3] op_sel:[0,0,1] op_sel_hi:[0,1,0]
	v_mov_b32_e32 v7, v3
	v_pk_mul_f32 v[2:3], v[128:129], v[12:13] op_sel:[1,0]
	v_pk_fma_f32 v[8:9], v[128:129], v[12:13], v[2:3] op_sel:[0,0,1] op_sel_hi:[1,1,0] neg_lo:[0,0,1] neg_hi:[0,0,1]
	v_pk_fma_f32 v[2:3], v[128:129], v[12:13], v[2:3] op_sel:[0,0,1] op_sel_hi:[0,1,0]
	v_mov_b32_e32 v9, v3
	v_pk_mul_f32 v[2:3], v[132:133], v[14:15] op_sel_hi:[0,1]
	v_pk_add_f32 v[0:1], v[0:1], v[4:5]
	v_pk_fma_f32 v[10:11], v[130:131], v[14:15], v[2:3] op_sel:[0,0,1] op_sel_hi:[1,1,0] neg_lo:[0,0,1] neg_hi:[0,0,1]
	v_pk_fma_f32 v[2:3], v[130:131], v[14:15], v[2:3] op_sel:[0,0,1] op_sel_hi:[0,1,0]
	v_pk_add_f32 v[0:1], v[0:1], v[6:7]
	v_mov_b32_e32 v11, v3
	v_pk_add_f32 v[0:1], v[0:1], v[8:9]
	v_pk_add_f32 v[32:33], v[0:1], v[10:11]
	v_mov_b32_e32 v0, s13
	v_add_co_u32_e32 v34, vcc, s12, v34
	v_addc_co_u32_e32 v29, vcc, v29, v0, vcc
	v_add_co_u32_e32 v36, vcc, s12, v36
	v_addc_co_u32_e32 v31, vcc, v31, v0, vcc
	v_add_co_u32_e32 v38, vcc, s12, v38
	v_addc_co_u32_e32 v35, vcc, v35, v0, vcc
	v_add_co_u32_e32 v40, vcc, s12, v40
	v_addc_co_u32_e32 v37, vcc, v37, v0, vcc
	v_add_co_u32_e32 v42, vcc, s12, v42
	v_addc_co_u32_e32 v39, vcc, v39, v0, vcc
	v_add_co_u32_e32 v44, vcc, s12, v44
	v_addc_co_u32_e32 v41, vcc, v41, v0, vcc
	v_add_co_u32_e32 v46, vcc, s12, v46
	v_addc_co_u32_e32 v43, vcc, v43, v0, vcc
	v_add_co_u32_e32 v48, vcc, s12, v48
	v_addc_co_u32_e32 v45, vcc, v45, v0, vcc
	v_add_co_u32_e32 v50, vcc, s12, v50
	v_addc_co_u32_e32 v47, vcc, v47, v0, vcc
	v_add_co_u32_e32 v52, vcc, s12, v52
	v_addc_co_u32_e32 v49, vcc, v49, v0, vcc
	v_add_co_u32_e32 v54, vcc, s12, v54
	v_addc_co_u32_e32 v51, vcc, v51, v0, vcc
	v_add_co_u32_e32 v58, vcc, s12, v58
	v_addc_co_u32_e32 v55, vcc, v55, v0, vcc
	v_add_co_u32_e32 v60, vcc, s12, v60
	v_addc_co_u32_e32 v57, vcc, v57, v0, vcc
	v_add_co_u32_e32 v62, vcc, s12, v62
	v_addc_co_u32_e32 v59, vcc, v59, v0, vcc
	v_add_co_u32_e32 v64, vcc, s12, v64
	v_addc_co_u32_e32 v61, vcc, v61, v0, vcc
	v_add_co_u32_e32 v56, vcc, s12, v56
	v_addc_co_u32_e32 v53, vcc, v53, v0, vcc
	v_add_co_u32_e32 v66, vcc, s12, v66
	v_addc_co_u32_e32 v63, vcc, v63, v0, vcc
	v_add_co_u32_e32 v68, vcc, s12, v68
	v_addc_co_u32_e32 v65, vcc, v65, v0, vcc
	v_add_co_u32_e32 v70, vcc, s12, v70
	v_addc_co_u32_e32 v67, vcc, v67, v0, vcc
	s_add_i32 s4, s6, 1
	s_add_i32 s10, s10, s30
	s_add_i32 s5, s6, 2
	v_add_co_u32_e32 v72, vcc, s12, v72
	v_add_u32_e32 v74, 64, v74
	v_addc_co_u32_e32 v69, vcc, v69, v0, vcc
	s_cmp_ge_u32 s5, s33
	s_mov_b32 s6, s4
	s_barrier
	s_cbranch_scc1 .LBB2_178
.LBB2_123:                              ; =>This Inner Loop Header: Depth=1
	s_cmp_eq_u32 s25, s6
	s_cselect_b32 s24, s38, 0
	s_and_saveexec_b64 s[4:5], s[0:1]
	s_cbranch_execz .LBB2_128
; %bb.124:                              ;   in Loop: Header=BB2_123 Depth=1
	s_cmp_lg_u32 s24, 0
	s_cselect_b64 s[8:9], -1, 0
	v_cmp_le_i32_e32 vcc, s24, v30
	s_and_b64 s[8:9], s[8:9], vcc
	s_and_saveexec_b64 s[18:19], s[8:9]
	s_xor_b64 s[8:9], exec, s[18:19]
	s_cbranch_execz .LBB2_126
; %bb.125:                              ;   in Loop: Header=BB2_123 Depth=1
	v_mov_b32_e32 v77, v76
	ds_write_b64 v142, v[76:77]
.LBB2_126:                              ;   in Loop: Header=BB2_123 Depth=1
	s_andn2_saveexec_b64 s[8:9], s[8:9]
	s_cbranch_execz .LBB2_128
; %bb.127:                              ;   in Loop: Header=BB2_123 Depth=1
	s_ashr_i32 s11, s10, 31
	s_lshl_b64 s[8:9], s[10:11], 3
	v_mov_b32_e32 v1, s9
	v_add_co_u32_e32 v0, vcc, s8, v133
	v_addc_co_u32_e32 v1, vcc, v134, v1, vcc
	global_load_dwordx2 v[0:1], v[0:1], off
	s_waitcnt vmcnt(0)
	ds_write_b64 v142, v[0:1]
.LBB2_128:                              ;   in Loop: Header=BB2_123 Depth=1
	s_or_b64 exec, exec, s[4:5]
	s_cmp_eq_u32 s24, 0
	v_add_co_u32_e32 v0, vcc, v34, v135
	s_cselect_b64 s[18:19], -1, 0
	s_cmp_lg_u32 s24, 0
	v_addc_co_u32_e32 v1, vcc, v29, v136, vcc
	s_cselect_b64 s[8:9], -1, 0
	s_and_b64 vcc, exec, s[8:9]
	s_waitcnt lgkmcnt(0)
	s_barrier
	s_cbranch_vccz .LBB2_136
; %bb.129:                              ;   in Loop: Header=BB2_123 Depth=1
	s_mov_b32 s15, s14
	v_cmp_gt_i32_e32 vcc, s24, v119
	v_pk_mov_b32 v[78:79], s[14:15], s[14:15] op_sel:[0,1]
	s_and_saveexec_b64 s[4:5], vcc
	s_cbranch_execz .LBB2_131
; %bb.130:                              ;   in Loop: Header=BB2_123 Depth=1
	global_load_dwordx2 v[78:79], v[0:1], off
.LBB2_131:                              ;   in Loop: Header=BB2_123 Depth=1
	s_or_b64 exec, exec, s[4:5]
	v_cmp_gt_i32_e32 vcc, s24, v144
	v_pk_mov_b32 v[80:81], s[14:15], s[14:15] op_sel:[0,1]
	s_and_saveexec_b64 s[4:5], vcc
	s_cbranch_execz .LBB2_133
; %bb.132:                              ;   in Loop: Header=BB2_123 Depth=1
	v_add_co_u32_e32 v2, vcc, v38, v135
	v_addc_co_u32_e32 v3, vcc, v35, v136, vcc
	global_load_dwordx2 v[80:81], v[2:3], off
.LBB2_133:                              ;   in Loop: Header=BB2_123 Depth=1
	s_or_b64 exec, exec, s[4:5]
	s_mov_b32 s15, s14
	v_cmp_gt_i32_e32 vcc, s24, v145
	v_pk_mov_b32 v[82:83], s[14:15], s[14:15] op_sel:[0,1]
	s_and_saveexec_b64 s[4:5], vcc
	s_cbranch_execz .LBB2_135
; %bb.134:                              ;   in Loop: Header=BB2_123 Depth=1
	v_add_co_u32_e32 v2, vcc, v40, v135
	v_addc_co_u32_e32 v3, vcc, v37, v136, vcc
	global_load_dwordx2 v[82:83], v[2:3], off
.LBB2_135:                              ;   in Loop: Header=BB2_123 Depth=1
	s_or_b64 exec, exec, s[4:5]
	v_cmp_gt_i32_e64 s[4:5], s24, v146
	s_mov_b32 s11, 0
	s_branch .LBB2_138
.LBB2_136:                              ;   in Loop: Header=BB2_123 Depth=1
	s_mov_b64 s[4:5], 0
                                        ; implicit-def: $sgpr11
                                        ; implicit-def: $vgpr82_vgpr83
                                        ; implicit-def: $vgpr80_vgpr81
                                        ; implicit-def: $vgpr78_vgpr79
	s_cbranch_execz .LBB2_138
; %bb.137:                              ;   in Loop: Header=BB2_123 Depth=1
	global_load_dwordx2 v[78:79], v[0:1], off
	v_add_co_u32_e32 v0, vcc, v38, v135
	v_addc_co_u32_e32 v1, vcc, v35, v136, vcc
	global_load_dwordx2 v[80:81], v[0:1], off
	v_add_co_u32_e32 v0, vcc, v36, v135
	v_addc_co_u32_e32 v1, vcc, v31, v136, vcc
	global_load_dwordx2 v[82:83], v[0:1], off
	s_or_b64 s[4:5], s[4:5], exec
                                        ; implicit-def: $sgpr11
.LBB2_138:                              ;   in Loop: Header=BB2_123 Depth=1
	v_mov_b32_e32 v84, s11
	v_mov_b32_e32 v85, s11
	s_and_saveexec_b64 s[22:23], s[4:5]
	s_cbranch_execz .LBB2_140
; %bb.139:                              ;   in Loop: Header=BB2_123 Depth=1
	v_add_co_u32_e32 v0, vcc, v42, v135
	v_addc_co_u32_e32 v1, vcc, v39, v136, vcc
	global_load_dwordx2 v[84:85], v[0:1], off
.LBB2_140:                              ;   in Loop: Header=BB2_123 Depth=1
	s_or_b64 exec, exec, s[22:23]
	ds_read_b64 v[0:1], v143
	ds_read_b64 v[86:87], v140
	v_cndmask_b32_e64 v8, 0, 1, s[8:9]
	v_cmp_ne_u32_e64 s[4:5], 1, v8
	s_andn2_b64 vcc, exec, s[8:9]
	s_waitcnt vmcnt(0) lgkmcnt(1)
	v_mul_f32_e32 v2, v79, v1
	v_mul_f32_e32 v3, v79, v0
	v_fmac_f32_e32 v2, v78, v0
	v_fma_f32 v3, v78, v1, -v3
	v_mul_f32_e32 v4, v81, v1
	ds_write_b64 v147, v[2:3]
	v_mul_f32_e32 v2, v81, v0
	v_fmac_f32_e32 v4, v80, v0
	v_fma_f32 v5, v80, v1, -v2
	v_mul_f32_e32 v2, v83, v1
	v_mul_f32_e32 v3, v83, v0
	ds_read_b64 v[88:89], v140 offset:8
	ds_write_b64 v147, v[4:5] offset:536
	v_fmac_f32_e32 v2, v82, v0
	v_fma_f32 v3, v82, v1, -v3
	ds_read_b64 v[90:91], v140 offset:16
	ds_write_b64 v147, v[2:3] offset:1072
	v_mul_f32_e32 v2, v85, v1
	v_fmac_f32_e32 v2, v84, v0
	v_mul_f32_e32 v0, v85, v0
	v_fma_f32 v3, v84, v1, -v0
	ds_read_b64 v[92:93], v140 offset:24
	ds_write_b64 v147, v[2:3] offset:1608
	s_waitcnt lgkmcnt(0)
	s_barrier
	ds_read2_b64 v[4:7], v139 offset1:1
	ds_read2_b64 v[0:3], v139 offset0:2 offset1:3
	v_add_co_u32_e64 v8, s[8:9], v44, v135
	v_addc_co_u32_e64 v9, s[8:9], v41, v136, s[8:9]
	s_waitcnt lgkmcnt(0)
	s_barrier
	s_cbranch_vccnz .LBB2_148
; %bb.141:                              ;   in Loop: Header=BB2_123 Depth=1
	s_mov_b32 s15, s14
	v_cmp_gt_i32_e32 vcc, s24, v148
	v_pk_mov_b32 v[94:95], s[14:15], s[14:15] op_sel:[0,1]
	s_and_saveexec_b64 s[8:9], vcc
	s_cbranch_execz .LBB2_143
; %bb.142:                              ;   in Loop: Header=BB2_123 Depth=1
	global_load_dwordx2 v[94:95], v[8:9], off
.LBB2_143:                              ;   in Loop: Header=BB2_123 Depth=1
	s_or_b64 exec, exec, s[8:9]
	v_cmp_gt_i32_e32 vcc, s24, v149
	v_pk_mov_b32 v[96:97], s[14:15], s[14:15] op_sel:[0,1]
	s_and_saveexec_b64 s[8:9], vcc
	s_cbranch_execz .LBB2_145
; %bb.144:                              ;   in Loop: Header=BB2_123 Depth=1
	v_add_co_u32_e32 v10, vcc, v46, v135
	v_addc_co_u32_e32 v11, vcc, v43, v136, vcc
	global_load_dwordx2 v[96:97], v[10:11], off
.LBB2_145:                              ;   in Loop: Header=BB2_123 Depth=1
	s_or_b64 exec, exec, s[8:9]
	s_mov_b32 s15, s14
	v_cmp_gt_i32_e32 vcc, s24, v150
	v_pk_mov_b32 v[98:99], s[14:15], s[14:15] op_sel:[0,1]
	s_and_saveexec_b64 s[8:9], vcc
	s_cbranch_execz .LBB2_147
; %bb.146:                              ;   in Loop: Header=BB2_123 Depth=1
	v_add_co_u32_e32 v10, vcc, v48, v135
	v_addc_co_u32_e32 v11, vcc, v45, v136, vcc
	global_load_dwordx2 v[98:99], v[10:11], off
.LBB2_147:                              ;   in Loop: Header=BB2_123 Depth=1
	s_or_b64 exec, exec, s[8:9]
	v_cmp_gt_i32_e64 s[8:9], s24, v151
	s_mov_b32 s11, 0
	s_branch .LBB2_150
.LBB2_148:                              ;   in Loop: Header=BB2_123 Depth=1
	s_mov_b64 s[8:9], 0
                                        ; implicit-def: $sgpr11
                                        ; implicit-def: $vgpr98_vgpr99
                                        ; implicit-def: $vgpr96_vgpr97
                                        ; implicit-def: $vgpr94_vgpr95
	s_cbranch_execz .LBB2_150
; %bb.149:                              ;   in Loop: Header=BB2_123 Depth=1
	global_load_dwordx2 v[94:95], v[8:9], off
	v_add_co_u32_e32 v8, vcc, v46, v135
	v_addc_co_u32_e32 v9, vcc, v43, v136, vcc
	global_load_dwordx2 v[96:97], v[8:9], off
	v_add_co_u32_e32 v8, vcc, v50, v135
	v_addc_co_u32_e32 v9, vcc, v47, v136, vcc
	global_load_dwordx2 v[98:99], v[8:9], off
	s_or_b64 s[8:9], s[8:9], exec
                                        ; implicit-def: $sgpr11
.LBB2_150:                              ;   in Loop: Header=BB2_123 Depth=1
	v_mov_b32_e32 v100, s11
	v_mov_b32_e32 v101, s11
	s_and_saveexec_b64 s[22:23], s[8:9]
	s_cbranch_execz .LBB2_152
; %bb.151:                              ;   in Loop: Header=BB2_123 Depth=1
	v_add_co_u32_e32 v8, vcc, v52, v135
	v_addc_co_u32_e32 v9, vcc, v49, v136, vcc
	global_load_dwordx2 v[100:101], v[8:9], off
.LBB2_152:                              ;   in Loop: Header=BB2_123 Depth=1
	s_or_b64 exec, exec, s[22:23]
	ds_read_b64 v[8:9], v143
	ds_read_b64 v[102:103], v140 offset:128
	s_and_b64 vcc, exec, s[4:5]
	s_waitcnt vmcnt(0) lgkmcnt(1)
	v_mul_f32_e32 v10, v95, v9
	v_mul_f32_e32 v11, v95, v8
	v_fmac_f32_e32 v10, v94, v8
	v_fma_f32 v11, v94, v9, -v11
	v_mul_f32_e32 v12, v97, v9
	ds_write_b64 v147, v[10:11]
	v_mul_f32_e32 v10, v97, v8
	v_fmac_f32_e32 v12, v96, v8
	v_fma_f32 v13, v96, v9, -v10
	v_mul_f32_e32 v10, v99, v9
	v_mul_f32_e32 v11, v99, v8
	ds_read_b64 v[104:105], v140 offset:136
	ds_write_b64 v147, v[12:13] offset:536
	v_fmac_f32_e32 v10, v98, v8
	v_fma_f32 v11, v98, v9, -v11
	ds_read_b64 v[106:107], v140 offset:144
	ds_write_b64 v147, v[10:11] offset:1072
	v_mul_f32_e32 v10, v101, v9
	v_fmac_f32_e32 v10, v100, v8
	v_mul_f32_e32 v8, v101, v8
	v_fma_f32 v11, v100, v9, -v8
	ds_read_b64 v[108:109], v140 offset:152
	ds_write_b64 v147, v[10:11] offset:1608
	s_waitcnt lgkmcnt(0)
	s_barrier
	ds_read2_b64 v[16:19], v139 offset1:1
	ds_read2_b64 v[12:15], v139 offset0:2 offset1:3
	v_add_co_u32_e64 v8, s[8:9], v54, v135
	v_addc_co_u32_e64 v9, s[8:9], v51, v136, s[8:9]
	s_waitcnt lgkmcnt(0)
	s_barrier
	s_cbranch_vccnz .LBB2_160
; %bb.153:                              ;   in Loop: Header=BB2_123 Depth=1
	s_mov_b32 s15, s14
	v_cmp_gt_i32_e32 vcc, s24, v152
	v_pk_mov_b32 v[110:111], s[14:15], s[14:15] op_sel:[0,1]
	s_and_saveexec_b64 s[8:9], vcc
	s_cbranch_execz .LBB2_155
; %bb.154:                              ;   in Loop: Header=BB2_123 Depth=1
	global_load_dwordx2 v[110:111], v[8:9], off
.LBB2_155:                              ;   in Loop: Header=BB2_123 Depth=1
	s_or_b64 exec, exec, s[8:9]
	v_cmp_gt_i32_e32 vcc, s24, v153
	v_pk_mov_b32 v[112:113], s[14:15], s[14:15] op_sel:[0,1]
	s_and_saveexec_b64 s[8:9], vcc
	s_cbranch_execz .LBB2_157
; %bb.156:                              ;   in Loop: Header=BB2_123 Depth=1
	v_add_co_u32_e32 v10, vcc, v58, v135
	v_addc_co_u32_e32 v11, vcc, v55, v136, vcc
	global_load_dwordx2 v[112:113], v[10:11], off
.LBB2_157:                              ;   in Loop: Header=BB2_123 Depth=1
	s_or_b64 exec, exec, s[8:9]
	s_mov_b32 s15, s14
	v_cmp_gt_i32_e32 vcc, s24, v154
	v_pk_mov_b32 v[114:115], s[14:15], s[14:15] op_sel:[0,1]
	s_and_saveexec_b64 s[8:9], vcc
	s_cbranch_execz .LBB2_159
; %bb.158:                              ;   in Loop: Header=BB2_123 Depth=1
	v_add_co_u32_e32 v10, vcc, v60, v135
	v_addc_co_u32_e32 v11, vcc, v57, v136, vcc
	global_load_dwordx2 v[114:115], v[10:11], off
.LBB2_159:                              ;   in Loop: Header=BB2_123 Depth=1
	s_or_b64 exec, exec, s[8:9]
	v_cmp_gt_i32_e64 s[8:9], s24, v155
	s_mov_b32 s11, 0
	s_branch .LBB2_162
.LBB2_160:                              ;   in Loop: Header=BB2_123 Depth=1
	s_mov_b64 s[8:9], 0
                                        ; implicit-def: $sgpr11
                                        ; implicit-def: $vgpr114_vgpr115
                                        ; implicit-def: $vgpr112_vgpr113
                                        ; implicit-def: $vgpr110_vgpr111
	s_cbranch_execz .LBB2_162
; %bb.161:                              ;   in Loop: Header=BB2_123 Depth=1
	global_load_dwordx2 v[110:111], v[8:9], off
	v_add_co_u32_e32 v8, vcc, v58, v135
	v_addc_co_u32_e32 v9, vcc, v55, v136, vcc
	global_load_dwordx2 v[112:113], v[8:9], off
	v_add_co_u32_e32 v8, vcc, v62, v135
	v_addc_co_u32_e32 v9, vcc, v59, v136, vcc
	global_load_dwordx2 v[114:115], v[8:9], off
	s_or_b64 s[8:9], s[8:9], exec
                                        ; implicit-def: $sgpr11
.LBB2_162:                              ;   in Loop: Header=BB2_123 Depth=1
	v_mov_b32_e32 v116, s11
	v_mov_b32_e32 v118, s11
	s_and_saveexec_b64 s[22:23], s[8:9]
	s_cbranch_execz .LBB2_164
; %bb.163:                              ;   in Loop: Header=BB2_123 Depth=1
	v_add_co_u32_e32 v8, vcc, v64, v135
	v_addc_co_u32_e32 v9, vcc, v61, v136, vcc
	global_load_dwordx2 v[116:117], v[8:9], off
	s_waitcnt vmcnt(0)
	v_mov_b32_e32 v118, v117
.LBB2_164:                              ;   in Loop: Header=BB2_123 Depth=1
	s_or_b64 exec, exec, s[22:23]
	ds_read_b64 v[8:9], v143
	ds_read_b64 v[120:121], v140 offset:256
	s_and_b64 vcc, exec, s[4:5]
	v_add_co_u32_e64 v130, s[4:5], v56, v135
	s_waitcnt vmcnt(0) lgkmcnt(1)
	v_mul_f32_e32 v10, v111, v9
	v_mul_f32_e32 v11, v111, v8
	;; [unrolled: 1-line block ×4, first 2 shown]
	v_fmac_f32_e32 v10, v110, v8
	v_fma_f32 v11, v110, v9, -v11
	v_fmac_f32_e32 v20, v112, v8
	v_fma_f32 v21, v112, v9, -v21
	ds_write2_b64 v147, v[10:11], v[20:21] offset1:67
	v_mul_f32_e32 v10, v115, v9
	v_mul_f32_e32 v20, v118, v9
	v_fmac_f32_e32 v10, v114, v8
	v_mul_f32_e32 v11, v115, v8
	v_fmac_f32_e32 v20, v116, v8
	v_mul_f32_e32 v8, v118, v8
	v_fma_f32 v11, v114, v9, -v11
	v_fma_f32 v21, v116, v9, -v8
	ds_write2_b64 v147, v[10:11], v[20:21] offset0:134 offset1:201
	ds_read2_b64 v[8:11], v140 offset0:33 offset1:34
	ds_read_b64 v[122:123], v140 offset:280
	s_waitcnt lgkmcnt(0)
	s_barrier
	ds_read2_b64 v[24:27], v139 offset1:1
	ds_read2_b64 v[20:23], v139 offset0:2 offset1:3
	v_addc_co_u32_e64 v131, s[4:5], v53, v136, s[4:5]
	s_waitcnt lgkmcnt(0)
	s_barrier
	s_cbranch_vccnz .LBB2_172
; %bb.165:                              ;   in Loop: Header=BB2_123 Depth=1
	s_mov_b32 s15, s14
	v_cmp_gt_i32_e32 vcc, s24, v156
	v_pk_mov_b32 v[124:125], s[14:15], s[14:15] op_sel:[0,1]
	s_and_saveexec_b64 s[4:5], vcc
	s_cbranch_execz .LBB2_167
; %bb.166:                              ;   in Loop: Header=BB2_123 Depth=1
	global_load_dwordx2 v[124:125], v[130:131], off
.LBB2_167:                              ;   in Loop: Header=BB2_123 Depth=1
	s_or_b64 exec, exec, s[4:5]
	v_cmp_gt_i32_e32 vcc, s24, v157
	v_pk_mov_b32 v[126:127], s[14:15], s[14:15] op_sel:[0,1]
	s_and_saveexec_b64 s[4:5], vcc
	s_cbranch_execz .LBB2_169
; %bb.168:                              ;   in Loop: Header=BB2_123 Depth=1
	v_add_co_u32_e32 v126, vcc, v66, v135
	v_addc_co_u32_e32 v127, vcc, v63, v136, vcc
	global_load_dwordx2 v[126:127], v[126:127], off
.LBB2_169:                              ;   in Loop: Header=BB2_123 Depth=1
	s_or_b64 exec, exec, s[4:5]
	s_mov_b32 s15, s14
	v_cmp_gt_i32_e32 vcc, s24, v158
	v_pk_mov_b32 v[128:129], s[14:15], s[14:15] op_sel:[0,1]
	s_and_saveexec_b64 s[4:5], vcc
	s_cbranch_execz .LBB2_171
; %bb.170:                              ;   in Loop: Header=BB2_123 Depth=1
	v_add_co_u32_e32 v128, vcc, v68, v135
	v_addc_co_u32_e32 v129, vcc, v65, v136, vcc
	global_load_dwordx2 v[128:129], v[128:129], off
.LBB2_171:                              ;   in Loop: Header=BB2_123 Depth=1
	s_or_b64 exec, exec, s[4:5]
	v_cmp_gt_i32_e64 s[4:5], s24, v159
	s_mov_b32 s11, 0
	s_branch .LBB2_174
.LBB2_172:                              ;   in Loop: Header=BB2_123 Depth=1
	s_mov_b64 s[4:5], 0
                                        ; implicit-def: $sgpr11
                                        ; implicit-def: $vgpr128_vgpr129
                                        ; implicit-def: $vgpr126_vgpr127
                                        ; implicit-def: $vgpr124_vgpr125
	s_cbranch_execz .LBB2_174
; %bb.173:                              ;   in Loop: Header=BB2_123 Depth=1
	s_waitcnt vmcnt(0)
	v_add_co_u32_e32 v126, vcc, v66, v135
	v_addc_co_u32_e32 v127, vcc, v63, v136, vcc
	v_add_co_u32_e32 v128, vcc, v70, v135
	v_addc_co_u32_e32 v129, vcc, v67, v136, vcc
	global_load_dwordx2 v[124:125], v[130:131], off
	s_or_b64 s[4:5], s[4:5], exec
	global_load_dwordx2 v[126:127], v[126:127], off
                                        ; implicit-def: $sgpr11
	s_nop 0
	global_load_dwordx2 v[128:129], v[128:129], off
.LBB2_174:                              ;   in Loop: Header=BB2_123 Depth=1
	v_mov_b32_e32 v130, s11
	v_mov_b32_e32 v132, s11
	s_and_saveexec_b64 s[8:9], s[4:5]
	s_cbranch_execz .LBB2_176
; %bb.175:                              ;   in Loop: Header=BB2_123 Depth=1
	v_add_co_u32_e32 v130, vcc, v72, v135
	v_addc_co_u32_e32 v131, vcc, v69, v136, vcc
	global_load_dwordx2 v[130:131], v[130:131], off
	s_waitcnt vmcnt(0)
	v_mov_b32_e32 v132, v131
.LBB2_176:                              ;   in Loop: Header=BB2_123 Depth=1
	s_or_b64 exec, exec, s[8:9]
	v_pk_add_f32 v[24:25], v[24:25], 0 op_sel_hi:[1,0]
	v_pk_add_f32 v[24:25], v[24:25], v[26:27]
	v_pk_add_f32 v[20:21], v[24:25], v[20:21]
	;; [unrolled: 1-line block ×3, first 2 shown]
	ds_read_b64 v[20:21], v143
	v_pk_add_f32 v[16:17], v[16:17], 0 op_sel_hi:[1,0]
	v_pk_add_f32 v[16:17], v[16:17], v[18:19]
	v_pk_add_f32 v[12:13], v[16:17], v[12:13]
	;; [unrolled: 1-line block ×3, first 2 shown]
	s_waitcnt vmcnt(0) lgkmcnt(0)
	v_mul_f32_e32 v12, v125, v21
	v_mul_f32_e32 v13, v125, v20
	;; [unrolled: 1-line block ×4, first 2 shown]
	v_fmac_f32_e32 v12, v124, v20
	v_fma_f32 v13, v124, v21, -v13
	v_fmac_f32_e32 v14, v126, v20
	v_fma_f32 v15, v126, v21, -v15
	ds_write2_b64 v147, v[12:13], v[14:15] offset1:67
	v_mul_f32_e32 v12, v129, v21
	v_mul_f32_e32 v13, v129, v20
	;; [unrolled: 1-line block ×4, first 2 shown]
	v_fmac_f32_e32 v12, v128, v20
	v_fma_f32 v13, v128, v21, -v13
	v_fmac_f32_e32 v14, v130, v20
	v_fma_f32 v15, v130, v21, -v15
	ds_write2_b64 v147, v[12:13], v[14:15] offset0:134 offset1:201
	ds_read_b128 v[16:19], v140 offset:384
	ds_read_b128 v[12:15], v140 offset:400
	s_waitcnt lgkmcnt(0)
	s_barrier
	ds_read2_b64 v[20:23], v139 offset1:1
	v_pk_add_f32 v[4:5], v[4:5], 0 op_sel_hi:[1,0]
	v_pk_add_f32 v[160:161], v[4:5], v[6:7]
	ds_read2_b64 v[4:7], v139 offset0:2 offset1:3
	v_pk_add_f32 v[0:1], v[160:161], v[0:1]
	v_pk_add_f32 v[0:1], v[0:1], v[2:3]
	s_waitcnt lgkmcnt(1)
	v_pk_add_f32 v[2:3], v[20:21], 0 op_sel_hi:[1,0]
	v_cmp_gt_i32_e32 vcc, s24, v30
	v_pk_add_f32 v[2:3], v[2:3], v[22:23]
	s_or_b64 s[4:5], s[18:19], vcc
	s_waitcnt lgkmcnt(0)
	v_pk_add_f32 v[2:3], v[2:3], v[4:5]
	s_and_b64 s[8:9], s[2:3], s[4:5]
	v_pk_add_f32 v[2:3], v[2:3], v[6:7]
	s_barrier
	ds_write2_b64 v141, v[0:1], v[26:27] offset1:16
	ds_write2_b64 v141, v[24:25], v[2:3] offset0:32 offset1:48
	s_waitcnt lgkmcnt(0)
	s_barrier
	s_and_saveexec_b64 s[4:5], s[8:9]
	s_cbranch_execz .LBB2_122
; %bb.177:                              ;   in Loop: Header=BB2_123 Depth=1
	ds_read_b64 v[20:21], v137
	ds_read2_b64 v[0:3], v137 offset0:1 offset1:2
	ds_read2_b64 v[4:7], v137 offset0:3 offset1:4
	v_ashrrev_i32_e32 v75, 31, v74
	v_lshlrev_b64 v[22:23], 3, v[74:75]
	v_mov_b32_e32 v25, s17
	s_waitcnt lgkmcnt(1)
	v_add_f32_e32 v0, v0, v20
	v_add_f32_e32 v1, v1, v21
	;; [unrolled: 1-line block ×4, first 2 shown]
	ds_read2_b64 v[0:3], v137 offset0:5 offset1:6
	s_waitcnt lgkmcnt(1)
	v_add_f32_e32 v4, v20, v4
	v_add_f32_e32 v5, v21, v5
	;; [unrolled: 1-line block ×4, first 2 shown]
	ds_read2_b64 v[4:7], v137 offset0:7 offset1:8
	v_add_co_u32_e32 v24, vcc, s7, v22
	v_addc_co_u32_e32 v25, vcc, v25, v23, vcc
	s_waitcnt lgkmcnt(1)
	v_pk_add_f32 v[0:1], v[20:21], v[0:1]
	ds_read2_b64 v[20:23], v137 offset0:9 offset1:10
	v_pk_add_f32 v[0:1], v[0:1], v[2:3]
	s_waitcnt lgkmcnt(1)
	v_pk_add_f32 v[0:1], v[0:1], v[4:5]
	v_pk_add_f32 v[4:5], v[0:1], v[6:7]
	ds_read2_b64 v[0:3], v137 offset0:11 offset1:12
	s_waitcnt lgkmcnt(1)
	v_pk_add_f32 v[20:21], v[4:5], v[20:21]
	ds_read2_b64 v[4:7], v137 offset0:13 offset1:14
	v_pk_add_f32 v[20:21], v[20:21], v[22:23]
	ds_read_b64 v[22:23], v138
	s_waitcnt lgkmcnt(2)
	v_pk_add_f32 v[0:1], v[20:21], v[0:1]
	v_pk_add_f32 v[0:1], v[0:1], v[2:3]
	s_waitcnt lgkmcnt(1)
	v_pk_add_f32 v[0:1], v[0:1], v[4:5]
	v_pk_add_f32 v[0:1], v[0:1], v[6:7]
	s_waitcnt lgkmcnt(0)
	v_pk_add_f32 v[0:1], v[0:1], v[22:23]
	global_store_dwordx2 v[24:25], v[0:1], off
	s_branch .LBB2_122
.LBB2_178:
	s_movk_i32 s2, 0x218
	v_cmp_gt_i32_e32 vcc, s16, v30
	v_mad_u32_u24 v0, v71, s2, v73
	s_or_b64 s[2:3], s[20:21], vcc
	s_and_b64 s[0:1], s[0:1], s[2:3]
	ds_write_b64 v0, v[32:33]
	s_waitcnt lgkmcnt(0)
	s_barrier
	s_and_saveexec_b64 s[2:3], s[0:1]
	s_cbranch_execz .LBB2_180
; %bb.179:
	ds_read2_b64 v[0:3], v73 offset1:67
	ds_read2_b64 v[4:7], v73 offset0:134 offset1:201
	v_ashrrev_i32_e32 v29, 31, v28
	v_lshlrev_b64 v[8:9], 3, v[28:29]
	v_mov_b32_e32 v10, s17
	s_waitcnt lgkmcnt(1)
	v_pk_add_f32 v[0:1], v[2:3], v[0:1]
	v_add_co_u32_e32 v8, vcc, s7, v8
	s_waitcnt lgkmcnt(0)
	v_pk_add_f32 v[0:1], v[0:1], v[4:5]
	v_addc_co_u32_e32 v9, vcc, v10, v9, vcc
	v_pk_add_f32 v[0:1], v[0:1], v[6:7]
	global_store_dwordx2 v[8:9], v[0:1], off
.LBB2_180:
	s_endpgm
	.section	.rodata,"a",@progbits
	.p2align	6, 0x0
	.amdhsa_kernel _ZL26rocblas_hemvn_kernel_upperILb1ELi64ELi4ELi33ELi32ELi16EiPK19rocblas_complex_numIfES3_PS1_EviT6_lT7_lT5_lS6_lS7_lS5_lT8_i
		.amdhsa_group_segment_fixed_size 9600
		.amdhsa_private_segment_fixed_size 0
		.amdhsa_kernarg_size 376
		.amdhsa_user_sgpr_count 6
		.amdhsa_user_sgpr_private_segment_buffer 1
		.amdhsa_user_sgpr_dispatch_ptr 0
		.amdhsa_user_sgpr_queue_ptr 0
		.amdhsa_user_sgpr_kernarg_segment_ptr 1
		.amdhsa_user_sgpr_dispatch_id 0
		.amdhsa_user_sgpr_flat_scratch_init 0
		.amdhsa_user_sgpr_kernarg_preload_length 0
		.amdhsa_user_sgpr_kernarg_preload_offset 0
		.amdhsa_user_sgpr_private_segment_size 0
		.amdhsa_uses_dynamic_stack 0
		.amdhsa_system_sgpr_private_segment_wavefront_offset 0
		.amdhsa_system_sgpr_workgroup_id_x 1
		.amdhsa_system_sgpr_workgroup_id_y 0
		.amdhsa_system_sgpr_workgroup_id_z 1
		.amdhsa_system_sgpr_workgroup_info 0
		.amdhsa_system_vgpr_workitem_id 1
		.amdhsa_next_free_vgpr 162
		.amdhsa_next_free_sgpr 44
		.amdhsa_accum_offset 164
		.amdhsa_reserve_vcc 1
		.amdhsa_reserve_flat_scratch 0
		.amdhsa_float_round_mode_32 0
		.amdhsa_float_round_mode_16_64 0
		.amdhsa_float_denorm_mode_32 3
		.amdhsa_float_denorm_mode_16_64 3
		.amdhsa_dx10_clamp 1
		.amdhsa_ieee_mode 1
		.amdhsa_fp16_overflow 0
		.amdhsa_tg_split 0
		.amdhsa_exception_fp_ieee_invalid_op 0
		.amdhsa_exception_fp_denorm_src 0
		.amdhsa_exception_fp_ieee_div_zero 0
		.amdhsa_exception_fp_ieee_overflow 0
		.amdhsa_exception_fp_ieee_underflow 0
		.amdhsa_exception_fp_ieee_inexact 0
		.amdhsa_exception_int_div_zero 0
	.end_amdhsa_kernel
	.section	.text._ZL26rocblas_hemvn_kernel_upperILb1ELi64ELi4ELi33ELi32ELi16EiPK19rocblas_complex_numIfES3_PS1_EviT6_lT7_lT5_lS6_lS7_lS5_lT8_i,"axG",@progbits,_ZL26rocblas_hemvn_kernel_upperILb1ELi64ELi4ELi33ELi32ELi16EiPK19rocblas_complex_numIfES3_PS1_EviT6_lT7_lT5_lS6_lS7_lS5_lT8_i,comdat
.Lfunc_end2:
	.size	_ZL26rocblas_hemvn_kernel_upperILb1ELi64ELi4ELi33ELi32ELi16EiPK19rocblas_complex_numIfES3_PS1_EviT6_lT7_lT5_lS6_lS7_lS5_lT8_i, .Lfunc_end2-_ZL26rocblas_hemvn_kernel_upperILb1ELi64ELi4ELi33ELi32ELi16EiPK19rocblas_complex_numIfES3_PS1_EviT6_lT7_lT5_lS6_lS7_lS5_lT8_i
                                        ; -- End function
	.section	.AMDGPU.csdata,"",@progbits
; Kernel info:
; codeLenInByte = 9164
; NumSgprs: 48
; NumVgprs: 162
; NumAgprs: 0
; TotalNumVgprs: 162
; ScratchSize: 0
; MemoryBound: 1
; FloatMode: 240
; IeeeMode: 1
; LDSByteSize: 9600 bytes/workgroup (compile time only)
; SGPRBlocks: 5
; VGPRBlocks: 20
; NumSGPRsForWavesPerEU: 48
; NumVGPRsForWavesPerEU: 162
; AccumOffset: 164
; Occupancy: 3
; WaveLimiterHint : 1
; COMPUTE_PGM_RSRC2:SCRATCH_EN: 0
; COMPUTE_PGM_RSRC2:USER_SGPR: 6
; COMPUTE_PGM_RSRC2:TRAP_HANDLER: 0
; COMPUTE_PGM_RSRC2:TGID_X_EN: 1
; COMPUTE_PGM_RSRC2:TGID_Y_EN: 0
; COMPUTE_PGM_RSRC2:TGID_Z_EN: 1
; COMPUTE_PGM_RSRC2:TIDIG_COMP_CNT: 1
; COMPUTE_PGM_RSRC3_GFX90A:ACCUM_OFFSET: 40
; COMPUTE_PGM_RSRC3_GFX90A:TG_SPLIT: 0
	.section	.text._ZL36rocblas_hemvn_kernel_upper_block_sumILi64EiPK19rocblas_complex_numIfEPS1_S1_EviT1_lS5_lT2_lT0_lPT3_i,"axG",@progbits,_ZL36rocblas_hemvn_kernel_upper_block_sumILi64EiPK19rocblas_complex_numIfEPS1_S1_EviT1_lS5_lT2_lT0_lPT3_i,comdat
	.globl	_ZL36rocblas_hemvn_kernel_upper_block_sumILi64EiPK19rocblas_complex_numIfEPS1_S1_EviT1_lS5_lT2_lT0_lPT3_i ; -- Begin function _ZL36rocblas_hemvn_kernel_upper_block_sumILi64EiPK19rocblas_complex_numIfEPS1_S1_EviT1_lS5_lT2_lT0_lPT3_i
	.p2align	8
	.type	_ZL36rocblas_hemvn_kernel_upper_block_sumILi64EiPK19rocblas_complex_numIfEPS1_S1_EviT1_lS5_lT2_lT0_lPT3_i,@function
_ZL36rocblas_hemvn_kernel_upper_block_sumILi64EiPK19rocblas_complex_numIfEPS1_S1_EviT1_lS5_lT2_lT0_lPT3_i: ; @_ZL36rocblas_hemvn_kernel_upper_block_sumILi64EiPK19rocblas_complex_numIfEPS1_S1_EviT1_lS5_lT2_lT0_lPT3_i
; %bb.0:
	s_load_dwordx8 s[8:15], s[4:5], 0x8
	s_waitcnt lgkmcnt(0)
	s_mul_i32 s0, s7, s11
	s_mul_hi_u32 s1, s7, s10
	s_add_i32 s1, s1, s0
	s_mul_i32 s0, s7, s10
	s_lshl_b64 s[0:1], s[0:1], 3
	s_add_u32 s0, s8, s0
	s_mul_i32 s2, s7, s15
	s_mul_hi_u32 s3, s7, s14
	s_addc_u32 s1, s9, s1
	s_add_i32 s3, s3, s2
	s_mul_i32 s2, s7, s14
	s_load_dwordx2 s[8:9], s[0:1], 0x0
	s_lshl_b64 s[0:1], s[2:3], 3
	s_add_u32 s0, s12, s0
	s_addc_u32 s1, s13, s1
	s_load_dwordx2 s[10:11], s[0:1], 0x0
	s_waitcnt lgkmcnt(0)
	s_or_b32 s0, s8, s9
	s_bitset0_b32 s0, 31
	s_cmp_eq_u32 s0, 0
	s_cselect_b64 s[14:15], -1, 0
	v_cmp_eq_f32_e64 s[0:1], s10, 1.0
	v_cmp_eq_f32_e64 s[2:3], s11, 0
	s_and_b64 s[0:1], s[0:1], s[2:3]
	s_and_b64 s[0:1], s[14:15], s[0:1]
	s_and_b64 vcc, exec, s[0:1]
	s_cbranch_vccnz .LBB3_17
; %bb.1:
	s_load_dwordx4 s[0:3], s[4:5], 0x40
	s_load_dword s20, s[4:5], 0x38
	s_load_dwordx4 s[16:19], s[4:5], 0x28
	s_load_dword s12, s[4:5], 0x0
	v_lshl_or_b32 v0, s6, 6, v0
	s_waitcnt lgkmcnt(0)
	s_mul_i32 s1, s7, s1
	s_mul_hi_u32 s13, s7, s0
	s_add_i32 s1, s13, s1
	s_mul_i32 s0, s7, s0
	s_lshl_b64 s[0:1], s[0:1], 3
	s_add_u32 s13, s16, s0
	s_addc_u32 s16, s17, s1
	s_lshl_b64 s[0:1], s[18:19], 3
	s_add_u32 s18, s13, s0
	s_addc_u32 s19, s16, s1
	s_mov_b64 s[16:17], -1
	s_andn2_b64 vcc, exec, s[14:15]
	v_cmp_gt_i32_e64 s[0:1], s12, v0
	s_cbranch_vccnz .LBB3_7
; %bb.2:
	s_and_saveexec_b64 s[14:15], s[0:1]
	s_cbranch_execz .LBB3_6
; %bb.3:
	v_cmp_neq_f32_e64 s[0:1], s10, 0
	v_cmp_neq_f32_e64 s[16:17], s11, 0
	v_mul_lo_u32 v2, v0, s20
	v_ashrrev_i32_e32 v3, 31, v2
	s_or_b64 s[0:1], s[0:1], s[16:17]
	s_andn2_b64 vcc, exec, s[0:1]
	v_mov_b32_e32 v4, 0
	v_lshlrev_b64 v[2:3], 3, v[2:3]
	v_mov_b32_e32 v5, 0
	s_cbranch_vccnz .LBB3_5
; %bb.4:
	v_mov_b32_e32 v1, s19
	v_add_co_u32_e32 v4, vcc, s18, v2
	v_addc_co_u32_e32 v5, vcc, v1, v3, vcc
	global_load_dwordx2 v[6:7], v[4:5], off
	s_waitcnt vmcnt(0)
	v_pk_mul_f32 v[8:9], v[6:7], s[10:11] op_sel:[1,0]
	v_pk_fma_f32 v[4:5], v[6:7], s[10:11], v[8:9] op_sel:[0,0,1] op_sel_hi:[1,1,0] neg_lo:[0,0,1] neg_hi:[0,0,1]
	v_pk_fma_f32 v[6:7], v[6:7], s[10:11], v[8:9] op_sel:[0,0,1] op_sel_hi:[0,1,0]
	v_mov_b32_e32 v5, v7
.LBB3_5:
	v_mov_b32_e32 v1, s19
	v_add_co_u32_e32 v2, vcc, s18, v2
	v_addc_co_u32_e32 v3, vcc, v1, v3, vcc
	global_store_dwordx2 v[2:3], v[4:5], off
.LBB3_6:
	s_or_b64 exec, exec, s[14:15]
	s_mov_b64 s[16:17], 0
.LBB3_7:
	s_andn2_b64 vcc, exec, s[16:17]
	s_cbranch_vccnz .LBB3_17
; %bb.8:
	v_cmp_gt_i32_e32 vcc, s12, v0
	s_and_saveexec_b64 s[0:1], vcc
	s_cbranch_execz .LBB3_17
; %bb.9:
	v_mov_b32_e32 v3, 0
	s_cmp_lt_i32 s6, 0
	v_mov_b32_e32 v2, v3
	s_cbranch_scc1 .LBB3_12
; %bb.10:
	s_load_dword s0, s[4:5], 0x58
	s_ashr_i32 s13, s12, 31
	s_mul_hi_u32 s1, s12, s7
	s_mul_i32 s4, s13, s7
	s_add_i32 s1, s1, s4
	s_mul_i32 s4, s12, s7
	s_waitcnt lgkmcnt(0)
	s_mul_i32 s1, s1, s0
	s_mul_hi_u32 s5, s4, s0
	s_add_i32 s1, s5, s1
	s_mul_i32 s0, s4, s0
	s_lshl_b64 s[0:1], s[0:1], 3
	s_add_u32 s0, s2, s0
	v_mov_b32_e32 v1, 0
	s_addc_u32 s1, s3, s1
	v_lshlrev_b64 v[2:3], 3, v[0:1]
	v_mov_b32_e32 v5, s1
	v_add_co_u32_e32 v4, vcc, s0, v2
	s_lshl_b64 s[0:1], s[12:13], 3
	v_addc_co_u32_e32 v5, vcc, v5, v3, vcc
	s_add_i32 s2, s6, 1
	v_mov_b32_e32 v6, s1
	v_mov_b32_e32 v2, v1
	;; [unrolled: 1-line block ×3, first 2 shown]
.LBB3_11:                               ; =>This Inner Loop Header: Depth=1
	global_load_dwordx2 v[8:9], v[4:5], off
	s_add_i32 s2, s2, -1
	v_add_co_u32_e32 v4, vcc, s0, v4
	v_addc_co_u32_e32 v5, vcc, v5, v6, vcc
	s_cmp_eq_u32 s2, 0
	s_waitcnt vmcnt(0)
	v_pk_add_f32 v[2:3], v[2:3], v[8:9]
	s_cbranch_scc0 .LBB3_11
.LBB3_12:
	v_cmp_neq_f32_e64 s[0:1], s10, 0
	v_cmp_neq_f32_e64 s[2:3], s11, 0
	s_or_b64 s[0:1], s[0:1], s[2:3]
	v_pk_mul_f32 v[6:7], v[2:3], s[8:9] op_sel:[1,0]
	v_mul_lo_u32 v4, v0, s20
	s_andn2_b64 vcc, exec, s[0:1]
	v_pk_fma_f32 v[0:1], v[2:3], s[8:9], v[6:7] op_sel:[0,0,1] op_sel_hi:[0,1,0]
	v_ashrrev_i32_e32 v5, 31, v4
	s_cbranch_vccz .LBB3_14
; %bb.13:
	v_pk_mul_f32 v[8:9], v[2:3], s[8:9] op_sel_hi:[0,1]
	v_sub_f32_e32 v0, v8, v7
	s_cbranch_execz .LBB3_15
	s_branch .LBB3_16
.LBB3_14:
.LBB3_15:
	v_lshlrev_b64 v[8:9], 3, v[4:5]
	v_mov_b32_e32 v0, s19
	v_add_co_u32_e32 v8, vcc, s18, v8
	v_addc_co_u32_e32 v9, vcc, v0, v9, vcc
	global_load_dwordx2 v[8:9], v[8:9], off
	v_pk_fma_f32 v[2:3], v[2:3], s[8:9], v[6:7] op_sel:[0,0,1] op_sel_hi:[1,1,0] neg_lo:[0,0,1] neg_hi:[0,0,1]
	v_mov_b32_e32 v3, v1
	s_waitcnt vmcnt(0)
	v_pk_mul_f32 v[6:7], v[8:9], s[10:11] op_sel:[1,0]
	v_pk_fma_f32 v[10:11], v[8:9], s[10:11], v[6:7] op_sel:[0,0,1] op_sel_hi:[1,1,0] neg_lo:[0,0,1] neg_hi:[0,0,1]
	v_pk_fma_f32 v[6:7], v[8:9], s[10:11], v[6:7] op_sel:[0,0,1] op_sel_hi:[0,1,0]
	v_mov_b32_e32 v11, v7
	v_pk_add_f32 v[0:1], v[2:3], v[10:11]
.LBB3_16:
	v_lshlrev_b64 v[2:3], 3, v[4:5]
	v_mov_b32_e32 v4, s19
	v_add_co_u32_e32 v2, vcc, s18, v2
	v_addc_co_u32_e32 v3, vcc, v4, v3, vcc
	global_store_dwordx2 v[2:3], v[0:1], off
.LBB3_17:
	s_endpgm
	.section	.rodata,"a",@progbits
	.p2align	6, 0x0
	.amdhsa_kernel _ZL36rocblas_hemvn_kernel_upper_block_sumILi64EiPK19rocblas_complex_numIfEPS1_S1_EviT1_lS5_lT2_lT0_lPT3_i
		.amdhsa_group_segment_fixed_size 0
		.amdhsa_private_segment_fixed_size 0
		.amdhsa_kernarg_size 344
		.amdhsa_user_sgpr_count 6
		.amdhsa_user_sgpr_private_segment_buffer 1
		.amdhsa_user_sgpr_dispatch_ptr 0
		.amdhsa_user_sgpr_queue_ptr 0
		.amdhsa_user_sgpr_kernarg_segment_ptr 1
		.amdhsa_user_sgpr_dispatch_id 0
		.amdhsa_user_sgpr_flat_scratch_init 0
		.amdhsa_user_sgpr_kernarg_preload_length 0
		.amdhsa_user_sgpr_kernarg_preload_offset 0
		.amdhsa_user_sgpr_private_segment_size 0
		.amdhsa_uses_dynamic_stack 0
		.amdhsa_system_sgpr_private_segment_wavefront_offset 0
		.amdhsa_system_sgpr_workgroup_id_x 1
		.amdhsa_system_sgpr_workgroup_id_y 0
		.amdhsa_system_sgpr_workgroup_id_z 1
		.amdhsa_system_sgpr_workgroup_info 0
		.amdhsa_system_vgpr_workitem_id 0
		.amdhsa_next_free_vgpr 12
		.amdhsa_next_free_sgpr 21
		.amdhsa_accum_offset 12
		.amdhsa_reserve_vcc 1
		.amdhsa_reserve_flat_scratch 0
		.amdhsa_float_round_mode_32 0
		.amdhsa_float_round_mode_16_64 0
		.amdhsa_float_denorm_mode_32 3
		.amdhsa_float_denorm_mode_16_64 3
		.amdhsa_dx10_clamp 1
		.amdhsa_ieee_mode 1
		.amdhsa_fp16_overflow 0
		.amdhsa_tg_split 0
		.amdhsa_exception_fp_ieee_invalid_op 0
		.amdhsa_exception_fp_denorm_src 0
		.amdhsa_exception_fp_ieee_div_zero 0
		.amdhsa_exception_fp_ieee_overflow 0
		.amdhsa_exception_fp_ieee_underflow 0
		.amdhsa_exception_fp_ieee_inexact 0
		.amdhsa_exception_int_div_zero 0
	.end_amdhsa_kernel
	.section	.text._ZL36rocblas_hemvn_kernel_upper_block_sumILi64EiPK19rocblas_complex_numIfEPS1_S1_EviT1_lS5_lT2_lT0_lPT3_i,"axG",@progbits,_ZL36rocblas_hemvn_kernel_upper_block_sumILi64EiPK19rocblas_complex_numIfEPS1_S1_EviT1_lS5_lT2_lT0_lPT3_i,comdat
.Lfunc_end3:
	.size	_ZL36rocblas_hemvn_kernel_upper_block_sumILi64EiPK19rocblas_complex_numIfEPS1_S1_EviT1_lS5_lT2_lT0_lPT3_i, .Lfunc_end3-_ZL36rocblas_hemvn_kernel_upper_block_sumILi64EiPK19rocblas_complex_numIfEPS1_S1_EviT1_lS5_lT2_lT0_lPT3_i
                                        ; -- End function
	.section	.AMDGPU.csdata,"",@progbits
; Kernel info:
; codeLenInByte = 752
; NumSgprs: 25
; NumVgprs: 12
; NumAgprs: 0
; TotalNumVgprs: 12
; ScratchSize: 0
; MemoryBound: 0
; FloatMode: 240
; IeeeMode: 1
; LDSByteSize: 0 bytes/workgroup (compile time only)
; SGPRBlocks: 3
; VGPRBlocks: 1
; NumSGPRsForWavesPerEU: 25
; NumVGPRsForWavesPerEU: 12
; AccumOffset: 12
; Occupancy: 8
; WaveLimiterHint : 0
; COMPUTE_PGM_RSRC2:SCRATCH_EN: 0
; COMPUTE_PGM_RSRC2:USER_SGPR: 6
; COMPUTE_PGM_RSRC2:TRAP_HANDLER: 0
; COMPUTE_PGM_RSRC2:TGID_X_EN: 1
; COMPUTE_PGM_RSRC2:TGID_Y_EN: 0
; COMPUTE_PGM_RSRC2:TGID_Z_EN: 1
; COMPUTE_PGM_RSRC2:TIDIG_COMP_CNT: 0
; COMPUTE_PGM_RSRC3_GFX90A:ACCUM_OFFSET: 2
; COMPUTE_PGM_RSRC3_GFX90A:TG_SPLIT: 0
	.section	.text._ZL26rocblas_hemvn_kernel_upperILb1ELi64ELi4ELi33ELi32ELi16El19rocblas_complex_numIfEPKS1_PS1_EviT6_lT7_lT5_lS6_lS7_lS5_lT8_i,"axG",@progbits,_ZL26rocblas_hemvn_kernel_upperILb1ELi64ELi4ELi33ELi32ELi16El19rocblas_complex_numIfEPKS1_PS1_EviT6_lT7_lT5_lS6_lS7_lS5_lT8_i,comdat
	.globl	_ZL26rocblas_hemvn_kernel_upperILb1ELi64ELi4ELi33ELi32ELi16El19rocblas_complex_numIfEPKS1_PS1_EviT6_lT7_lT5_lS6_lS7_lS5_lT8_i ; -- Begin function _ZL26rocblas_hemvn_kernel_upperILb1ELi64ELi4ELi33ELi32ELi16El19rocblas_complex_numIfEPKS1_PS1_EviT6_lT7_lT5_lS6_lS7_lS5_lT8_i
	.p2align	8
	.type	_ZL26rocblas_hemvn_kernel_upperILb1ELi64ELi4ELi33ELi32ELi16El19rocblas_complex_numIfEPKS1_PS1_EviT6_lT7_lT5_lS6_lS7_lS5_lT8_i,@function
_ZL26rocblas_hemvn_kernel_upperILb1ELi64ELi4ELi33ELi32ELi16El19rocblas_complex_numIfEPKS1_PS1_EviT6_lT7_lT5_lS6_lS7_lS5_lT8_i: ; @_ZL26rocblas_hemvn_kernel_upperILb1ELi64ELi4ELi33ELi32ELi16El19rocblas_complex_numIfEPKS1_PS1_EviT6_lT7_lT5_lS6_lS7_lS5_lT8_i
; %bb.0:
	s_load_dwordx2 s[2:3], s[4:5], 0x84
	s_add_u32 s0, s4, 0x78
	s_addc_u32 s1, s5, 0
	s_waitcnt lgkmcnt(0)
	s_lshr_b32 s8, s2, 16
	s_and_b32 s2, s2, 0xffff
	s_and_b32 s3, s3, 0xffff
	s_mul_i32 s2, s8, s2
	s_mul_i32 s2, s2, s3
	s_cmpk_lg_i32 s2, 0x100
	s_cbranch_scc1 .LBB4_180
; %bb.1:
	s_load_dwordx2 s[2:3], s[4:5], 0x4
	s_mov_b64 s[8:9], -1
	s_waitcnt lgkmcnt(0)
	s_or_b32 s2, s2, s3
	s_bitset0_b32 s2, 31
	s_cmp_lg_u32 s2, 0
	s_cselect_b64 s[2:3], -1, 0
	s_and_b64 vcc, exec, s[2:3]
	s_cbranch_vccnz .LBB4_3
; %bb.2:
	s_load_dwordx2 s[8:9], s[4:5], 0x58
	s_waitcnt lgkmcnt(0)
	v_cmp_neq_f32_e64 s[10:11], s8, 1.0
	v_cmp_neq_f32_e64 s[8:9], s9, 0
	s_or_b64 s[8:9], s[10:11], s[8:9]
.LBB4_3:
	s_andn2_b64 vcc, exec, s[8:9]
	s_cbranch_vccnz .LBB4_180
; %bb.4:
	s_andn2_b64 vcc, exec, s[2:3]
	s_cbranch_vccnz .LBB4_180
; %bb.5:
	s_load_dwordx16 s[16:31], s[4:5], 0x18
	s_load_dword s33, s[0:1], 0x0
	s_load_dword s37, s[4:5], 0x0
	v_and_b32_e32 v65, 0x3ff, v0
	v_bfe_u32 v109, v0, 10, 10
	s_waitcnt lgkmcnt(0)
	s_mul_i32 s1, s7, s31
	s_mul_hi_u32 s2, s7, s30
	s_mul_i32 s0, s7, s30
	s_add_i32 s1, s2, s1
	s_lshl_b64 s[0:1], s[0:1], 3
	s_add_u32 s2, s24, s0
	s_addc_u32 s3, s25, s1
	s_lshl_b64 s[0:1], s[26:27], 3
	s_add_u32 s2, s2, s0
	s_addc_u32 s3, s3, s1
	s_ashr_i32 s38, s37, 31
	s_lshr_b32 s1, s38, 26
	s_lshl_b32 s26, s6, 6
	s_add_i32 s1, s37, s1
	s_andn2_b32 s1, s1, 63
	v_add_u32_e32 v28, s26, v65
	s_add_i32 s0, s33, -1
	s_sub_i32 s36, s37, s1
	v_ashrrev_i32_e32 v29, 31, v28
	s_cmp_eq_u32 s6, s0
	v_mul_lo_u32 v2, v29, s28
	v_mul_lo_u32 v3, v28, s29
	v_mad_u64_u32 v[0:1], s[0:1], v28, s28, 0
	v_add3_u32 v1, v1, v3, v2
	v_lshlrev_b64 v[0:1], 3, v[0:1]
	v_mov_b32_e32 v2, s3
	v_add_co_u32_e32 v14, vcc, s2, v0
	s_cselect_b32 s24, s36, 0
	v_addc_co_u32_e32 v15, vcc, v2, v1, vcc
	v_cmp_eq_u32_e64 s[0:1], 0, v109
	s_and_saveexec_b64 s[2:3], s[0:1]
	s_cbranch_execz .LBB4_10
; %bb.6:
	s_cmp_lg_u32 s24, 0
	s_cselect_b64 s[8:9], -1, 0
	v_cmp_le_i32_e32 vcc, s24, v65
	v_mov_b32_e32 v0, 0x2380
	s_and_b64 s[8:9], s[8:9], vcc
	v_lshl_add_u32 v0, v65, 3, v0
	s_and_saveexec_b64 s[10:11], s[8:9]
	s_xor_b64 s[8:9], exec, s[10:11]
	s_cbranch_execz .LBB4_8
; %bb.7:
	v_mov_b32_e32 v2, 0
	v_mov_b32_e32 v3, v2
	ds_write_b64 v0, v[2:3]
                                        ; implicit-def: $vgpr0
.LBB4_8:
	s_andn2_saveexec_b64 s[8:9], s[8:9]
	s_cbranch_execz .LBB4_10
; %bb.9:
	global_load_dwordx2 v[2:3], v[14:15], off
	s_waitcnt vmcnt(0)
	ds_write_b64 v0, v[2:3]
.LBB4_10:
	s_or_b64 exec, exec, s[2:3]
	s_mul_i32 s2, s7, s23
	s_mul_hi_u32 s3, s7, s22
	s_add_i32 s3, s3, s2
	s_mul_i32 s2, s7, s22
	s_lshl_b64 s[2:3], s[2:3], 3
	s_add_u32 s8, s16, s2
	s_addc_u32 s9, s17, s3
	s_lshl_b64 s[2:3], s[18:19], 3
	s_add_u32 s8, s8, s2
	s_addc_u32 s9, s9, s3
	s_ashr_i32 s27, s26, 31
	v_lshl_add_u32 v22, v109, 6, v65
	s_lshl_b64 s[2:3], s[26:27], 3
	v_and_b32_e32 v0, 31, v65
	v_lshrrev_b32_e32 v10, 5, v22
	s_add_u32 s8, s8, s2
	v_mov_b32_e32 v1, 0
	s_addc_u32 s9, s9, s3
	v_mad_u64_u32 v[2:3], s[2:3], v10, s20, v[0:1]
	v_mov_b32_e32 v4, v3
	v_mad_u64_u32 v[4:5], s[2:3], v10, s21, v[4:5]
	s_mul_i32 s2, s26, s21
	s_mul_hi_u32 s3, s26, s20
	s_add_i32 s2, s3, s2
	s_mul_i32 s3, s27, s20
	s_add_i32 s3, s2, s3
	s_mul_i32 s2, s26, s20
	s_lshl_b64 s[2:3], s[2:3], 3
	s_add_u32 s2, s2, s8
	v_mov_b32_e32 v3, v4
	s_addc_u32 s3, s3, s9
	v_lshlrev_b64 v[12:13], 3, v[2:3]
	s_cmp_eq_u32 s24, 0
	v_mov_b32_e32 v2, s3
	v_add_co_u32_e32 v4, vcc, s2, v12
	s_cselect_b64 s[18:19], -1, 0
	s_cmp_lg_u32 s24, 0
	v_addc_co_u32_e32 v5, vcc, v2, v13, vcc
	s_cselect_b64 s[22:23], -1, 0
	s_and_b64 vcc, exec, s[22:23]
	v_cmp_gt_i32_e64 s[2:3], s24, v0
	v_lshlrev_b32_e32 v11, 3, v0
	s_mul_i32 s39, s21, 0xc0
	s_cbranch_vccz .LBB4_26
; %bb.11:
	v_sub_co_u32_e32 v2, vcc, v4, v11
	s_ashr_i32 s25, s24, 31
	v_subbrev_co_u32_e32 v3, vcc, 0, v5, vcc
	s_lshl_b64 s[8:9], s[24:25], 3
	v_mov_b32_e32 v6, s9
	v_add_co_u32_e32 v2, vcc, s8, v2
	v_addc_co_u32_e32 v3, vcc, v3, v6, vcc
	v_add_co_u32_e32 v2, vcc, -8, v2
	v_addc_co_u32_e32 v3, vcc, -1, v3, vcc
	v_cndmask_b32_e64 v3, v3, v5, s[2:3]
	v_cndmask_b32_e64 v2, v2, v4, s[2:3]
	v_cmp_gt_i32_e32 vcc, s24, v10
	v_mov_b32_e32 v7, 0
	s_and_saveexec_b64 s[10:11], vcc
	s_cbranch_execz .LBB4_13
; %bb.12:
	global_load_dwordx2 v[6:7], v[2:3], off
	s_waitcnt vmcnt(0)
	v_mov_b32_e32 v1, v6
.LBB4_13:
	s_or_b64 exec, exec, s[10:11]
	v_mul_u32_u24_e32 v6, 33, v10
	v_add_lshl_u32 v8, v6, v0, 3
	v_mov_b32_e32 v6, v1
	v_add_u32_e32 v1, 8, v10
	v_cmp_le_i32_e32 vcc, s24, v1
	ds_write_b64 v8, v[6:7]
	s_and_saveexec_b64 s[10:11], vcc
	s_xor_b64 s[10:11], exec, s[10:11]
	s_cbranch_execz .LBB4_15
; %bb.14:
	v_mul_u32_u24_e32 v1, 33, v1
	v_mov_b32_e32 v6, 0
	v_add_lshl_u32 v1, v1, v0, 3
	v_mov_b32_e32 v7, v6
	ds_write_b64 v1, v[6:7]
.LBB4_15:
	s_andn2_saveexec_b64 s[10:11], s[10:11]
	s_cbranch_execz .LBB4_17
; %bb.16:
	s_lshl_b64 s[12:13], s[20:21], 6
	v_mov_b32_e32 v1, s13
	v_add_co_u32_e32 v6, vcc, s12, v2
	v_addc_co_u32_e32 v7, vcc, v3, v1, vcc
	global_load_dwordx2 v[6:7], v[6:7], off
	s_waitcnt vmcnt(0)
	ds_write_b64 v8, v[6:7] offset:2112
.LBB4_17:
	s_or_b64 exec, exec, s[10:11]
	v_add_u32_e32 v1, 16, v10
	v_cmp_le_i32_e32 vcc, s24, v1
	s_and_saveexec_b64 s[10:11], vcc
	s_xor_b64 s[10:11], exec, s[10:11]
	s_cbranch_execz .LBB4_19
; %bb.18:
	v_mov_b32_e32 v6, 0
	v_mov_b32_e32 v7, v6
	ds_write_b64 v8, v[6:7] offset:4224
.LBB4_19:
	s_andn2_saveexec_b64 s[10:11], s[10:11]
	s_cbranch_execz .LBB4_21
; %bb.20:
	s_lshl_b64 s[12:13], s[20:21], 7
	v_mov_b32_e32 v1, s13
	v_add_co_u32_e32 v6, vcc, s12, v2
	v_addc_co_u32_e32 v7, vcc, v3, v1, vcc
	global_load_dwordx2 v[6:7], v[6:7], off
	s_waitcnt vmcnt(0)
	ds_write_b64 v8, v[6:7] offset:4224
.LBB4_21:
	s_or_b64 exec, exec, s[10:11]
	v_add_u32_e32 v1, 24, v10
	v_cmp_le_i32_e32 vcc, s24, v1
	s_and_saveexec_b64 s[10:11], vcc
	s_xor_b64 s[10:11], exec, s[10:11]
	s_cbranch_execz .LBB4_23
; %bb.22:
	v_mov_b32_e32 v6, 0
	v_mov_b32_e32 v7, v6
	ds_write_b64 v8, v[6:7] offset:6336
                                        ; implicit-def: $vgpr8
.LBB4_23:
	s_andn2_saveexec_b64 s[10:11], s[10:11]
	s_cbranch_execz .LBB4_25
; %bb.24:
	v_mov_b32_e32 v1, 0xc0
	v_mad_u64_u32 v[6:7], s[12:13], s20, v1, v[2:3]
	v_add_u32_e32 v7, s39, v7
	global_load_dwordx2 v[6:7], v[6:7], off
	s_waitcnt vmcnt(0)
	ds_write_b64 v8, v[6:7] offset:6336
.LBB4_25:
	s_or_b64 exec, exec, s[10:11]
	v_add_co_u32_e32 v1, vcc, v2, v11
	v_addc_co_u32_e32 v2, vcc, 0, v3, vcc
	v_mov_b32_e32 v3, s9
	v_subrev_co_u32_e32 v1, vcc, s8, v1
	v_subb_co_u32_e32 v2, vcc, v2, v3, vcc
	v_add_co_u32_e32 v1, vcc, 8, v1
	v_addc_co_u32_e32 v2, vcc, 0, v2, vcc
	v_cndmask_b32_e64 v3, v2, v5, s[2:3]
	v_cndmask_b32_e64 v2, v1, v4, s[2:3]
	v_mul_u32_u24_e32 v1, 33, v10
	s_branch .LBB4_28
.LBB4_26:
                                        ; implicit-def: $vgpr2_vgpr3
	v_mul_u32_u24_e32 v1, 33, v10
	s_cbranch_execz .LBB4_28
; %bb.27:
	s_lshl_b64 s[2:3], s[20:21], 6
	v_mov_b32_e32 v16, s3
	v_add_co_u32_e32 v2, vcc, s2, v4
	v_addc_co_u32_e32 v3, vcc, v5, v16, vcc
	global_load_dwordx2 v[6:7], v[4:5], off
	global_load_dwordx2 v[8:9], v[2:3], off
	v_add_co_u32_e32 v2, vcc, s2, v2
	v_addc_co_u32_e32 v3, vcc, v3, v16, vcc
	v_mov_b32_e32 v16, 0xc0
	v_mad_u64_u32 v[16:17], s[2:3], s20, v16, v[4:5]
	v_add_u32_e32 v17, s39, v17
	global_load_dwordx2 v[18:19], v[16:17], off
	global_load_dwordx2 v[20:21], v[2:3], off
	v_add_lshl_u32 v2, v1, v0, 3
	s_waitcnt vmcnt(3)
	ds_write_b64 v2, v[6:7]
	s_waitcnt vmcnt(2)
	ds_write_b64 v2, v[8:9] offset:2112
	s_waitcnt vmcnt(1)
	ds_write_b64 v2, v[18:19] offset:6336
	;; [unrolled: 2-line block ×3, first 2 shown]
	v_pk_mov_b32 v[2:3], v[4:5], v[4:5] op_sel:[0,1]
.LBB4_28:
	v_lshlrev_b32_e32 v21, 2, v10
	v_cmp_le_u32_e64 s[16:17], v21, v0
	s_waitcnt lgkmcnt(0)
	s_barrier
	s_and_saveexec_b64 s[2:3], s[16:17]
	s_xor_b64 s[2:3], exec, s[2:3]
	s_cbranch_execz .LBB4_32
; %bb.29:
	v_cmp_eq_u32_e32 vcc, v21, v0
	s_and_saveexec_b64 s[8:9], vcc
	s_cbranch_execz .LBB4_31
; %bb.30:
	v_mul_u32_u24_e32 v4, 34, v0
	v_lshlrev_b32_e32 v4, 3, v4
	v_mov_b32_e32 v5, 0
	ds_write_b32 v4, v5 offset:4
.LBB4_31:
	s_or_b64 exec, exec, s[8:9]
.LBB4_32:
	s_or_saveexec_b64 s[2:3], s[2:3]
	v_mul_u32_u24_e32 v18, 33, v0
	v_add_lshl_u32 v16, v21, v18, 3
	s_xor_b64 exec, exec, s[2:3]
	s_cbranch_execz .LBB4_34
; %bb.33:
	v_mul_u32_u24_e32 v4, 0x84, v10
	v_add_lshl_u32 v4, v4, v0, 3
	ds_read_b64 v[4:5], v4
	s_waitcnt lgkmcnt(0)
	v_xor_b32_e32 v5, 0x80000000, v5
	ds_write_b64 v16, v[4:5]
.LBB4_34:
	s_or_b64 exec, exec, s[2:3]
	v_or_b32_e32 v17, 1, v21
	v_cmp_ge_u32_e64 s[8:9], v21, v0
	v_mul_u32_u24_e32 v4, 33, v17
	s_and_saveexec_b64 s[2:3], s[8:9]
	s_xor_b64 s[2:3], exec, s[2:3]
	s_cbranch_execz .LBB4_36
; %bb.35:
	v_add_lshl_u32 v5, v4, v0, 3
	ds_read_b64 v[6:7], v5
	s_waitcnt lgkmcnt(0)
	v_xor_b32_e32 v7, 0x80000000, v7
	ds_write_b64 v16, v[6:7] offset:8
.LBB4_36:
	s_andn2_saveexec_b64 s[2:3], s[2:3]
	s_cbranch_execz .LBB4_40
; %bb.37:
	v_cmp_eq_u32_e32 vcc, v17, v0
	s_and_saveexec_b64 s[10:11], vcc
	s_cbranch_execz .LBB4_39
; %bb.38:
	v_mul_u32_u24_e32 v5, 34, v0
	v_lshlrev_b32_e32 v5, 3, v5
	v_mov_b32_e32 v6, 0
	ds_write_b32 v5, v6 offset:4
.LBB4_39:
	s_or_b64 exec, exec, s[10:11]
.LBB4_40:
	s_or_b64 exec, exec, s[2:3]
	v_or_b32_e32 v25, 2, v21
	v_cmp_le_u32_e64 s[10:11], v25, v0
	s_and_saveexec_b64 s[2:3], s[10:11]
	s_xor_b64 s[2:3], exec, s[2:3]
	s_cbranch_execz .LBB4_44
; %bb.41:
	v_cmp_eq_u32_e32 vcc, v25, v0
	s_and_saveexec_b64 s[12:13], vcc
	s_cbranch_execz .LBB4_43
; %bb.42:
	v_mul_u32_u24_e32 v5, 34, v0
	v_lshlrev_b32_e32 v5, 3, v5
	v_mov_b32_e32 v6, 0
	ds_write_b32 v5, v6 offset:4
.LBB4_43:
	s_or_b64 exec, exec, s[12:13]
.LBB4_44:
	s_andn2_saveexec_b64 s[2:3], s[2:3]
	s_cbranch_execz .LBB4_46
; %bb.45:
	v_mul_u32_u24_e32 v5, 33, v25
	v_add_lshl_u32 v5, v5, v0, 3
	ds_read_b64 v[6:7], v5
	s_waitcnt lgkmcnt(0)
	v_xor_b32_e32 v7, 0x80000000, v7
	ds_write_b64 v16, v[6:7] offset:16
.LBB4_46:
	s_or_b64 exec, exec, s[2:3]
	v_or_b32_e32 v26, 3, v21
	v_cmp_le_u32_e64 s[12:13], v26, v0
	s_and_saveexec_b64 s[2:3], s[12:13]
	s_xor_b64 s[2:3], exec, s[2:3]
	s_cbranch_execz .LBB4_50
; %bb.47:
	v_cmp_eq_u32_e32 vcc, v26, v0
	s_and_saveexec_b64 s[14:15], vcc
	s_cbranch_execz .LBB4_49
; %bb.48:
	v_mul_u32_u24_e32 v5, 34, v0
	v_lshlrev_b32_e32 v5, 3, v5
	v_mov_b32_e32 v6, 0
	ds_write_b32 v5, v6 offset:4
.LBB4_49:
	s_or_b64 exec, exec, s[14:15]
.LBB4_50:
	s_andn2_saveexec_b64 s[2:3], s[2:3]
	s_cbranch_execz .LBB4_52
; %bb.51:
	v_mul_u32_u24_e32 v5, 33, v26
	v_add_lshl_u32 v5, v5, v0, 3
	ds_read_b64 v[6:7], v5
	s_waitcnt lgkmcnt(0)
	v_xor_b32_e32 v7, 0x80000000, v7
	ds_write_b64 v16, v[6:7] offset:24
.LBB4_52:
	s_or_b64 exec, exec, s[2:3]
	v_mul_u32_u24_e32 v5, 0x84, v10
	v_lshlrev_b32_e32 v27, 3, v21
	s_waitcnt lgkmcnt(0)
	s_barrier
	v_add_lshl_u32 v20, v5, v0, 3
	v_add_lshl_u32 v19, v4, v0, 3
	ds_read_b128 v[4:7], v27 offset:9088
	ds_read_b64 v[8:9], v20
	ds_read2_b64 v[30:33], v19 offset1:33
	ds_read_b64 v[38:39], v19 offset:528
	ds_read_b128 v[34:37], v27 offset:9104
	s_mov_b32 s14, 0
	s_waitcnt lgkmcnt(3)
	v_pk_mul_f32 v[40:41], v[4:5], v[8:9] op_sel:[0,1]
	v_pk_fma_f32 v[42:43], v[4:5], v[8:9], v[40:41] op_sel:[0,0,1] op_sel_hi:[1,1,0] neg_lo:[0,0,1] neg_hi:[0,0,1]
	v_pk_fma_f32 v[4:5], v[4:5], v[8:9], v[40:41] op_sel:[0,0,1] op_sel_hi:[1,0,0]
	s_waitcnt lgkmcnt(2)
	v_pk_mul_f32 v[8:9], v[6:7], v[30:31] op_sel:[0,1]
	v_pk_fma_f32 v[40:41], v[6:7], v[30:31], v[8:9] op_sel:[0,0,1] op_sel_hi:[1,1,0] neg_lo:[0,0,1] neg_hi:[0,0,1]
	v_pk_fma_f32 v[6:7], v[6:7], v[30:31], v[8:9] op_sel:[0,0,1] op_sel_hi:[1,0,0]
	v_mov_b32_e32 v43, v5
	v_mov_b32_e32 v41, v7
	s_waitcnt lgkmcnt(0)
	v_pk_mul_f32 v[6:7], v[34:35], v[32:33] op_sel:[0,1]
	v_pk_add_f32 v[4:5], v[42:43], 0 op_sel_hi:[1,0]
	v_pk_fma_f32 v[8:9], v[34:35], v[32:33], v[6:7] op_sel:[0,0,1] op_sel_hi:[1,1,0] neg_lo:[0,0,1] neg_hi:[0,0,1]
	v_pk_fma_f32 v[6:7], v[34:35], v[32:33], v[6:7] op_sel:[0,0,1] op_sel_hi:[1,0,0]
	v_pk_add_f32 v[4:5], v[4:5], v[40:41]
	v_mov_b32_e32 v9, v7
	v_pk_mul_f32 v[6:7], v[36:37], v[38:39] op_sel:[0,1]
	v_pk_add_f32 v[4:5], v[4:5], v[8:9]
	v_pk_fma_f32 v[8:9], v[36:37], v[38:39], v[6:7] op_sel:[0,0,1] op_sel_hi:[1,1,0] neg_lo:[0,0,1] neg_hi:[0,0,1]
	v_pk_fma_f32 v[6:7], v[36:37], v[38:39], v[6:7] op_sel:[0,0,1] op_sel_hi:[1,0,0]
	s_mov_b32 s15, s14
	v_mov_b32_e32 v9, v7
	v_add_lshl_u32 v23, v10, v18, 3
	v_pk_add_f32 v[4:5], v[4:5], v[8:9]
	v_cmp_gt_u32_e64 s[2:3], 32, v22
	v_pk_mov_b32 v[30:31], s[14:15], s[14:15] op_sel:[0,1]
	v_lshlrev_b32_e32 v24, 3, v18
	s_barrier
	ds_write_b64 v23, v[4:5]
	s_waitcnt lgkmcnt(0)
	s_barrier
	s_and_saveexec_b64 s[14:15], s[2:3]
	s_cbranch_execz .LBB4_54
; %bb.53:
	ds_read2_b64 v[4:7], v24 offset1:7
	ds_read2_b64 v[30:33], v24 offset0:1 offset1:2
	ds_read2_b64 v[34:37], v24 offset0:3 offset1:4
	s_waitcnt lgkmcnt(1)
	v_add_f32_e32 v4, v30, v4
	v_add_f32_e32 v5, v31, v5
	;; [unrolled: 1-line block ×4, first 2 shown]
	ds_read2_b64 v[30:33], v24 offset0:5 offset1:6
	s_waitcnt lgkmcnt(1)
	v_add_f32_e32 v4, v4, v34
	v_add_f32_e32 v5, v5, v35
	;; [unrolled: 1-line block ×4, first 2 shown]
	s_waitcnt lgkmcnt(0)
	v_add_f32_e32 v4, v4, v30
	v_add_f32_e32 v5, v5, v31
	;; [unrolled: 1-line block ×4, first 2 shown]
	v_pk_add_f32 v[30:31], v[4:5], v[6:7]
.LBB4_54:
	s_or_b64 exec, exec, s[14:15]
	s_lshl_b64 s[14:15], s[20:21], 8
	v_mov_b32_e32 v4, s15
	v_add_co_u32_e32 v6, vcc, s14, v2
	v_addc_co_u32_e32 v7, vcc, v3, v4, vcc
	v_add_co_u32_e32 v4, vcc, 0x100, v6
	v_addc_co_u32_e32 v5, vcc, 0, v7, vcc
	s_and_b64 vcc, exec, s[22:23]
	s_barrier
	s_cbranch_vccz .LBB4_70
; %bb.55:
	v_sub_co_u32_e32 v3, vcc, v4, v11
	s_ashr_i32 s25, s24, 31
	v_subbrev_co_u32_e32 v8, vcc, 0, v5, vcc
	s_lshl_b64 s[30:31], s[24:25], 3
	v_mov_b32_e32 v9, s31
	v_add_co_u32_e32 v3, vcc, s30, v3
	v_addc_co_u32_e32 v8, vcc, v8, v9, vcc
	v_or_b32_e32 v2, 32, v0
	v_add_co_u32_e32 v9, vcc, 0xfffffef8, v3
	v_addc_co_u32_e32 v3, vcc, -1, v8, vcc
	v_cmp_gt_i32_e64 s[14:15], s24, v2
	s_sub_i32 s25, s24, 32
	v_mov_b32_e32 v8, 0
	v_cndmask_b32_e64 v3, v3, v5, s[14:15]
	v_cndmask_b32_e64 v2, v9, v4, s[14:15]
	v_cmp_gt_i32_e32 vcc, s25, v10
	v_mov_b32_e32 v9, v8
	s_and_saveexec_b64 s[34:35], vcc
	s_cbranch_execz .LBB4_57
; %bb.56:
	global_load_dwordx2 v[8:9], v[2:3], off
.LBB4_57:
	s_or_b64 exec, exec, s[34:35]
	v_add_lshl_u32 v32, v1, v0, 3
	s_waitcnt vmcnt(0)
	ds_write_b64 v32, v[8:9]
	v_add_u32_e32 v8, 8, v10
	v_cmp_le_i32_e32 vcc, s25, v8
	s_and_saveexec_b64 s[34:35], vcc
	s_xor_b64 s[34:35], exec, s[34:35]
	s_cbranch_execz .LBB4_59
; %bb.58:
	v_mul_u32_u24_e32 v8, 33, v8
	v_add_lshl_u32 v33, v8, v0, 3
	v_mov_b32_e32 v8, 0
	v_mov_b32_e32 v9, v8
	ds_write_b64 v33, v[8:9]
.LBB4_59:
	s_andn2_saveexec_b64 s[34:35], s[34:35]
	s_cbranch_execz .LBB4_61
; %bb.60:
	s_lshl_b64 s[40:41], s[20:21], 6
	v_mov_b32_e32 v9, s41
	v_add_co_u32_e32 v8, vcc, s40, v2
	v_addc_co_u32_e32 v9, vcc, v3, v9, vcc
	global_load_dwordx2 v[8:9], v[8:9], off
	s_waitcnt vmcnt(0)
	ds_write_b64 v32, v[8:9] offset:2112
.LBB4_61:
	s_or_b64 exec, exec, s[34:35]
	v_add_u32_e32 v8, 16, v10
	v_cmp_le_i32_e32 vcc, s25, v8
	s_and_saveexec_b64 s[34:35], vcc
	s_xor_b64 s[34:35], exec, s[34:35]
	s_cbranch_execz .LBB4_63
; %bb.62:
	v_mov_b32_e32 v8, 0
	v_mov_b32_e32 v9, v8
	ds_write_b64 v32, v[8:9] offset:4224
.LBB4_63:
	s_andn2_saveexec_b64 s[34:35], s[34:35]
	s_cbranch_execz .LBB4_65
; %bb.64:
	s_lshl_b64 s[40:41], s[20:21], 7
	v_mov_b32_e32 v9, s41
	v_add_co_u32_e32 v8, vcc, s40, v2
	v_addc_co_u32_e32 v9, vcc, v3, v9, vcc
	global_load_dwordx2 v[8:9], v[8:9], off
	s_waitcnt vmcnt(0)
	ds_write_b64 v32, v[8:9] offset:4224
.LBB4_65:
	s_or_b64 exec, exec, s[34:35]
	v_add_u32_e32 v8, 24, v10
	v_cmp_le_i32_e32 vcc, s25, v8
	s_and_saveexec_b64 s[34:35], vcc
	s_xor_b64 s[34:35], exec, s[34:35]
	s_cbranch_execz .LBB4_67
; %bb.66:
	v_mov_b32_e32 v8, 0
	v_mov_b32_e32 v9, v8
	ds_write_b64 v32, v[8:9] offset:6336
                                        ; implicit-def: $vgpr32
.LBB4_67:
	s_andn2_saveexec_b64 s[34:35], s[34:35]
	s_cbranch_execz .LBB4_69
; %bb.68:
	v_mov_b32_e32 v8, 0xc0
	v_mad_u64_u32 v[8:9], s[40:41], s20, v8, v[2:3]
	v_add_u32_e32 v9, s39, v9
	global_load_dwordx2 v[8:9], v[8:9], off
	s_waitcnt vmcnt(0)
	ds_write_b64 v32, v[8:9] offset:6336
.LBB4_69:
	s_or_b64 exec, exec, s[34:35]
	v_add_co_u32_e32 v2, vcc, v2, v11
	v_addc_co_u32_e32 v3, vcc, 0, v3, vcc
	v_mov_b32_e32 v8, s31
	v_subrev_co_u32_e32 v2, vcc, s30, v2
	v_subb_co_u32_e32 v3, vcc, v3, v8, vcc
	v_add_co_u32_e32 v2, vcc, 0x108, v2
	v_addc_co_u32_e32 v3, vcc, 0, v3, vcc
	v_cndmask_b32_e64 v3, v3, v5, s[14:15]
	v_cndmask_b32_e64 v2, v2, v4, s[14:15]
	s_branch .LBB4_72
.LBB4_70:
                                        ; implicit-def: $vgpr2_vgpr3
	s_cbranch_execz .LBB4_72
; %bb.71:
	s_lshl_b64 s[14:15], s[20:21], 6
	v_mov_b32_e32 v9, s15
	v_add_co_u32_e32 v2, vcc, s14, v6
	v_addc_co_u32_e32 v3, vcc, v7, v9, vcc
	v_mov_b32_e32 v32, 0xc0
	v_add_co_u32_e32 v8, vcc, s14, v2
	v_mad_u64_u32 v[32:33], s[14:15], s20, v32, v[6:7]
	v_addc_co_u32_e32 v9, vcc, v3, v9, vcc
	v_add_u32_e32 v33, s39, v33
	global_load_dwordx2 v[34:35], v[6:7], off offset:256
	global_load_dwordx2 v[36:37], v[2:3], off offset:256
	;; [unrolled: 1-line block ×4, first 2 shown]
	v_add_lshl_u32 v2, v1, v0, 3
	s_waitcnt vmcnt(3)
	ds_write_b64 v2, v[34:35]
	s_waitcnt vmcnt(2)
	ds_write_b64 v2, v[36:37] offset:2112
	s_waitcnt vmcnt(1)
	ds_write_b64 v2, v[38:39] offset:4224
	;; [unrolled: 2-line block ×3, first 2 shown]
	v_pk_mov_b32 v[2:3], v[4:5], v[4:5] op_sel:[0,1]
.LBB4_72:
	s_waitcnt lgkmcnt(0)
	s_barrier
	s_and_saveexec_b64 s[14:15], s[16:17]
	s_xor_b64 s[14:15], exec, s[14:15]
	s_cbranch_execnz .LBB4_99
; %bb.73:
	s_andn2_saveexec_b64 s[14:15], s[14:15]
	s_cbranch_execnz .LBB4_102
.LBB4_74:
	s_or_b64 exec, exec, s[14:15]
	s_and_saveexec_b64 s[14:15], s[8:9]
	s_xor_b64 s[8:9], exec, s[14:15]
	s_cbranch_execnz .LBB4_103
.LBB4_75:
	s_andn2_saveexec_b64 s[8:9], s[8:9]
	s_cbranch_execnz .LBB4_104
.LBB4_76:
	s_or_b64 exec, exec, s[8:9]
	s_and_saveexec_b64 s[8:9], s[10:11]
	s_xor_b64 s[8:9], exec, s[8:9]
	s_cbranch_execnz .LBB4_107
.LBB4_77:
	s_andn2_saveexec_b64 s[8:9], s[8:9]
	s_cbranch_execnz .LBB4_110
.LBB4_78:
	s_or_b64 exec, exec, s[8:9]
	s_and_saveexec_b64 s[8:9], s[12:13]
	s_xor_b64 s[8:9], exec, s[8:9]
	s_cbranch_execnz .LBB4_111
.LBB4_79:
	s_or_saveexec_b64 s[8:9], s[8:9]
	v_add_u32_e32 v25, 0x2380, v27
	s_xor_b64 exec, exec, s[8:9]
	s_cbranch_execz .LBB4_81
.LBB4_80:
	ds_read_b64 v[4:5], v19 offset:528
	s_waitcnt lgkmcnt(0)
	v_xor_b32_e32 v5, 0x80000000, v5
	ds_write_b64 v16, v[4:5] offset:24
.LBB4_81:
	s_or_b64 exec, exec, s[8:9]
	s_waitcnt lgkmcnt(0)
	s_barrier
	ds_read_b64 v[8:9], v20
	ds_read_b128 v[4:7], v25 offset:256
	ds_read2_b64 v[32:35], v19 offset1:33
	ds_read_b64 v[16:17], v19 offset:528
	ds_read_b128 v[36:39], v25 offset:272
	v_cmp_eq_u32_e64 s[8:9], 1, v10
	s_waitcnt lgkmcnt(3)
	v_pk_mul_f32 v[26:27], v[4:5], v[8:9] op_sel:[0,1]
	v_pk_fma_f32 v[40:41], v[4:5], v[8:9], v[26:27] op_sel:[0,0,1] op_sel_hi:[1,1,0] neg_lo:[0,0,1] neg_hi:[0,0,1]
	v_pk_fma_f32 v[4:5], v[4:5], v[8:9], v[26:27] op_sel:[0,0,1] op_sel_hi:[1,0,0]
	s_waitcnt lgkmcnt(2)
	v_pk_mul_f32 v[8:9], v[6:7], v[32:33] op_sel:[0,1]
	v_pk_fma_f32 v[26:27], v[6:7], v[32:33], v[8:9] op_sel:[0,0,1] op_sel_hi:[1,1,0] neg_lo:[0,0,1] neg_hi:[0,0,1]
	v_pk_fma_f32 v[6:7], v[6:7], v[32:33], v[8:9] op_sel:[0,0,1] op_sel_hi:[1,0,0]
	v_mov_b32_e32 v41, v5
	v_mov_b32_e32 v27, v7
	s_waitcnt lgkmcnt(0)
	v_pk_mul_f32 v[6:7], v[36:37], v[34:35] op_sel:[0,1]
	v_pk_add_f32 v[4:5], v[40:41], 0 op_sel_hi:[1,0]
	v_pk_fma_f32 v[8:9], v[36:37], v[34:35], v[6:7] op_sel:[0,0,1] op_sel_hi:[1,1,0] neg_lo:[0,0,1] neg_hi:[0,0,1]
	v_pk_fma_f32 v[6:7], v[36:37], v[34:35], v[6:7] op_sel:[0,0,1] op_sel_hi:[1,0,0]
	v_pk_add_f32 v[4:5], v[4:5], v[26:27]
	v_mov_b32_e32 v9, v7
	v_pk_mul_f32 v[6:7], v[38:39], v[16:17] op_sel:[0,1]
	v_pk_add_f32 v[4:5], v[4:5], v[8:9]
	v_pk_fma_f32 v[8:9], v[38:39], v[16:17], v[6:7] op_sel:[0,0,1] op_sel_hi:[1,1,0] neg_lo:[0,0,1] neg_hi:[0,0,1]
	v_pk_fma_f32 v[6:7], v[38:39], v[16:17], v[6:7] op_sel:[0,0,1] op_sel_hi:[1,0,0]
	v_mov_b32_e32 v9, v7
	v_pk_add_f32 v[4:5], v[4:5], v[8:9]
	s_barrier
	ds_write_b64 v23, v[4:5]
	s_waitcnt lgkmcnt(0)
	s_barrier
	s_and_saveexec_b64 s[10:11], s[8:9]
	s_cbranch_execz .LBB4_83
; %bb.82:
	ds_read2_b64 v[4:7], v24 offset1:7
	ds_read2_b64 v[30:33], v24 offset0:1 offset1:2
	ds_read2_b64 v[34:37], v24 offset0:3 offset1:4
	s_waitcnt lgkmcnt(1)
	v_add_f32_e32 v4, v30, v4
	v_add_f32_e32 v5, v31, v5
	;; [unrolled: 1-line block ×4, first 2 shown]
	ds_read2_b64 v[30:33], v24 offset0:5 offset1:6
	s_waitcnt lgkmcnt(1)
	v_add_f32_e32 v4, v4, v34
	v_add_f32_e32 v5, v5, v35
	;; [unrolled: 1-line block ×4, first 2 shown]
	s_waitcnt lgkmcnt(0)
	v_add_f32_e32 v4, v4, v30
	v_add_f32_e32 v5, v5, v31
	v_pk_add_f32 v[4:5], v[4:5], v[32:33]
	v_pk_add_f32 v[30:31], v[4:5], v[6:7]
.LBB4_83:
	s_or_b64 exec, exec, s[10:11]
	v_add_co_u32_e32 v4, vcc, 0xffffff00, v2
	v_addc_co_u32_e32 v5, vcc, -1, v3, vcc
	s_and_b64 vcc, exec, s[22:23]
	s_barrier
	s_cbranch_vccz .LBB4_114
; %bb.84:
	v_sub_co_u32_e32 v6, vcc, v2, v11
	s_ashr_i32 s25, s24, 31
	v_subbrev_co_u32_e32 v7, vcc, 0, v3, vcc
	s_lshl_b64 s[12:13], s[24:25], 3
	v_mov_b32_e32 v8, s13
	v_add_co_u32_e32 v6, vcc, s12, v6
	v_addc_co_u32_e32 v7, vcc, v7, v8, vcc
	v_add_co_u32_e32 v6, vcc, 0xfffffef8, v6
	v_addc_co_u32_e32 v7, vcc, -1, v7, vcc
	v_cmp_gt_i32_e32 vcc, s24, v0
	s_sub_i32 s16, s24, 32
	v_mov_b32_e32 v8, 0
	v_cndmask_b32_e32 v7, v7, v5, vcc
	v_cndmask_b32_e32 v6, v6, v4, vcc
	v_cmp_gt_i32_e64 s[10:11], s16, v10
	v_mov_b32_e32 v9, v8
	s_and_saveexec_b64 s[14:15], s[10:11]
	s_cbranch_execz .LBB4_86
; %bb.85:
	global_load_dwordx2 v[8:9], v[6:7], off
.LBB4_86:
	s_or_b64 exec, exec, s[14:15]
	v_add_lshl_u32 v16, v1, v0, 3
	s_waitcnt vmcnt(0)
	ds_write_b64 v16, v[8:9]
	v_add_u32_e32 v8, 8, v10
	v_cmp_le_i32_e64 s[10:11], s16, v8
	s_and_saveexec_b64 s[14:15], s[10:11]
	s_xor_b64 s[10:11], exec, s[14:15]
	s_cbranch_execz .LBB4_88
; %bb.87:
	v_mul_u32_u24_e32 v9, 33, v8
	v_mov_b32_e32 v26, 0
	v_add_lshl_u32 v9, v9, v0, 3
	v_mov_b32_e32 v27, v26
	ds_write_b64 v9, v[26:27]
.LBB4_88:
	s_andn2_saveexec_b64 s[14:15], s[10:11]
	s_cbranch_execz .LBB4_90
; %bb.89:
	s_lshl_b64 s[10:11], s[20:21], 6
	v_mov_b32_e32 v9, s11
	v_add_co_u32_e64 v26, s[10:11], s10, v6
	v_addc_co_u32_e64 v27, s[10:11], v7, v9, s[10:11]
	global_load_dwordx2 v[26:27], v[26:27], off
	s_waitcnt vmcnt(0)
	ds_write_b64 v16, v[26:27] offset:2112
.LBB4_90:
	s_or_b64 exec, exec, s[14:15]
	v_add_u32_e32 v9, 16, v10
	v_cmp_le_i32_e64 s[10:11], s16, v9
	s_and_saveexec_b64 s[14:15], s[10:11]
	s_xor_b64 s[10:11], exec, s[14:15]
	s_cbranch_execz .LBB4_92
; %bb.91:
	v_mov_b32_e32 v26, 0
	v_mov_b32_e32 v27, v26
	ds_write_b64 v16, v[26:27] offset:4224
.LBB4_92:
	s_andn2_saveexec_b64 s[14:15], s[10:11]
	s_cbranch_execz .LBB4_94
; %bb.93:
	s_lshl_b64 s[10:11], s[20:21], 7
	v_mov_b32_e32 v17, s11
	v_add_co_u32_e64 v26, s[10:11], s10, v6
	v_addc_co_u32_e64 v27, s[10:11], v7, v17, s[10:11]
	global_load_dwordx2 v[26:27], v[26:27], off
	s_waitcnt vmcnt(0)
	ds_write_b64 v16, v[26:27] offset:4224
.LBB4_94:
	s_or_b64 exec, exec, s[14:15]
	v_add_u32_e32 v21, 24, v10
	v_cmp_le_i32_e64 s[10:11], s16, v21
	s_and_saveexec_b64 s[14:15], s[10:11]
	s_xor_b64 s[10:11], exec, s[14:15]
	s_cbranch_execz .LBB4_96
; %bb.95:
	v_mov_b32_e32 v26, 0
	v_mov_b32_e32 v27, v26
	ds_write_b64 v16, v[26:27] offset:6336
                                        ; implicit-def: $vgpr16
.LBB4_96:
	s_andn2_saveexec_b64 s[10:11], s[10:11]
	s_cbranch_execz .LBB4_98
; %bb.97:
	v_mov_b32_e32 v17, 0xc0
	v_mad_u64_u32 v[26:27], s[14:15], s20, v17, v[6:7]
	v_add_u32_e32 v27, s39, v27
	global_load_dwordx2 v[26:27], v[26:27], off
	s_waitcnt vmcnt(0)
	ds_write_b64 v16, v[26:27] offset:6336
.LBB4_98:
	s_or_b64 exec, exec, s[10:11]
	v_add_co_u32_e64 v6, s[10:11], v6, v11
	v_addc_co_u32_e64 v7, s[10:11], 0, v7, s[10:11]
	v_mov_b32_e32 v11, s13
	v_subrev_co_u32_e64 v6, s[10:11], s12, v6
	v_subb_co_u32_e64 v7, s[10:11], v7, v11, s[10:11]
	v_add_co_u32_e64 v6, s[10:11], 8, v6
	v_addc_co_u32_e64 v7, s[10:11], 0, v7, s[10:11]
	v_cndmask_b32_e32 v17, v7, v5, vcc
	v_cndmask_b32_e32 v16, v6, v4, vcc
	s_branch .LBB4_116
.LBB4_99:
	v_cmp_eq_u32_e32 vcc, v21, v0
	s_and_saveexec_b64 s[16:17], vcc
	s_cbranch_execz .LBB4_101
; %bb.100:
	v_mul_u32_u24_e32 v4, 34, v0
	v_lshlrev_b32_e32 v4, 3, v4
	v_mov_b32_e32 v5, 0
	ds_write_b32 v4, v5 offset:4
.LBB4_101:
	s_or_b64 exec, exec, s[16:17]
	s_andn2_saveexec_b64 s[14:15], s[14:15]
	s_cbranch_execz .LBB4_74
.LBB4_102:
	ds_read_b64 v[4:5], v20
	s_waitcnt lgkmcnt(0)
	v_xor_b32_e32 v5, 0x80000000, v5
	ds_write_b64 v16, v[4:5]
	s_or_b64 exec, exec, s[14:15]
	s_and_saveexec_b64 s[14:15], s[8:9]
	s_xor_b64 s[8:9], exec, s[14:15]
	s_cbranch_execz .LBB4_75
.LBB4_103:
	ds_read_b64 v[4:5], v19
                                        ; implicit-def: $vgpr17
	s_waitcnt lgkmcnt(0)
	v_xor_b32_e32 v5, 0x80000000, v5
	ds_write_b64 v16, v[4:5] offset:8
	s_andn2_saveexec_b64 s[8:9], s[8:9]
	s_cbranch_execz .LBB4_76
.LBB4_104:
	v_cmp_eq_u32_e32 vcc, v17, v0
	s_and_saveexec_b64 s[14:15], vcc
	s_cbranch_execz .LBB4_106
; %bb.105:
	v_mul_u32_u24_e32 v4, 34, v0
	v_lshlrev_b32_e32 v4, 3, v4
	v_mov_b32_e32 v5, 0
	ds_write_b32 v4, v5 offset:4
.LBB4_106:
	s_or_b64 exec, exec, s[14:15]
	s_or_b64 exec, exec, s[8:9]
	s_and_saveexec_b64 s[8:9], s[10:11]
	s_xor_b64 s[8:9], exec, s[8:9]
	s_cbranch_execz .LBB4_77
.LBB4_107:
	v_cmp_eq_u32_e32 vcc, v25, v0
	s_and_saveexec_b64 s[10:11], vcc
	s_cbranch_execz .LBB4_109
; %bb.108:
	v_mul_u32_u24_e32 v4, 34, v0
	v_lshlrev_b32_e32 v4, 3, v4
	v_mov_b32_e32 v5, 0
	ds_write_b32 v4, v5 offset:4
.LBB4_109:
	s_or_b64 exec, exec, s[10:11]
	s_andn2_saveexec_b64 s[8:9], s[8:9]
	s_cbranch_execz .LBB4_78
.LBB4_110:
	ds_read_b64 v[4:5], v19 offset:264
	s_waitcnt lgkmcnt(0)
	v_xor_b32_e32 v5, 0x80000000, v5
	ds_write_b64 v16, v[4:5] offset:16
	s_or_b64 exec, exec, s[8:9]
	s_and_saveexec_b64 s[8:9], s[12:13]
	s_xor_b64 s[8:9], exec, s[8:9]
	s_cbranch_execz .LBB4_79
.LBB4_111:
	v_cmp_eq_u32_e32 vcc, v26, v0
	s_and_saveexec_b64 s[10:11], vcc
	s_cbranch_execz .LBB4_113
; %bb.112:
	v_mul_u32_u24_e32 v4, 34, v0
	v_lshlrev_b32_e32 v4, 3, v4
	v_mov_b32_e32 v5, 0
	ds_write_b32 v4, v5 offset:4
.LBB4_113:
	s_or_b64 exec, exec, s[10:11]
                                        ; implicit-def: $vgpr16
	s_or_saveexec_b64 s[8:9], s[8:9]
	v_add_u32_e32 v25, 0x2380, v27
	s_xor_b64 exec, exec, s[8:9]
	s_cbranch_execnz .LBB4_80
	s_branch .LBB4_81
.LBB4_114:
                                        ; implicit-def: $vgpr16_vgpr17
                                        ; implicit-def: $vgpr8
                                        ; implicit-def: $vgpr9
                                        ; implicit-def: $vgpr21
	s_cbranch_execz .LBB4_116
; %bb.115:
	s_lshl_b64 s[10:11], s[20:21], 6
	v_mov_b32_e32 v9, s11
	v_add_co_u32_e32 v6, vcc, s10, v2
	v_addc_co_u32_e32 v7, vcc, v3, v9, vcc
	v_add_co_u32_e32 v8, vcc, s10, v6
	v_addc_co_u32_e32 v9, vcc, v7, v9, vcc
	global_load_dwordx2 v[16:17], v[6:7], off offset:-256
	global_load_dwordx2 v[26:27], v[8:9], off offset:-256
	v_mov_b32_e32 v8, 0xc0
	global_load_dwordx2 v[6:7], v[2:3], off offset:-256
	v_mad_u64_u32 v[2:3], s[10:11], s20, v8, v[2:3]
	v_add_u32_e32 v3, s39, v3
	global_load_dwordx2 v[2:3], v[2:3], off offset:-256
	v_add_lshl_u32 v0, v1, v0, 3
	v_add_u32_e32 v8, 8, v10
	v_add_u32_e32 v9, 16, v10
	;; [unrolled: 1-line block ×3, first 2 shown]
	s_waitcnt vmcnt(1)
	ds_write_b64 v0, v[6:7]
	ds_write_b64 v0, v[16:17] offset:2112
	ds_write_b64 v0, v[26:27] offset:4224
	s_waitcnt vmcnt(0)
	ds_write_b64 v0, v[2:3] offset:6336
	v_pk_mov_b32 v[16:17], v[4:5], v[4:5] op_sel:[0,1]
.LBB4_116:
	s_waitcnt lgkmcnt(0)
	s_barrier
	ds_read_b64 v[26:27], v23
	v_add_lshl_u32 v0, v9, v18, 3
	ds_read_b64 v[32:33], v0
	v_lshlrev_b32_e32 v4, 3, v10
	v_add_lshl_u32 v5, v8, v18, 3
	v_lshlrev_b32_e32 v6, 3, v8
	v_lshlrev_b32_e32 v7, 3, v9
	v_add_lshl_u32 v18, v21, v18, 3
	v_lshlrev_b32_e32 v40, 3, v21
	ds_read2_b64 v[0:3], v19 offset1:33
	ds_read_b64 v[20:21], v20
	ds_read_b128 v[8:11], v25 offset:256
	ds_read_b64 v[34:35], v6 offset:9088
	ds_read_b64 v[36:37], v5
	ds_read_b64 v[38:39], v4 offset:9088
	ds_read_b64 v[40:41], v40 offset:9088
	ds_read_b64 v[42:43], v18
	ds_read_b64 v[44:45], v7 offset:9088
	ds_read_b64 v[18:19], v19 offset:528
	ds_read_b128 v[4:7], v25 offset:272
	s_waitcnt lgkmcnt(5)
	v_pk_mul_f32 v[46:47], v[26:27], v[38:39] op_sel:[1,0]
	v_pk_mul_f32 v[48:49], v[36:37], v[34:35] op_sel:[1,0]
	v_pk_fma_f32 v[54:55], v[26:27], v[38:39], v[46:47] op_sel:[0,0,1] op_sel_hi:[1,1,0]
	v_pk_fma_f32 v[26:27], v[26:27], v[38:39], v[46:47] op_sel:[0,0,1] op_sel_hi:[0,1,0] neg_lo:[0,0,1] neg_hi:[0,0,1]
	s_waitcnt lgkmcnt(2)
	v_pk_mul_f32 v[50:51], v[32:33], v[44:45] op_sel:[1,0]
	v_mov_b32_e32 v55, v27
	v_pk_fma_f32 v[38:39], v[36:37], v[34:35], v[48:49] op_sel:[0,0,1] op_sel_hi:[1,1,0]
	v_pk_fma_f32 v[34:35], v[36:37], v[34:35], v[48:49] op_sel:[0,0,1] op_sel_hi:[0,1,0] neg_lo:[0,0,1] neg_hi:[0,0,1]
	v_pk_add_f32 v[26:27], v[54:55], 0 op_sel_hi:[1,0]
	v_mov_b32_e32 v39, v35
	v_pk_fma_f32 v[34:35], v[32:33], v[44:45], v[50:51] op_sel:[0,0,1] op_sel_hi:[1,1,0]
	v_pk_fma_f32 v[32:33], v[32:33], v[44:45], v[50:51] op_sel:[0,0,1] op_sel_hi:[0,1,0] neg_lo:[0,0,1] neg_hi:[0,0,1]
	v_pk_mul_f32 v[52:53], v[42:43], v[40:41] op_sel:[1,0]
	v_pk_add_f32 v[26:27], v[26:27], v[38:39]
	v_mov_b32_e32 v35, v33
	v_pk_add_f32 v[26:27], v[26:27], v[34:35]
	v_pk_fma_f32 v[32:33], v[42:43], v[40:41], v[52:53] op_sel:[0,0,1] op_sel_hi:[1,1,0]
	v_pk_fma_f32 v[34:35], v[42:43], v[40:41], v[52:53] op_sel:[0,0,1] op_sel_hi:[0,1,0] neg_lo:[0,0,1] neg_hi:[0,0,1]
	v_mov_b32_e32 v33, v35
	v_pk_add_f32 v[26:27], v[26:27], v[32:33]
	s_waitcnt lgkmcnt(0)
	s_barrier
	ds_write_b64 v23, v[26:27]
	s_waitcnt lgkmcnt(0)
	s_barrier
	s_and_saveexec_b64 s[10:11], s[8:9]
	s_cbranch_execz .LBB4_118
; %bb.117:
	ds_read2_b64 v[32:35], v24 offset1:1
	ds_read2_b64 v[36:39], v24 offset0:2 offset1:3
	ds_read2_b64 v[40:43], v24 offset0:6 offset1:7
	s_waitcnt lgkmcnt(2)
	v_pk_add_f32 v[26:27], v[30:31], v[32:33]
	ds_read2_b64 v[30:33], v24 offset0:4 offset1:5
	v_pk_add_f32 v[26:27], v[26:27], v[34:35]
	s_waitcnt lgkmcnt(2)
	v_pk_add_f32 v[26:27], v[26:27], v[36:37]
	v_pk_add_f32 v[26:27], v[26:27], v[38:39]
	s_waitcnt lgkmcnt(0)
	v_pk_add_f32 v[26:27], v[26:27], v[30:31]
	v_pk_add_f32 v[26:27], v[26:27], v[32:33]
	;; [unrolled: 1-line block ×4, first 2 shown]
.LBB4_118:
	s_or_b64 exec, exec, s[10:11]
	v_pk_mul_f32 v[26:27], v[8:9], v[20:21] op_sel:[0,1]
	v_pk_fma_f32 v[32:33], v[8:9], v[20:21], v[26:27] op_sel:[0,0,1] op_sel_hi:[1,1,0] neg_lo:[0,0,1] neg_hi:[0,0,1]
	v_pk_fma_f32 v[8:9], v[8:9], v[20:21], v[26:27] op_sel:[0,0,1] op_sel_hi:[1,0,0]
	v_pk_mul_f32 v[20:21], v[10:11], v[0:1] op_sel:[0,1]
	v_mov_b32_e32 v33, v9
	v_pk_fma_f32 v[26:27], v[10:11], v[0:1], v[20:21] op_sel:[0,0,1] op_sel_hi:[1,1,0] neg_lo:[0,0,1] neg_hi:[0,0,1]
	v_pk_fma_f32 v[0:1], v[10:11], v[0:1], v[20:21] op_sel:[0,0,1] op_sel_hi:[1,0,0]
	v_pk_add_f32 v[8:9], v[32:33], 0 op_sel_hi:[1,0]
	v_mov_b32_e32 v27, v1
	v_pk_add_f32 v[0:1], v[8:9], v[26:27]
	v_pk_mul_f32 v[8:9], v[4:5], v[2:3] op_sel:[0,1]
	v_pk_fma_f32 v[10:11], v[4:5], v[2:3], v[8:9] op_sel:[0,0,1] op_sel_hi:[1,1,0] neg_lo:[0,0,1] neg_hi:[0,0,1]
	v_pk_fma_f32 v[2:3], v[4:5], v[2:3], v[8:9] op_sel:[0,0,1] op_sel_hi:[1,0,0]
	v_mov_b32_e32 v11, v3
	v_pk_mul_f32 v[2:3], v[6:7], v[18:19] op_sel:[0,1]
	v_pk_fma_f32 v[4:5], v[6:7], v[18:19], v[2:3] op_sel:[0,0,1] op_sel_hi:[1,1,0] neg_lo:[0,0,1] neg_hi:[0,0,1]
	v_pk_fma_f32 v[2:3], v[6:7], v[18:19], v[2:3] op_sel:[0,0,1] op_sel_hi:[1,0,0]
	v_pk_add_f32 v[0:1], v[0:1], v[10:11]
	v_mov_b32_e32 v5, v3
	v_pk_add_f32 v[0:1], v[0:1], v[4:5]
	s_barrier
	ds_write_b64 v23, v[0:1]
	s_waitcnt lgkmcnt(0)
	s_barrier
	s_and_saveexec_b64 s[8:9], s[2:3]
	s_cbranch_execz .LBB4_120
; %bb.119:
	ds_read2_b64 v[0:3], v24 offset1:1
	ds_read2_b64 v[4:7], v24 offset0:2 offset1:3
	ds_read2_b64 v[8:11], v24 offset0:4 offset1:5
	s_waitcnt lgkmcnt(2)
	v_pk_add_f32 v[0:1], v[30:31], v[0:1]
	v_pk_add_f32 v[18:19], v[0:1], v[2:3]
	ds_read2_b64 v[0:3], v24 offset0:6 offset1:7
	s_waitcnt lgkmcnt(2)
	v_pk_add_f32 v[4:5], v[18:19], v[4:5]
	v_pk_add_f32 v[4:5], v[4:5], v[6:7]
	s_waitcnt lgkmcnt(1)
	v_pk_add_f32 v[4:5], v[4:5], v[8:9]
	v_pk_add_f32 v[4:5], v[4:5], v[10:11]
	;; [unrolled: 3-line block ×3, first 2 shown]
.LBB4_120:
	s_or_b64 exec, exec, s[8:9]
	s_load_dwordx2 s[2:3], s[4:5], 0x68
	s_mul_hi_u32 s4, s37, s7
	s_mul_i32 s38, s38, s7
	s_add_i32 s4, s4, s38
	s_mul_i32 s7, s37, s7
	s_mul_i32 s4, s4, s33
	s_mul_hi_u32 s5, s7, s33
	s_add_i32 s5, s5, s4
	s_mul_i32 s4, s7, s33
	s_lshl_b64 s[4:5], s[4:5], 3
	s_waitcnt lgkmcnt(0)
	s_add_u32 s4, s2, s4
	s_addc_u32 s5, s3, s5
	s_mul_hi_i32 s3, s37, s6
	s_mul_i32 s2, s37, s6
	s_lshl_b64 s[2:3], s[2:3], 3
	s_add_u32 s7, s4, s2
	s_addc_u32 s22, s5, s3
	s_add_i32 s2, s6, 1
	s_cmp_ge_u32 s2, s33
	v_lshlrev_b32_e32 v32, 3, v65
	s_barrier
	s_cbranch_scc1 .LBB4_178
; %bb.121:
	s_mul_i32 s2, s26, s29
	s_mul_hi_u32 s3, s26, s28
	s_add_i32 s2, s3, s2
	s_mul_i32 s3, s27, s28
	s_add_i32 s3, s2, s3
	s_mul_i32 s2, s26, s28
	s_lshl_b64 s[2:3], s[2:3], 3
	v_mov_b32_e32 v0, s3
	v_subrev_co_u32_e32 v123, vcc, s2, v14
	v_and_b32_e32 v1, 48, v65
	v_subb_co_u32_e32 v124, vcc, v15, v0, vcc
	v_and_b32_e32 v0, 15, v65
	v_lshlrev_b32_e32 v2, 3, v1
	s_movk_i32 s4, 0x218
	v_lshrrev_b32_e32 v4, 4, v22
	v_mad_u32_u24 v125, v0, s4, v2
	v_or_b32_e32 v2, 0x78, v32
	v_lshlrev_b32_e32 v5, 5, v109
	v_mad_u32_u24 v126, v0, s4, v2
	v_lshlrev_b32_e32 v2, 5, v4
	v_add_u32_e32 v3, 0x100, v5
	v_mad_u32_u24 v127, v0, s4, v2
	v_or_b32_e32 v128, v1, v0
	v_mad_u64_u32 v[0:1], s[4:5], s20, v3, 0
	v_mov_b32_e32 v2, v1
	v_mad_u64_u32 v[2:3], s[4:5], s21, v3, v[2:3]
	v_mov_b32_e32 v1, v2
	v_sub_co_u32_e32 v0, vcc, v0, v12
	v_subb_co_u32_e32 v1, vcc, v1, v13, vcc
	v_add_co_u32_e32 v34, vcc, v16, v0
	v_add_u32_e32 v3, 0x110, v5
	v_addc_co_u32_e32 v33, vcc, v17, v1, vcc
	v_mad_u64_u32 v[0:1], s[4:5], s20, v3, 0
	v_mov_b32_e32 v2, v1
	v_mad_u64_u32 v[2:3], s[4:5], s21, v3, v[2:3]
	v_mov_b32_e32 v1, v2
	v_sub_co_u32_e32 v0, vcc, v0, v12
	v_subb_co_u32_e32 v1, vcc, v1, v13, vcc
	v_add_co_u32_e32 v36, vcc, v16, v0
	v_add_u32_e32 v3, 0x108, v5
	v_addc_co_u32_e32 v35, vcc, v17, v1, vcc
	;; [unrolled: 9-line block ×12, first 2 shown]
	v_mad_u64_u32 v[0:1], s[4:5], s20, v3, 0
	v_mov_b32_e32 v2, v1
	v_mad_u64_u32 v[2:3], s[4:5], s21, v3, v[2:3]
	v_mov_b32_e32 v1, v2
	v_sub_co_u32_e32 v6, vcc, v0, v12
	v_add_u32_e32 v3, 0x288, v5
	v_subb_co_u32_e32 v7, vcc, v1, v13, vcc
	v_mad_u64_u32 v[0:1], s[4:5], s20, v3, 0
	v_mov_b32_e32 v2, v1
	v_mad_u64_u32 v[2:3], s[4:5], s21, v3, v[2:3]
	v_mov_b32_e32 v1, v2
	v_sub_co_u32_e32 v8, vcc, v0, v12
	v_add_u32_e32 v3, 0x290, v5
	v_subb_co_u32_e32 v9, vcc, v1, v13, vcc
	;; [unrolled: 7-line block ×3, first 2 shown]
	v_mad_u64_u32 v[0:1], s[4:5], s20, v3, 0
	v_mov_b32_e32 v2, v1
	v_add_co_u32_e32 v58, vcc, v16, v6
	v_mad_u64_u32 v[2:3], s[4:5], s21, v3, v[2:3]
	v_addc_co_u32_e32 v57, vcc, v17, v7, vcc
	v_mov_b32_e32 v1, v2
	v_sub_co_u32_e32 v0, vcc, v0, v12
	v_subb_co_u32_e32 v1, vcc, v1, v13, vcc
	v_add_co_u32_e32 v60, vcc, v16, v8
	v_addc_co_u32_e32 v59, vcc, v17, v9, vcc
	v_add_co_u32_e32 v62, vcc, v16, v10
	v_addc_co_u32_e32 v61, vcc, v17, v11, vcc
	v_add_co_u32_e32 v64, vcc, v16, v0
	s_movk_i32 s4, 0x860
	v_mul_i32_i24_e32 v0, 0xffffffe8, v4
	v_lshlrev_b32_e32 v131, 2, v109
	v_cmp_gt_u32_e64 s[2:3], 64, v22
	v_addc_co_u32_e32 v63, vcc, v17, v1, vcc
	s_add_i32 s23, s33, -2
	v_add_u32_e32 v129, 0x2180, v5
	s_add_i32 s25, s26, 64
	s_lshl_b64 s[10:11], s[20:21], 9
	s_mov_b32 s12, 0
	v_add_u32_e32 v130, v127, v0
	v_add_u32_e32 v132, 0x2180, v32
	;; [unrolled: 1-line block ×3, first 2 shown]
	v_or_b32_e32 v134, 1, v131
	v_or_b32_e32 v135, 2, v131
	;; [unrolled: 1-line block ×3, first 2 shown]
	v_mad_u32_u24 v137, v109, s4, v32
	v_add_u32_e32 v138, 16, v131
	v_add_u32_e32 v139, 17, v131
	;; [unrolled: 1-line block ×12, first 2 shown]
	v_mov_b32_e32 v66, 0
	s_branch .LBB4_123
.LBB4_122:                              ;   in Loop: Header=BB4_123 Depth=1
	s_or_b64 exec, exec, s[4:5]
	v_mul_f32_e32 v0, v69, v77
	v_fma_f32 v0, v68, v76, -v0
	v_mul_f32_e32 v2, v71, v79
	v_add_f32_e32 v0, v30, v0
	v_fma_f32 v2, v70, v78, -v2
	v_add_f32_e32 v0, v0, v2
	v_mul_f32_e32 v2, v73, v81
	v_fma_f32 v2, v72, v80, -v2
	v_mul_f32_e32 v1, v68, v77
	v_add_f32_e32 v0, v0, v2
	v_mul_f32_e32 v2, v75, v83
	v_mul_f32_e32 v3, v70, v79
	v_fma_f32 v2, v74, v82, -v2
	v_fmac_f32_e32 v1, v69, v76
	v_mul_f32_e32 v4, v72, v81
	v_add_f32_e32 v0, v0, v2
	v_add_f32_e32 v1, v31, v1
	v_fmac_f32_e32 v3, v71, v78
	v_mul_f32_e32 v2, v85, v93
	v_mul_f32_e32 v5, v74, v83
	v_add_f32_e32 v1, v1, v3
	v_fmac_f32_e32 v4, v73, v80
	v_fma_f32 v2, v84, v92, -v2
	v_add_f32_e32 v1, v1, v4
	v_fmac_f32_e32 v5, v75, v82
	v_mul_f32_e32 v6, v84, v93
	v_add_f32_e32 v0, v0, v2
	v_mul_f32_e32 v2, v87, v95
	v_add_f32_e32 v1, v1, v5
	v_fma_f32 v2, v86, v94, -v2
	v_mul_f32_e32 v7, v86, v95
	v_fmac_f32_e32 v6, v85, v92
	v_add_f32_e32 v0, v0, v2
	v_mul_f32_e32 v2, v89, v97
	v_mul_f32_e32 v3, v88, v97
	v_add_f32_e32 v1, v1, v6
	v_fmac_f32_e32 v7, v87, v94
	v_fma_f32 v2, v88, v96, -v2
	v_mul_f32_e32 v4, v91, v99
	v_mul_f32_e32 v5, v90, v99
	v_add_f32_e32 v1, v1, v7
	v_fmac_f32_e32 v3, v89, v96
	v_fma_f32 v4, v90, v98, -v4
	v_pk_add_f32 v[0:1], v[0:1], v[2:3]
	v_fmac_f32_e32 v5, v91, v98
	v_pk_mul_f32 v[2:3], v[100:101], v[110:111] op_sel:[1,0]
	v_pk_add_f32 v[0:1], v[0:1], v[4:5]
	v_pk_fma_f32 v[4:5], v[100:101], v[110:111], v[2:3] op_sel:[0,0,1] op_sel_hi:[1,1,0] neg_lo:[0,0,1] neg_hi:[0,0,1]
	v_pk_fma_f32 v[2:3], v[100:101], v[110:111], v[2:3] op_sel:[0,0,1] op_sel_hi:[0,1,0]
	v_mov_b32_e32 v5, v3
	v_pk_mul_f32 v[2:3], v[102:103], v[8:9] op_sel:[1,0]
	v_pk_add_f32 v[0:1], v[0:1], v[4:5]
	v_pk_fma_f32 v[4:5], v[102:103], v[8:9], v[2:3] op_sel:[0,0,1] op_sel_hi:[1,1,0] neg_lo:[0,0,1] neg_hi:[0,0,1]
	v_pk_fma_f32 v[2:3], v[102:103], v[8:9], v[2:3] op_sel:[0,0,1] op_sel_hi:[0,1,0]
	v_mov_b32_e32 v5, v3
	;; [unrolled: 5-line block ×3, first 2 shown]
	v_pk_mul_f32 v[2:3], v[108:109], v[112:113] op_sel_hi:[0,1]
	v_pk_add_f32 v[0:1], v[0:1], v[4:5]
	v_pk_fma_f32 v[4:5], v[106:107], v[112:113], v[2:3] op_sel:[0,0,1] op_sel_hi:[1,1,0] neg_lo:[0,0,1] neg_hi:[0,0,1]
	v_pk_fma_f32 v[2:3], v[106:107], v[112:113], v[2:3] op_sel:[0,0,1] op_sel_hi:[0,1,0]
	v_mov_b32_e32 v5, v3
	v_pk_mul_f32 v[2:3], v[114:115], v[16:17] op_sel:[1,0]
	v_pk_add_f32 v[0:1], v[0:1], v[4:5]
	v_pk_fma_f32 v[4:5], v[114:115], v[16:17], v[2:3] op_sel:[0,0,1] op_sel_hi:[1,1,0] neg_lo:[0,0,1] neg_hi:[0,0,1]
	v_pk_fma_f32 v[2:3], v[114:115], v[16:17], v[2:3] op_sel:[0,0,1] op_sel_hi:[0,1,0]
	v_mov_b32_e32 v5, v3
	v_pk_mul_f32 v[2:3], v[116:117], v[18:19] op_sel:[1,0]
	v_pk_fma_f32 v[6:7], v[116:117], v[18:19], v[2:3] op_sel:[0,0,1] op_sel_hi:[1,1,0] neg_lo:[0,0,1] neg_hi:[0,0,1]
	v_pk_fma_f32 v[2:3], v[116:117], v[18:19], v[2:3] op_sel:[0,0,1] op_sel_hi:[0,1,0]
	v_mov_b32_e32 v7, v3
	v_pk_mul_f32 v[2:3], v[118:119], v[12:13] op_sel:[1,0]
	v_pk_fma_f32 v[8:9], v[118:119], v[12:13], v[2:3] op_sel:[0,0,1] op_sel_hi:[1,1,0] neg_lo:[0,0,1] neg_hi:[0,0,1]
	v_pk_fma_f32 v[2:3], v[118:119], v[12:13], v[2:3] op_sel:[0,0,1] op_sel_hi:[0,1,0]
	v_mov_b32_e32 v9, v3
	v_pk_mul_f32 v[2:3], v[122:123], v[14:15] op_sel_hi:[0,1]
	v_pk_add_f32 v[0:1], v[0:1], v[4:5]
	v_pk_fma_f32 v[10:11], v[120:121], v[14:15], v[2:3] op_sel:[0,0,1] op_sel_hi:[1,1,0] neg_lo:[0,0,1] neg_hi:[0,0,1]
	v_pk_fma_f32 v[2:3], v[120:121], v[14:15], v[2:3] op_sel:[0,0,1] op_sel_hi:[0,1,0]
	v_pk_add_f32 v[0:1], v[0:1], v[6:7]
	v_mov_b32_e32 v11, v3
	v_pk_add_f32 v[0:1], v[0:1], v[8:9]
	v_pk_add_f32 v[30:31], v[0:1], v[10:11]
	v_mov_b32_e32 v0, s11
	v_add_co_u32_e32 v34, vcc, s10, v34
	v_addc_co_u32_e32 v33, vcc, v33, v0, vcc
	v_add_co_u32_e32 v36, vcc, s10, v36
	v_addc_co_u32_e32 v35, vcc, v35, v0, vcc
	;; [unrolled: 2-line block ×15, first 2 shown]
	s_add_i32 s4, s6, 1
	s_add_i32 s25, s25, 64
	;; [unrolled: 1-line block ×3, first 2 shown]
	v_add_co_u32_e32 v64, vcc, s10, v64
	v_addc_co_u32_e32 v63, vcc, v63, v0, vcc
	s_cmp_ge_u32 s5, s33
	s_mov_b32 s6, s4
	s_barrier
	s_cbranch_scc1 .LBB4_178
.LBB4_123:                              ; =>This Inner Loop Header: Depth=1
	s_cmp_eq_u32 s23, s6
	s_cselect_b32 s20, s36, 0
	s_and_saveexec_b64 s[4:5], s[0:1]
	s_cbranch_execz .LBB4_128
; %bb.124:                              ;   in Loop: Header=BB4_123 Depth=1
	s_cmp_lg_u32 s20, 0
	s_cselect_b64 s[8:9], -1, 0
	v_cmp_le_i32_e32 vcc, s20, v65
	s_and_b64 s[8:9], s[8:9], vcc
	s_and_saveexec_b64 s[14:15], s[8:9]
	s_xor_b64 s[8:9], exec, s[14:15]
	s_cbranch_execz .LBB4_126
; %bb.125:                              ;   in Loop: Header=BB4_123 Depth=1
	v_mov_b32_e32 v67, v66
	ds_write_b64 v132, v[66:67]
.LBB4_126:                              ;   in Loop: Header=BB4_123 Depth=1
	s_andn2_saveexec_b64 s[8:9], s[8:9]
	s_cbranch_execz .LBB4_128
; %bb.127:                              ;   in Loop: Header=BB4_123 Depth=1
	s_ashr_i32 s8, s25, 31
	s_mul_i32 s9, s25, s29
	s_mul_hi_u32 s13, s25, s28
	s_add_i32 s9, s13, s9
	s_mul_i32 s8, s8, s28
	s_add_i32 s9, s9, s8
	s_mul_i32 s8, s25, s28
	s_lshl_b64 s[8:9], s[8:9], 3
	v_mov_b32_e32 v1, s9
	v_add_co_u32_e32 v0, vcc, s8, v123
	v_addc_co_u32_e32 v1, vcc, v124, v1, vcc
	global_load_dwordx2 v[0:1], v[0:1], off
	s_waitcnt vmcnt(0)
	ds_write_b64 v132, v[0:1]
.LBB4_128:                              ;   in Loop: Header=BB4_123 Depth=1
	s_or_b64 exec, exec, s[4:5]
	s_cmp_eq_u32 s20, 0
	v_add_co_u32_e32 v0, vcc, v34, v32
	s_cselect_b64 s[14:15], -1, 0
	s_cmp_lg_u32 s20, 0
	v_addc_co_u32_e32 v1, vcc, 0, v33, vcc
	s_cselect_b64 s[8:9], -1, 0
	s_and_b64 vcc, exec, s[8:9]
	s_waitcnt lgkmcnt(0)
	s_barrier
	s_cbranch_vccz .LBB4_136
; %bb.129:                              ;   in Loop: Header=BB4_123 Depth=1
	s_mov_b32 s13, s12
	v_cmp_gt_i32_e32 vcc, s20, v131
	v_pk_mov_b32 v[68:69], s[12:13], s[12:13] op_sel:[0,1]
	s_and_saveexec_b64 s[4:5], vcc
	s_cbranch_execz .LBB4_131
; %bb.130:                              ;   in Loop: Header=BB4_123 Depth=1
	global_load_dwordx2 v[68:69], v[0:1], off
.LBB4_131:                              ;   in Loop: Header=BB4_123 Depth=1
	s_or_b64 exec, exec, s[4:5]
	v_cmp_gt_i32_e32 vcc, s20, v134
	v_pk_mov_b32 v[70:71], s[12:13], s[12:13] op_sel:[0,1]
	s_and_saveexec_b64 s[4:5], vcc
	s_cbranch_execz .LBB4_133
; %bb.132:                              ;   in Loop: Header=BB4_123 Depth=1
	v_add_co_u32_e32 v2, vcc, v38, v32
	v_addc_co_u32_e32 v3, vcc, 0, v37, vcc
	global_load_dwordx2 v[70:71], v[2:3], off
.LBB4_133:                              ;   in Loop: Header=BB4_123 Depth=1
	s_or_b64 exec, exec, s[4:5]
	s_mov_b32 s13, s12
	v_cmp_gt_i32_e32 vcc, s20, v135
	v_pk_mov_b32 v[72:73], s[12:13], s[12:13] op_sel:[0,1]
	s_and_saveexec_b64 s[4:5], vcc
	s_cbranch_execz .LBB4_135
; %bb.134:                              ;   in Loop: Header=BB4_123 Depth=1
	v_add_co_u32_e32 v2, vcc, v36, v32
	v_addc_co_u32_e32 v3, vcc, 0, v35, vcc
	global_load_dwordx2 v[72:73], v[2:3], off
.LBB4_135:                              ;   in Loop: Header=BB4_123 Depth=1
	s_or_b64 exec, exec, s[4:5]
	v_cmp_gt_i32_e64 s[4:5], s20, v136
	s_mov_b32 s13, 0
	s_branch .LBB4_138
.LBB4_136:                              ;   in Loop: Header=BB4_123 Depth=1
	s_mov_b64 s[4:5], 0
                                        ; implicit-def: $sgpr13
                                        ; implicit-def: $vgpr72_vgpr73
                                        ; implicit-def: $vgpr70_vgpr71
                                        ; implicit-def: $vgpr68_vgpr69
	s_cbranch_execz .LBB4_138
; %bb.137:                              ;   in Loop: Header=BB4_123 Depth=1
	global_load_dwordx2 v[68:69], v[0:1], off
	v_add_co_u32_e32 v0, vcc, v38, v32
	v_addc_co_u32_e32 v1, vcc, 0, v37, vcc
	global_load_dwordx2 v[70:71], v[0:1], off
	v_add_co_u32_e32 v0, vcc, v36, v32
	v_addc_co_u32_e32 v1, vcc, 0, v35, vcc
	global_load_dwordx2 v[72:73], v[0:1], off
	s_or_b64 s[4:5], s[4:5], exec
                                        ; implicit-def: $sgpr13
.LBB4_138:                              ;   in Loop: Header=BB4_123 Depth=1
	v_mov_b32_e32 v74, s13
	v_mov_b32_e32 v75, s13
	s_and_saveexec_b64 s[16:17], s[4:5]
	s_cbranch_execz .LBB4_140
; %bb.139:                              ;   in Loop: Header=BB4_123 Depth=1
	v_add_co_u32_e32 v0, vcc, v40, v32
	v_addc_co_u32_e32 v1, vcc, 0, v39, vcc
	global_load_dwordx2 v[74:75], v[0:1], off
.LBB4_140:                              ;   in Loop: Header=BB4_123 Depth=1
	s_or_b64 exec, exec, s[16:17]
	ds_read_b64 v[0:1], v133
	ds_read_b64 v[76:77], v129
	v_cndmask_b32_e64 v8, 0, 1, s[8:9]
	v_cmp_ne_u32_e64 s[4:5], 1, v8
	s_andn2_b64 vcc, exec, s[8:9]
	s_waitcnt vmcnt(0) lgkmcnt(1)
	v_mul_f32_e32 v2, v69, v1
	v_mul_f32_e32 v3, v69, v0
	v_fmac_f32_e32 v2, v68, v0
	v_fma_f32 v3, v68, v1, -v3
	v_mul_f32_e32 v4, v71, v1
	ds_write_b64 v137, v[2:3]
	v_mul_f32_e32 v2, v71, v0
	v_fmac_f32_e32 v4, v70, v0
	v_fma_f32 v5, v70, v1, -v2
	v_mul_f32_e32 v2, v73, v1
	v_mul_f32_e32 v3, v73, v0
	ds_read_b64 v[78:79], v129 offset:8
	ds_write_b64 v137, v[4:5] offset:536
	v_fmac_f32_e32 v2, v72, v0
	v_fma_f32 v3, v72, v1, -v3
	ds_read_b64 v[80:81], v129 offset:16
	ds_write_b64 v137, v[2:3] offset:1072
	v_mul_f32_e32 v2, v75, v1
	v_fmac_f32_e32 v2, v74, v0
	v_mul_f32_e32 v0, v75, v0
	v_fma_f32 v3, v74, v1, -v0
	ds_read_b64 v[82:83], v129 offset:24
	ds_write_b64 v137, v[2:3] offset:1608
	s_waitcnt lgkmcnt(0)
	s_barrier
	ds_read2_b64 v[4:7], v127 offset1:1
	ds_read2_b64 v[0:3], v127 offset0:2 offset1:3
	v_add_co_u32_e64 v8, s[8:9], v42, v32
	v_addc_co_u32_e64 v9, s[8:9], 0, v41, s[8:9]
	s_waitcnt lgkmcnt(0)
	s_barrier
	s_cbranch_vccnz .LBB4_148
; %bb.141:                              ;   in Loop: Header=BB4_123 Depth=1
	s_mov_b32 s13, s12
	v_cmp_gt_i32_e32 vcc, s20, v138
	v_pk_mov_b32 v[84:85], s[12:13], s[12:13] op_sel:[0,1]
	s_and_saveexec_b64 s[8:9], vcc
	s_cbranch_execz .LBB4_143
; %bb.142:                              ;   in Loop: Header=BB4_123 Depth=1
	global_load_dwordx2 v[84:85], v[8:9], off
.LBB4_143:                              ;   in Loop: Header=BB4_123 Depth=1
	s_or_b64 exec, exec, s[8:9]
	v_cmp_gt_i32_e32 vcc, s20, v139
	v_pk_mov_b32 v[86:87], s[12:13], s[12:13] op_sel:[0,1]
	s_and_saveexec_b64 s[8:9], vcc
	s_cbranch_execz .LBB4_145
; %bb.144:                              ;   in Loop: Header=BB4_123 Depth=1
	v_add_co_u32_e32 v10, vcc, v44, v32
	v_addc_co_u32_e32 v11, vcc, 0, v43, vcc
	global_load_dwordx2 v[86:87], v[10:11], off
.LBB4_145:                              ;   in Loop: Header=BB4_123 Depth=1
	s_or_b64 exec, exec, s[8:9]
	s_mov_b32 s13, s12
	v_cmp_gt_i32_e32 vcc, s20, v140
	v_pk_mov_b32 v[88:89], s[12:13], s[12:13] op_sel:[0,1]
	s_and_saveexec_b64 s[8:9], vcc
	s_cbranch_execz .LBB4_147
; %bb.146:                              ;   in Loop: Header=BB4_123 Depth=1
	v_add_co_u32_e32 v10, vcc, v46, v32
	v_addc_co_u32_e32 v11, vcc, 0, v45, vcc
	global_load_dwordx2 v[88:89], v[10:11], off
.LBB4_147:                              ;   in Loop: Header=BB4_123 Depth=1
	s_or_b64 exec, exec, s[8:9]
	v_cmp_gt_i32_e64 s[8:9], s20, v141
	s_mov_b32 s13, 0
	s_branch .LBB4_150
.LBB4_148:                              ;   in Loop: Header=BB4_123 Depth=1
	s_mov_b64 s[8:9], 0
                                        ; implicit-def: $sgpr13
                                        ; implicit-def: $vgpr88_vgpr89
                                        ; implicit-def: $vgpr86_vgpr87
                                        ; implicit-def: $vgpr84_vgpr85
	s_cbranch_execz .LBB4_150
; %bb.149:                              ;   in Loop: Header=BB4_123 Depth=1
	global_load_dwordx2 v[84:85], v[8:9], off
	v_add_co_u32_e32 v8, vcc, v44, v32
	v_addc_co_u32_e32 v9, vcc, 0, v43, vcc
	global_load_dwordx2 v[86:87], v[8:9], off
	v_add_co_u32_e32 v8, vcc, v46, v32
	v_addc_co_u32_e32 v9, vcc, 0, v45, vcc
	global_load_dwordx2 v[88:89], v[8:9], off
	s_or_b64 s[8:9], s[8:9], exec
                                        ; implicit-def: $sgpr13
.LBB4_150:                              ;   in Loop: Header=BB4_123 Depth=1
	v_mov_b32_e32 v90, s13
	v_mov_b32_e32 v91, s13
	s_and_saveexec_b64 s[16:17], s[8:9]
	s_cbranch_execz .LBB4_152
; %bb.151:                              ;   in Loop: Header=BB4_123 Depth=1
	v_add_co_u32_e32 v8, vcc, v48, v32
	v_addc_co_u32_e32 v9, vcc, 0, v47, vcc
	global_load_dwordx2 v[90:91], v[8:9], off
.LBB4_152:                              ;   in Loop: Header=BB4_123 Depth=1
	s_or_b64 exec, exec, s[16:17]
	ds_read_b64 v[8:9], v133
	ds_read_b64 v[92:93], v129 offset:128
	s_and_b64 vcc, exec, s[4:5]
	s_waitcnt vmcnt(0) lgkmcnt(1)
	v_mul_f32_e32 v10, v85, v9
	v_mul_f32_e32 v11, v85, v8
	v_fmac_f32_e32 v10, v84, v8
	v_fma_f32 v11, v84, v9, -v11
	v_mul_f32_e32 v12, v87, v9
	ds_write_b64 v137, v[10:11]
	v_mul_f32_e32 v10, v87, v8
	v_fmac_f32_e32 v12, v86, v8
	v_fma_f32 v13, v86, v9, -v10
	v_mul_f32_e32 v10, v89, v9
	v_mul_f32_e32 v11, v89, v8
	ds_read_b64 v[94:95], v129 offset:136
	ds_write_b64 v137, v[12:13] offset:536
	v_fmac_f32_e32 v10, v88, v8
	v_fma_f32 v11, v88, v9, -v11
	ds_read_b64 v[96:97], v129 offset:144
	ds_write_b64 v137, v[10:11] offset:1072
	v_mul_f32_e32 v10, v91, v9
	v_fmac_f32_e32 v10, v90, v8
	v_mul_f32_e32 v8, v91, v8
	v_fma_f32 v11, v90, v9, -v8
	ds_read_b64 v[98:99], v129 offset:152
	ds_write_b64 v137, v[10:11] offset:1608
	s_waitcnt lgkmcnt(0)
	s_barrier
	ds_read2_b64 v[16:19], v127 offset1:1
	ds_read2_b64 v[12:15], v127 offset0:2 offset1:3
	v_add_co_u32_e64 v8, s[8:9], v50, v32
	v_addc_co_u32_e64 v9, s[8:9], 0, v49, s[8:9]
	s_waitcnt lgkmcnt(0)
	s_barrier
	s_cbranch_vccnz .LBB4_160
; %bb.153:                              ;   in Loop: Header=BB4_123 Depth=1
	s_mov_b32 s13, s12
	v_cmp_gt_i32_e32 vcc, s20, v142
	v_pk_mov_b32 v[100:101], s[12:13], s[12:13] op_sel:[0,1]
	s_and_saveexec_b64 s[8:9], vcc
	s_cbranch_execz .LBB4_155
; %bb.154:                              ;   in Loop: Header=BB4_123 Depth=1
	global_load_dwordx2 v[100:101], v[8:9], off
.LBB4_155:                              ;   in Loop: Header=BB4_123 Depth=1
	s_or_b64 exec, exec, s[8:9]
	v_cmp_gt_i32_e32 vcc, s20, v143
	v_pk_mov_b32 v[102:103], s[12:13], s[12:13] op_sel:[0,1]
	s_and_saveexec_b64 s[8:9], vcc
	s_cbranch_execz .LBB4_157
; %bb.156:                              ;   in Loop: Header=BB4_123 Depth=1
	v_add_co_u32_e32 v10, vcc, v52, v32
	v_addc_co_u32_e32 v11, vcc, 0, v51, vcc
	global_load_dwordx2 v[102:103], v[10:11], off
.LBB4_157:                              ;   in Loop: Header=BB4_123 Depth=1
	s_or_b64 exec, exec, s[8:9]
	s_mov_b32 s13, s12
	v_cmp_gt_i32_e32 vcc, s20, v144
	v_pk_mov_b32 v[104:105], s[12:13], s[12:13] op_sel:[0,1]
	s_and_saveexec_b64 s[8:9], vcc
	s_cbranch_execz .LBB4_159
; %bb.158:                              ;   in Loop: Header=BB4_123 Depth=1
	v_add_co_u32_e32 v10, vcc, v54, v32
	v_addc_co_u32_e32 v11, vcc, 0, v53, vcc
	global_load_dwordx2 v[104:105], v[10:11], off
.LBB4_159:                              ;   in Loop: Header=BB4_123 Depth=1
	s_or_b64 exec, exec, s[8:9]
	v_cmp_gt_i32_e64 s[8:9], s20, v145
	s_mov_b32 s13, 0
	s_branch .LBB4_162
.LBB4_160:                              ;   in Loop: Header=BB4_123 Depth=1
	s_mov_b64 s[8:9], 0
                                        ; implicit-def: $sgpr13
                                        ; implicit-def: $vgpr104_vgpr105
                                        ; implicit-def: $vgpr102_vgpr103
                                        ; implicit-def: $vgpr100_vgpr101
	s_cbranch_execz .LBB4_162
; %bb.161:                              ;   in Loop: Header=BB4_123 Depth=1
	global_load_dwordx2 v[100:101], v[8:9], off
	v_add_co_u32_e32 v8, vcc, v52, v32
	v_addc_co_u32_e32 v9, vcc, 0, v51, vcc
	global_load_dwordx2 v[102:103], v[8:9], off
	v_add_co_u32_e32 v8, vcc, v54, v32
	v_addc_co_u32_e32 v9, vcc, 0, v53, vcc
	global_load_dwordx2 v[104:105], v[8:9], off
	s_or_b64 s[8:9], s[8:9], exec
                                        ; implicit-def: $sgpr13
.LBB4_162:                              ;   in Loop: Header=BB4_123 Depth=1
	v_mov_b32_e32 v106, s13
	v_mov_b32_e32 v108, s13
	s_and_saveexec_b64 s[16:17], s[8:9]
	s_cbranch_execz .LBB4_164
; %bb.163:                              ;   in Loop: Header=BB4_123 Depth=1
	v_add_co_u32_e32 v8, vcc, v56, v32
	v_addc_co_u32_e32 v9, vcc, 0, v55, vcc
	global_load_dwordx2 v[106:107], v[8:9], off
	s_waitcnt vmcnt(0)
	v_mov_b32_e32 v108, v107
.LBB4_164:                              ;   in Loop: Header=BB4_123 Depth=1
	s_or_b64 exec, exec, s[16:17]
	ds_read_b64 v[8:9], v133
	ds_read_b64 v[110:111], v129 offset:256
	s_and_b64 vcc, exec, s[4:5]
	v_add_co_u32_e64 v120, s[4:5], v58, v32
	s_waitcnt vmcnt(0) lgkmcnt(1)
	v_mul_f32_e32 v10, v101, v9
	v_mul_f32_e32 v11, v101, v8
	;; [unrolled: 1-line block ×4, first 2 shown]
	v_fmac_f32_e32 v10, v100, v8
	v_fma_f32 v11, v100, v9, -v11
	v_fmac_f32_e32 v20, v102, v8
	v_fma_f32 v21, v102, v9, -v21
	ds_write2_b64 v137, v[10:11], v[20:21] offset1:67
	v_mul_f32_e32 v10, v105, v9
	v_mul_f32_e32 v20, v108, v9
	v_fmac_f32_e32 v10, v104, v8
	v_mul_f32_e32 v11, v105, v8
	v_fmac_f32_e32 v20, v106, v8
	v_mul_f32_e32 v8, v108, v8
	v_fma_f32 v11, v104, v9, -v11
	v_fma_f32 v21, v106, v9, -v8
	ds_write2_b64 v137, v[10:11], v[20:21] offset0:134 offset1:201
	ds_read2_b64 v[8:11], v129 offset0:33 offset1:34
	ds_read_b64 v[112:113], v129 offset:280
	s_waitcnt lgkmcnt(0)
	s_barrier
	ds_read2_b64 v[24:27], v127 offset1:1
	ds_read2_b64 v[20:23], v127 offset0:2 offset1:3
	v_addc_co_u32_e64 v121, s[4:5], 0, v57, s[4:5]
	s_waitcnt lgkmcnt(0)
	s_barrier
	s_cbranch_vccnz .LBB4_172
; %bb.165:                              ;   in Loop: Header=BB4_123 Depth=1
	s_mov_b32 s13, s12
	v_cmp_gt_i32_e32 vcc, s20, v146
	v_pk_mov_b32 v[114:115], s[12:13], s[12:13] op_sel:[0,1]
	s_and_saveexec_b64 s[4:5], vcc
	s_cbranch_execz .LBB4_167
; %bb.166:                              ;   in Loop: Header=BB4_123 Depth=1
	global_load_dwordx2 v[114:115], v[120:121], off
.LBB4_167:                              ;   in Loop: Header=BB4_123 Depth=1
	s_or_b64 exec, exec, s[4:5]
	v_cmp_gt_i32_e32 vcc, s20, v147
	v_pk_mov_b32 v[116:117], s[12:13], s[12:13] op_sel:[0,1]
	s_and_saveexec_b64 s[4:5], vcc
	s_cbranch_execz .LBB4_169
; %bb.168:                              ;   in Loop: Header=BB4_123 Depth=1
	v_add_co_u32_e32 v116, vcc, v60, v32
	v_addc_co_u32_e32 v117, vcc, 0, v59, vcc
	global_load_dwordx2 v[116:117], v[116:117], off
.LBB4_169:                              ;   in Loop: Header=BB4_123 Depth=1
	s_or_b64 exec, exec, s[4:5]
	s_mov_b32 s13, s12
	v_cmp_gt_i32_e32 vcc, s20, v148
	v_pk_mov_b32 v[118:119], s[12:13], s[12:13] op_sel:[0,1]
	s_and_saveexec_b64 s[4:5], vcc
	s_cbranch_execz .LBB4_171
; %bb.170:                              ;   in Loop: Header=BB4_123 Depth=1
	v_add_co_u32_e32 v118, vcc, v62, v32
	v_addc_co_u32_e32 v119, vcc, 0, v61, vcc
	global_load_dwordx2 v[118:119], v[118:119], off
.LBB4_171:                              ;   in Loop: Header=BB4_123 Depth=1
	s_or_b64 exec, exec, s[4:5]
	v_cmp_gt_i32_e64 s[4:5], s20, v149
	s_mov_b32 s13, 0
	s_branch .LBB4_174
.LBB4_172:                              ;   in Loop: Header=BB4_123 Depth=1
	s_mov_b64 s[4:5], 0
                                        ; implicit-def: $sgpr13
                                        ; implicit-def: $vgpr118_vgpr119
                                        ; implicit-def: $vgpr116_vgpr117
                                        ; implicit-def: $vgpr114_vgpr115
	s_cbranch_execz .LBB4_174
; %bb.173:                              ;   in Loop: Header=BB4_123 Depth=1
	s_waitcnt vmcnt(0)
	v_add_co_u32_e32 v116, vcc, v60, v32
	v_addc_co_u32_e32 v117, vcc, 0, v59, vcc
	v_add_co_u32_e32 v118, vcc, v62, v32
	v_addc_co_u32_e32 v119, vcc, 0, v61, vcc
	global_load_dwordx2 v[114:115], v[120:121], off
	s_or_b64 s[4:5], s[4:5], exec
	global_load_dwordx2 v[116:117], v[116:117], off
                                        ; implicit-def: $sgpr13
	s_nop 0
	global_load_dwordx2 v[118:119], v[118:119], off
.LBB4_174:                              ;   in Loop: Header=BB4_123 Depth=1
	v_mov_b32_e32 v120, s13
	v_mov_b32_e32 v122, s13
	s_and_saveexec_b64 s[8:9], s[4:5]
	s_cbranch_execz .LBB4_176
; %bb.175:                              ;   in Loop: Header=BB4_123 Depth=1
	v_add_co_u32_e32 v120, vcc, v64, v32
	v_addc_co_u32_e32 v121, vcc, 0, v63, vcc
	global_load_dwordx2 v[120:121], v[120:121], off
	s_waitcnt vmcnt(0)
	v_mov_b32_e32 v122, v121
.LBB4_176:                              ;   in Loop: Header=BB4_123 Depth=1
	s_or_b64 exec, exec, s[8:9]
	v_pk_add_f32 v[24:25], v[24:25], 0 op_sel_hi:[1,0]
	v_pk_add_f32 v[24:25], v[24:25], v[26:27]
	v_pk_add_f32 v[20:21], v[24:25], v[20:21]
	;; [unrolled: 1-line block ×3, first 2 shown]
	ds_read_b64 v[20:21], v133
	v_pk_add_f32 v[16:17], v[16:17], 0 op_sel_hi:[1,0]
	v_pk_add_f32 v[16:17], v[16:17], v[18:19]
	v_pk_add_f32 v[12:13], v[16:17], v[12:13]
	v_pk_add_f32 v[26:27], v[12:13], v[14:15]
	s_waitcnt vmcnt(0) lgkmcnt(0)
	v_mul_f32_e32 v12, v115, v21
	v_mul_f32_e32 v13, v115, v20
	;; [unrolled: 1-line block ×4, first 2 shown]
	v_fmac_f32_e32 v12, v114, v20
	v_fma_f32 v13, v114, v21, -v13
	v_fmac_f32_e32 v14, v116, v20
	v_fma_f32 v15, v116, v21, -v15
	ds_write2_b64 v137, v[12:13], v[14:15] offset1:67
	v_mul_f32_e32 v12, v119, v21
	v_mul_f32_e32 v13, v119, v20
	;; [unrolled: 1-line block ×4, first 2 shown]
	v_fmac_f32_e32 v12, v118, v20
	v_fma_f32 v13, v118, v21, -v13
	v_fmac_f32_e32 v14, v120, v20
	v_fma_f32 v15, v120, v21, -v15
	ds_write2_b64 v137, v[12:13], v[14:15] offset0:134 offset1:201
	ds_read_b128 v[16:19], v129 offset:384
	ds_read_b128 v[12:15], v129 offset:400
	s_waitcnt lgkmcnt(0)
	s_barrier
	ds_read2_b64 v[20:23], v127 offset1:1
	v_pk_add_f32 v[4:5], v[4:5], 0 op_sel_hi:[1,0]
	v_pk_add_f32 v[150:151], v[4:5], v[6:7]
	ds_read2_b64 v[4:7], v127 offset0:2 offset1:3
	v_pk_add_f32 v[0:1], v[150:151], v[0:1]
	v_pk_add_f32 v[0:1], v[0:1], v[2:3]
	s_waitcnt lgkmcnt(1)
	v_pk_add_f32 v[2:3], v[20:21], 0 op_sel_hi:[1,0]
	v_cmp_gt_i32_e32 vcc, s20, v65
	v_pk_add_f32 v[2:3], v[2:3], v[22:23]
	s_or_b64 s[4:5], s[14:15], vcc
	s_waitcnt lgkmcnt(0)
	v_pk_add_f32 v[2:3], v[2:3], v[4:5]
	s_and_b64 s[8:9], s[2:3], s[4:5]
	v_pk_add_f32 v[2:3], v[2:3], v[6:7]
	s_barrier
	ds_write2_b64 v130, v[0:1], v[26:27] offset1:16
	ds_write2_b64 v130, v[24:25], v[2:3] offset0:32 offset1:48
	s_waitcnt lgkmcnt(0)
	s_barrier
	s_and_saveexec_b64 s[4:5], s[8:9]
	s_cbranch_execz .LBB4_122
; %bb.177:                              ;   in Loop: Header=BB4_123 Depth=1
	ds_read_b64 v[20:21], v125
	ds_read2_b64 v[0:3], v125 offset0:1 offset1:2
	ds_read2_b64 v[4:7], v125 offset0:3 offset1:4
	v_mov_b32_e32 v25, s22
	s_waitcnt lgkmcnt(1)
	v_add_f32_e32 v0, v0, v20
	v_add_f32_e32 v1, v1, v21
	;; [unrolled: 1-line block ×4, first 2 shown]
	ds_read2_b64 v[0:3], v125 offset0:5 offset1:6
	s_waitcnt lgkmcnt(1)
	v_add_f32_e32 v4, v20, v4
	v_add_f32_e32 v5, v21, v5
	;; [unrolled: 1-line block ×3, first 2 shown]
	v_add_u32_e32 v4, s25, v128
	v_add_f32_e32 v21, v5, v7
	v_ashrrev_i32_e32 v5, 31, v4
	v_lshlrev_b64 v[22:23], 3, v[4:5]
	ds_read2_b64 v[4:7], v125 offset0:7 offset1:8
	v_add_co_u32_e32 v24, vcc, s7, v22
	v_addc_co_u32_e32 v25, vcc, v25, v23, vcc
	s_waitcnt lgkmcnt(1)
	v_pk_add_f32 v[0:1], v[20:21], v[0:1]
	ds_read2_b64 v[20:23], v125 offset0:9 offset1:10
	v_pk_add_f32 v[0:1], v[0:1], v[2:3]
	s_waitcnt lgkmcnt(1)
	v_pk_add_f32 v[0:1], v[0:1], v[4:5]
	v_pk_add_f32 v[4:5], v[0:1], v[6:7]
	ds_read2_b64 v[0:3], v125 offset0:11 offset1:12
	s_waitcnt lgkmcnt(1)
	v_pk_add_f32 v[20:21], v[4:5], v[20:21]
	ds_read2_b64 v[4:7], v125 offset0:13 offset1:14
	v_pk_add_f32 v[20:21], v[20:21], v[22:23]
	ds_read_b64 v[22:23], v126
	s_waitcnt lgkmcnt(2)
	v_pk_add_f32 v[0:1], v[20:21], v[0:1]
	v_pk_add_f32 v[0:1], v[0:1], v[2:3]
	s_waitcnt lgkmcnt(1)
	v_pk_add_f32 v[0:1], v[0:1], v[4:5]
	v_pk_add_f32 v[0:1], v[0:1], v[6:7]
	s_waitcnt lgkmcnt(0)
	v_pk_add_f32 v[0:1], v[0:1], v[22:23]
	global_store_dwordx2 v[24:25], v[0:1], off
	s_branch .LBB4_122
.LBB4_178:
	s_movk_i32 s2, 0x218
	v_cmp_gt_i32_e32 vcc, s24, v65
	v_mad_u32_u24 v0, v109, s2, v32
	s_or_b64 s[2:3], s[18:19], vcc
	s_and_b64 s[0:1], s[0:1], s[2:3]
	ds_write_b64 v0, v[30:31]
	s_waitcnt lgkmcnt(0)
	s_barrier
	s_and_saveexec_b64 s[2:3], s[0:1]
	s_cbranch_execz .LBB4_180
; %bb.179:
	ds_read2_b64 v[0:3], v32 offset1:67
	ds_read2_b64 v[4:7], v32 offset0:134 offset1:201
	v_lshlrev_b64 v[8:9], 3, v[28:29]
	v_mov_b32_e32 v10, s22
	v_add_co_u32_e32 v8, vcc, s7, v8
	s_waitcnt lgkmcnt(1)
	v_pk_add_f32 v[0:1], v[2:3], v[0:1]
	s_waitcnt lgkmcnt(0)
	v_pk_add_f32 v[0:1], v[0:1], v[4:5]
	v_addc_co_u32_e32 v9, vcc, v10, v9, vcc
	v_pk_add_f32 v[0:1], v[0:1], v[6:7]
	global_store_dwordx2 v[8:9], v[0:1], off
.LBB4_180:
	s_endpgm
	.section	.rodata,"a",@progbits
	.p2align	6, 0x0
	.amdhsa_kernel _ZL26rocblas_hemvn_kernel_upperILb1ELi64ELi4ELi33ELi32ELi16El19rocblas_complex_numIfEPKS1_PS1_EviT6_lT7_lT5_lS6_lS7_lS5_lT8_i
		.amdhsa_group_segment_fixed_size 9600
		.amdhsa_private_segment_fixed_size 0
		.amdhsa_kernarg_size 376
		.amdhsa_user_sgpr_count 6
		.amdhsa_user_sgpr_private_segment_buffer 1
		.amdhsa_user_sgpr_dispatch_ptr 0
		.amdhsa_user_sgpr_queue_ptr 0
		.amdhsa_user_sgpr_kernarg_segment_ptr 1
		.amdhsa_user_sgpr_dispatch_id 0
		.amdhsa_user_sgpr_flat_scratch_init 0
		.amdhsa_user_sgpr_kernarg_preload_length 0
		.amdhsa_user_sgpr_kernarg_preload_offset 0
		.amdhsa_user_sgpr_private_segment_size 0
		.amdhsa_uses_dynamic_stack 0
		.amdhsa_system_sgpr_private_segment_wavefront_offset 0
		.amdhsa_system_sgpr_workgroup_id_x 1
		.amdhsa_system_sgpr_workgroup_id_y 0
		.amdhsa_system_sgpr_workgroup_id_z 1
		.amdhsa_system_sgpr_workgroup_info 0
		.amdhsa_system_vgpr_workitem_id 1
		.amdhsa_next_free_vgpr 152
		.amdhsa_next_free_sgpr 42
		.amdhsa_accum_offset 152
		.amdhsa_reserve_vcc 1
		.amdhsa_reserve_flat_scratch 0
		.amdhsa_float_round_mode_32 0
		.amdhsa_float_round_mode_16_64 0
		.amdhsa_float_denorm_mode_32 3
		.amdhsa_float_denorm_mode_16_64 3
		.amdhsa_dx10_clamp 1
		.amdhsa_ieee_mode 1
		.amdhsa_fp16_overflow 0
		.amdhsa_tg_split 0
		.amdhsa_exception_fp_ieee_invalid_op 0
		.amdhsa_exception_fp_denorm_src 0
		.amdhsa_exception_fp_ieee_div_zero 0
		.amdhsa_exception_fp_ieee_overflow 0
		.amdhsa_exception_fp_ieee_underflow 0
		.amdhsa_exception_fp_ieee_inexact 0
		.amdhsa_exception_int_div_zero 0
	.end_amdhsa_kernel
	.section	.text._ZL26rocblas_hemvn_kernel_upperILb1ELi64ELi4ELi33ELi32ELi16El19rocblas_complex_numIfEPKS1_PS1_EviT6_lT7_lT5_lS6_lS7_lS5_lT8_i,"axG",@progbits,_ZL26rocblas_hemvn_kernel_upperILb1ELi64ELi4ELi33ELi32ELi16El19rocblas_complex_numIfEPKS1_PS1_EviT6_lT7_lT5_lS6_lS7_lS5_lT8_i,comdat
.Lfunc_end4:
	.size	_ZL26rocblas_hemvn_kernel_upperILb1ELi64ELi4ELi33ELi32ELi16El19rocblas_complex_numIfEPKS1_PS1_EviT6_lT7_lT5_lS6_lS7_lS5_lT8_i, .Lfunc_end4-_ZL26rocblas_hemvn_kernel_upperILb1ELi64ELi4ELi33ELi32ELi16El19rocblas_complex_numIfEPKS1_PS1_EviT6_lT7_lT5_lS6_lS7_lS5_lT8_i
                                        ; -- End function
	.section	.AMDGPU.csdata,"",@progbits
; Kernel info:
; codeLenInByte = 9144
; NumSgprs: 46
; NumVgprs: 152
; NumAgprs: 0
; TotalNumVgprs: 152
; ScratchSize: 0
; MemoryBound: 1
; FloatMode: 240
; IeeeMode: 1
; LDSByteSize: 9600 bytes/workgroup (compile time only)
; SGPRBlocks: 5
; VGPRBlocks: 18
; NumSGPRsForWavesPerEU: 46
; NumVGPRsForWavesPerEU: 152
; AccumOffset: 152
; Occupancy: 3
; WaveLimiterHint : 0
; COMPUTE_PGM_RSRC2:SCRATCH_EN: 0
; COMPUTE_PGM_RSRC2:USER_SGPR: 6
; COMPUTE_PGM_RSRC2:TRAP_HANDLER: 0
; COMPUTE_PGM_RSRC2:TGID_X_EN: 1
; COMPUTE_PGM_RSRC2:TGID_Y_EN: 0
; COMPUTE_PGM_RSRC2:TGID_Z_EN: 1
; COMPUTE_PGM_RSRC2:TIDIG_COMP_CNT: 1
; COMPUTE_PGM_RSRC3_GFX90A:ACCUM_OFFSET: 37
; COMPUTE_PGM_RSRC3_GFX90A:TG_SPLIT: 0
	.section	.text._ZL36rocblas_hemvn_kernel_upper_block_sumILi64El19rocblas_complex_numIfEPS1_S1_EviT1_lS3_lT2_lT0_lPT3_i,"axG",@progbits,_ZL36rocblas_hemvn_kernel_upper_block_sumILi64El19rocblas_complex_numIfEPS1_S1_EviT1_lS3_lT2_lT0_lPT3_i,comdat
	.globl	_ZL36rocblas_hemvn_kernel_upper_block_sumILi64El19rocblas_complex_numIfEPS1_S1_EviT1_lS3_lT2_lT0_lPT3_i ; -- Begin function _ZL36rocblas_hemvn_kernel_upper_block_sumILi64El19rocblas_complex_numIfEPS1_S1_EviT1_lS3_lT2_lT0_lPT3_i
	.p2align	8
	.type	_ZL36rocblas_hemvn_kernel_upper_block_sumILi64El19rocblas_complex_numIfEPS1_S1_EviT1_lS3_lT2_lT0_lPT3_i,@function
_ZL36rocblas_hemvn_kernel_upper_block_sumILi64El19rocblas_complex_numIfEPS1_S1_EviT1_lS3_lT2_lT0_lPT3_i: ; @_ZL36rocblas_hemvn_kernel_upper_block_sumILi64El19rocblas_complex_numIfEPS1_S1_EviT1_lS3_lT2_lT0_lPT3_i
; %bb.0:
	s_load_dwordx4 s[16:19], s[4:5], 0x0
	s_load_dwordx2 s[2:3], s[4:5], 0x18
	s_waitcnt lgkmcnt(0)
	s_or_b32 s0, s17, s18
	s_bitset0_b32 s0, 31
	s_cmp_eq_u32 s0, 0
	v_cmp_eq_f32_e64 s[8:9], s2, 1.0
	v_cmp_eq_f32_e64 s[10:11], s3, 0
	s_cselect_b64 s[0:1], -1, 0
	s_and_b64 s[8:9], s[8:9], s[10:11]
	s_and_b64 s[8:9], s[0:1], s[8:9]
	s_and_b64 vcc, exec, s[8:9]
	s_cbranch_vccnz .LBB5_17
; %bb.1:
	s_mov_b32 s21, s18
	s_load_dwordx8 s[8:15], s[4:5], 0x30
	s_load_dwordx2 s[18:19], s[4:5], 0x28
	s_mov_b32 s20, s17
	v_lshl_or_b32 v0, s6, 6, v0
	s_waitcnt lgkmcnt(0)
	s_mul_i32 s13, s7, s13
	s_mul_hi_u32 s17, s7, s12
	s_mul_i32 s12, s7, s12
	s_add_i32 s13, s17, s13
	s_lshl_b64 s[12:13], s[12:13], 3
	s_add_u32 s12, s18, s12
	s_addc_u32 s13, s19, s13
	s_lshl_b64 s[8:9], s[8:9], 3
	s_add_u32 s12, s12, s8
	s_addc_u32 s13, s13, s9
	s_mov_b64 s[8:9], -1
	s_andn2_b64 vcc, exec, s[0:1]
	v_cmp_gt_i32_e64 s[0:1], s16, v0
	s_cbranch_vccnz .LBB5_7
; %bb.2:
	s_and_saveexec_b64 s[8:9], s[0:1]
	s_cbranch_execz .LBB5_6
; %bb.3:
	v_ashrrev_i32_e32 v1, 31, v0
	v_cmp_neq_f32_e64 s[0:1], s2, 0
	v_cmp_neq_f32_e64 s[18:19], s3, 0
	v_mul_lo_u32 v4, v0, s11
	v_mul_lo_u32 v1, v1, s10
	v_mad_u64_u32 v[2:3], s[22:23], v0, s10, 0
	v_add3_u32 v3, v3, v4, v1
	s_or_b64 s[0:1], s[0:1], s[18:19]
	s_andn2_b64 vcc, exec, s[0:1]
	v_mov_b32_e32 v4, 0
	v_lshlrev_b64 v[2:3], 3, v[2:3]
	v_mov_b32_e32 v5, 0
	s_cbranch_vccnz .LBB5_5
; %bb.4:
	v_mov_b32_e32 v1, s13
	v_add_co_u32_e32 v4, vcc, s12, v2
	v_addc_co_u32_e32 v5, vcc, v1, v3, vcc
	global_load_dwordx2 v[6:7], v[4:5], off
	s_waitcnt vmcnt(0)
	v_pk_mul_f32 v[8:9], v[6:7], s[2:3] op_sel:[1,0]
	v_pk_fma_f32 v[4:5], v[6:7], s[2:3], v[8:9] op_sel:[0,0,1] op_sel_hi:[1,1,0] neg_lo:[0,0,1] neg_hi:[0,0,1]
	v_pk_fma_f32 v[6:7], v[6:7], s[2:3], v[8:9] op_sel:[0,0,1] op_sel_hi:[0,1,0]
	v_mov_b32_e32 v5, v7
.LBB5_5:
	v_mov_b32_e32 v1, s13
	v_add_co_u32_e32 v2, vcc, s12, v2
	v_addc_co_u32_e32 v3, vcc, v1, v3, vcc
	global_store_dwordx2 v[2:3], v[4:5], off
.LBB5_6:
	s_or_b64 exec, exec, s[8:9]
	s_mov_b64 s[8:9], 0
.LBB5_7:
	s_andn2_b64 vcc, exec, s[8:9]
	s_cbranch_vccnz .LBB5_17
; %bb.8:
	v_cmp_gt_i32_e32 vcc, s16, v0
	s_and_saveexec_b64 s[0:1], vcc
	s_cbranch_execz .LBB5_17
; %bb.9:
	v_mov_b32_e32 v3, 0
	v_ashrrev_i32_e32 v1, 31, v0
	s_cmp_lt_i32 s6, 0
	v_mov_b32_e32 v2, v3
	s_cbranch_scc1 .LBB5_12
; %bb.10:
	s_load_dword s0, s[4:5], 0x58
	s_ashr_i32 s17, s16, 31
	s_mul_hi_u32 s1, s16, s7
	s_mul_i32 s4, s17, s7
	s_add_i32 s1, s1, s4
	s_mul_i32 s4, s16, s7
	s_waitcnt lgkmcnt(0)
	s_mul_i32 s1, s1, s0
	s_mul_hi_u32 s5, s4, s0
	s_add_i32 s1, s5, s1
	s_mul_i32 s0, s4, s0
	s_lshl_b64 s[0:1], s[0:1], 3
	s_add_u32 s0, s14, s0
	s_addc_u32 s1, s15, s1
	v_lshlrev_b64 v[2:3], 3, v[0:1]
	v_mov_b32_e32 v5, s1
	v_add_co_u32_e32 v4, vcc, s0, v2
	s_lshl_b64 s[0:1], s[16:17], 3
	v_mov_b32_e32 v2, 0
	v_addc_co_u32_e32 v5, vcc, v5, v3, vcc
	s_add_i32 s4, s6, 1
	v_mov_b32_e32 v6, s1
	v_mov_b32_e32 v3, v2
.LBB5_11:                               ; =>This Inner Loop Header: Depth=1
	global_load_dwordx2 v[8:9], v[4:5], off
	s_add_i32 s4, s4, -1
	v_add_co_u32_e32 v4, vcc, s0, v4
	v_addc_co_u32_e32 v5, vcc, v5, v6, vcc
	s_cmp_eq_u32 s4, 0
	s_waitcnt vmcnt(0)
	v_pk_add_f32 v[2:3], v[2:3], v[8:9]
	s_cbranch_scc0 .LBB5_11
.LBB5_12:
	v_cmp_neq_f32_e64 s[0:1], s2, 0
	v_cmp_neq_f32_e64 s[4:5], s3, 0
	s_or_b64 s[0:1], s[0:1], s[4:5]
	v_pk_mul_f32 v[8:9], v[2:3], s[20:21] op_sel:[1,0]
	s_andn2_b64 vcc, exec, s[0:1]
	v_pk_fma_f32 v[4:5], v[2:3], s[20:21], v[8:9] op_sel:[0,0,1] op_sel_hi:[0,1,0]
	v_mul_lo_u32 v1, v1, s10
	v_mul_lo_u32 v10, v0, s11
	s_cbranch_vccz .LBB5_14
; %bb.13:
	v_pk_mul_f32 v[12:13], v[2:3], s[20:21] op_sel_hi:[0,1]
	v_mad_u64_u32 v[6:7], s[0:1], v0, s10, 0
	v_add3_u32 v7, v7, v10, v1
	v_sub_f32_e32 v4, v12, v9
	s_cbranch_execz .LBB5_15
	s_branch .LBB5_16
.LBB5_14:
                                        ; implicit-def: $vgpr6_vgpr7
.LBB5_15:
	v_mad_u64_u32 v[6:7], s[0:1], v0, s10, 0
	v_add3_u32 v7, v7, v10, v1
	v_lshlrev_b64 v[0:1], 3, v[6:7]
	v_mov_b32_e32 v4, s13
	v_add_co_u32_e32 v0, vcc, s12, v0
	v_addc_co_u32_e32 v1, vcc, v4, v1, vcc
	global_load_dwordx2 v[0:1], v[0:1], off
	v_pk_fma_f32 v[2:3], v[2:3], s[20:21], v[8:9] op_sel:[0,0,1] op_sel_hi:[1,1,0] neg_lo:[0,0,1] neg_hi:[0,0,1]
	v_mov_b32_e32 v3, v5
	s_waitcnt vmcnt(0)
	v_pk_mul_f32 v[8:9], v[0:1], s[2:3] op_sel:[1,0]
	v_pk_fma_f32 v[10:11], v[0:1], s[2:3], v[8:9] op_sel:[0,0,1] op_sel_hi:[1,1,0] neg_lo:[0,0,1] neg_hi:[0,0,1]
	v_pk_fma_f32 v[0:1], v[0:1], s[2:3], v[8:9] op_sel:[0,0,1] op_sel_hi:[0,1,0]
	v_mov_b32_e32 v11, v1
	v_pk_add_f32 v[4:5], v[2:3], v[10:11]
.LBB5_16:
	v_lshlrev_b64 v[0:1], 3, v[6:7]
	v_mov_b32_e32 v2, s13
	v_add_co_u32_e32 v0, vcc, s12, v0
	v_addc_co_u32_e32 v1, vcc, v2, v1, vcc
	global_store_dwordx2 v[0:1], v[4:5], off
.LBB5_17:
	s_endpgm
	.section	.rodata,"a",@progbits
	.p2align	6, 0x0
	.amdhsa_kernel _ZL36rocblas_hemvn_kernel_upper_block_sumILi64El19rocblas_complex_numIfEPS1_S1_EviT1_lS3_lT2_lT0_lPT3_i
		.amdhsa_group_segment_fixed_size 0
		.amdhsa_private_segment_fixed_size 0
		.amdhsa_kernarg_size 344
		.amdhsa_user_sgpr_count 6
		.amdhsa_user_sgpr_private_segment_buffer 1
		.amdhsa_user_sgpr_dispatch_ptr 0
		.amdhsa_user_sgpr_queue_ptr 0
		.amdhsa_user_sgpr_kernarg_segment_ptr 1
		.amdhsa_user_sgpr_dispatch_id 0
		.amdhsa_user_sgpr_flat_scratch_init 0
		.amdhsa_user_sgpr_kernarg_preload_length 0
		.amdhsa_user_sgpr_kernarg_preload_offset 0
		.amdhsa_user_sgpr_private_segment_size 0
		.amdhsa_uses_dynamic_stack 0
		.amdhsa_system_sgpr_private_segment_wavefront_offset 0
		.amdhsa_system_sgpr_workgroup_id_x 1
		.amdhsa_system_sgpr_workgroup_id_y 0
		.amdhsa_system_sgpr_workgroup_id_z 1
		.amdhsa_system_sgpr_workgroup_info 0
		.amdhsa_system_vgpr_workitem_id 0
		.amdhsa_next_free_vgpr 14
		.amdhsa_next_free_sgpr 24
		.amdhsa_accum_offset 16
		.amdhsa_reserve_vcc 1
		.amdhsa_reserve_flat_scratch 0
		.amdhsa_float_round_mode_32 0
		.amdhsa_float_round_mode_16_64 0
		.amdhsa_float_denorm_mode_32 3
		.amdhsa_float_denorm_mode_16_64 3
		.amdhsa_dx10_clamp 1
		.amdhsa_ieee_mode 1
		.amdhsa_fp16_overflow 0
		.amdhsa_tg_split 0
		.amdhsa_exception_fp_ieee_invalid_op 0
		.amdhsa_exception_fp_denorm_src 0
		.amdhsa_exception_fp_ieee_div_zero 0
		.amdhsa_exception_fp_ieee_overflow 0
		.amdhsa_exception_fp_ieee_underflow 0
		.amdhsa_exception_fp_ieee_inexact 0
		.amdhsa_exception_int_div_zero 0
	.end_amdhsa_kernel
	.section	.text._ZL36rocblas_hemvn_kernel_upper_block_sumILi64El19rocblas_complex_numIfEPS1_S1_EviT1_lS3_lT2_lT0_lPT3_i,"axG",@progbits,_ZL36rocblas_hemvn_kernel_upper_block_sumILi64El19rocblas_complex_numIfEPS1_S1_EviT1_lS3_lT2_lT0_lPT3_i,comdat
.Lfunc_end5:
	.size	_ZL36rocblas_hemvn_kernel_upper_block_sumILi64El19rocblas_complex_numIfEPS1_S1_EviT1_lS3_lT2_lT0_lPT3_i, .Lfunc_end5-_ZL36rocblas_hemvn_kernel_upper_block_sumILi64El19rocblas_complex_numIfEPS1_S1_EviT1_lS3_lT2_lT0_lPT3_i
                                        ; -- End function
	.section	.AMDGPU.csdata,"",@progbits
; Kernel info:
; codeLenInByte = 736
; NumSgprs: 28
; NumVgprs: 14
; NumAgprs: 0
; TotalNumVgprs: 14
; ScratchSize: 0
; MemoryBound: 0
; FloatMode: 240
; IeeeMode: 1
; LDSByteSize: 0 bytes/workgroup (compile time only)
; SGPRBlocks: 3
; VGPRBlocks: 1
; NumSGPRsForWavesPerEU: 28
; NumVGPRsForWavesPerEU: 14
; AccumOffset: 16
; Occupancy: 8
; WaveLimiterHint : 0
; COMPUTE_PGM_RSRC2:SCRATCH_EN: 0
; COMPUTE_PGM_RSRC2:USER_SGPR: 6
; COMPUTE_PGM_RSRC2:TRAP_HANDLER: 0
; COMPUTE_PGM_RSRC2:TGID_X_EN: 1
; COMPUTE_PGM_RSRC2:TGID_Y_EN: 0
; COMPUTE_PGM_RSRC2:TGID_Z_EN: 1
; COMPUTE_PGM_RSRC2:TIDIG_COMP_CNT: 0
; COMPUTE_PGM_RSRC3_GFX90A:ACCUM_OFFSET: 3
; COMPUTE_PGM_RSRC3_GFX90A:TG_SPLIT: 0
	.section	.text._ZL26rocblas_hemvn_kernel_upperILb1ELi64ELi4ELi33ELi32ELi16Ei19rocblas_complex_numIfEPKS1_PS1_EviT6_lT7_lT5_lS6_lS7_lS5_lT8_i,"axG",@progbits,_ZL26rocblas_hemvn_kernel_upperILb1ELi64ELi4ELi33ELi32ELi16Ei19rocblas_complex_numIfEPKS1_PS1_EviT6_lT7_lT5_lS6_lS7_lS5_lT8_i,comdat
	.globl	_ZL26rocblas_hemvn_kernel_upperILb1ELi64ELi4ELi33ELi32ELi16Ei19rocblas_complex_numIfEPKS1_PS1_EviT6_lT7_lT5_lS6_lS7_lS5_lT8_i ; -- Begin function _ZL26rocblas_hemvn_kernel_upperILb1ELi64ELi4ELi33ELi32ELi16Ei19rocblas_complex_numIfEPKS1_PS1_EviT6_lT7_lT5_lS6_lS7_lS5_lT8_i
	.p2align	8
	.type	_ZL26rocblas_hemvn_kernel_upperILb1ELi64ELi4ELi33ELi32ELi16Ei19rocblas_complex_numIfEPKS1_PS1_EviT6_lT7_lT5_lS6_lS7_lS5_lT8_i,@function
_ZL26rocblas_hemvn_kernel_upperILb1ELi64ELi4ELi33ELi32ELi16Ei19rocblas_complex_numIfEPKS1_PS1_EviT6_lT7_lT5_lS6_lS7_lS5_lT8_i: ; @_ZL26rocblas_hemvn_kernel_upperILb1ELi64ELi4ELi33ELi32ELi16Ei19rocblas_complex_numIfEPKS1_PS1_EviT6_lT7_lT5_lS6_lS7_lS5_lT8_i
; %bb.0:
	s_load_dwordx2 s[2:3], s[4:5], 0x84
	s_add_u32 s0, s4, 0x78
	s_addc_u32 s1, s5, 0
	s_waitcnt lgkmcnt(0)
	s_lshr_b32 s8, s2, 16
	s_and_b32 s2, s2, 0xffff
	s_and_b32 s3, s3, 0xffff
	s_mul_i32 s2, s8, s2
	s_mul_i32 s2, s2, s3
	s_cmpk_lg_i32 s2, 0x100
	s_cbranch_scc1 .LBB6_180
; %bb.1:
	s_load_dwordx2 s[2:3], s[4:5], 0x4
	s_mov_b64 s[8:9], -1
	s_waitcnt lgkmcnt(0)
	s_or_b32 s2, s2, s3
	s_bitset0_b32 s2, 31
	s_cmp_lg_u32 s2, 0
	s_cselect_b64 s[2:3], -1, 0
	s_and_b64 vcc, exec, s[2:3]
	s_cbranch_vccnz .LBB6_3
; %bb.2:
	s_load_dwordx2 s[8:9], s[4:5], 0x58
	s_waitcnt lgkmcnt(0)
	v_cmp_neq_f32_e64 s[10:11], s8, 1.0
	v_cmp_neq_f32_e64 s[8:9], s9, 0
	s_or_b64 s[8:9], s[10:11], s[8:9]
.LBB6_3:
	s_andn2_b64 vcc, exec, s[8:9]
	s_cbranch_vccnz .LBB6_180
; %bb.4:
	s_andn2_b64 vcc, exec, s[2:3]
	s_cbranch_vccnz .LBB6_180
; %bb.5:
	s_load_dwordx2 s[2:3], s[4:5], 0x50
	s_load_dwordx2 s[12:13], s[4:5], 0x40
	s_load_dword s39, s[4:5], 0x48
	s_load_dword s33, s[0:1], 0x0
	;; [unrolled: 1-line block ×3, first 2 shown]
	s_load_dwordx4 s[8:11], s[4:5], 0x30
	s_waitcnt lgkmcnt(0)
	s_mul_i32 s0, s7, s3
	s_mul_hi_u32 s1, s7, s2
	s_add_i32 s1, s1, s0
	s_mul_i32 s0, s7, s2
	s_lshl_b64 s[0:1], s[0:1], 3
	s_add_u32 s2, s10, s0
	s_addc_u32 s3, s11, s1
	s_lshl_b64 s[0:1], s[12:13], 3
	s_add_u32 s0, s2, s0
	s_addc_u32 s1, s3, s1
	v_and_b32_e32 v30, 0x3ff, v0
	s_lshl_b32 s22, s6, 6
	s_ashr_i32 s41, s40, 31
	s_lshr_b32 s3, s41, 26
	v_add_u32_e32 v28, s22, v30
	v_bfe_u32 v71, v0, 10, 10
	s_add_i32 s3, s40, s3
	v_mul_lo_u32 v0, v28, s39
	s_andn2_b32 s3, s3, 63
	v_ashrrev_i32_e32 v1, 31, v0
	s_add_i32 s2, s33, -1
	s_sub_i32 s38, s40, s3
	v_lshlrev_b64 v[0:1], 3, v[0:1]
	s_cmp_eq_u32 s6, s2
	v_mov_b32_e32 v2, s1
	v_add_co_u32_e32 v12, vcc, s0, v0
	s_cselect_b32 s18, s38, 0
	v_addc_co_u32_e32 v13, vcc, v2, v1, vcc
	v_cmp_eq_u32_e64 s[0:1], 0, v71
	s_and_saveexec_b64 s[2:3], s[0:1]
	s_cbranch_execz .LBB6_10
; %bb.6:
	s_cmp_lg_u32 s18, 0
	s_cselect_b64 s[10:11], -1, 0
	v_cmp_le_i32_e32 vcc, s18, v30
	v_mov_b32_e32 v0, 0x2380
	s_and_b64 s[10:11], s[10:11], vcc
	v_lshl_add_u32 v0, v30, 3, v0
	s_and_saveexec_b64 s[12:13], s[10:11]
	s_xor_b64 s[10:11], exec, s[12:13]
	s_cbranch_execz .LBB6_8
; %bb.7:
	v_mov_b32_e32 v2, 0
	v_mov_b32_e32 v3, v2
	ds_write_b64 v0, v[2:3]
                                        ; implicit-def: $vgpr0
.LBB6_8:
	s_andn2_saveexec_b64 s[10:11], s[10:11]
	s_cbranch_execz .LBB6_10
; %bb.9:
	global_load_dwordx2 v[2:3], v[12:13], off
	s_waitcnt vmcnt(0)
	ds_write_b64 v0, v[2:3]
.LBB6_10:
	s_or_b64 exec, exec, s[2:3]
	s_load_dwordx4 s[12:15], s[4:5], 0x18
	s_load_dword s24, s[4:5], 0x28
	s_mul_i32 s2, s7, s9
	s_mul_hi_u32 s3, s7, s8
	s_add_i32 s3, s3, s2
	s_mul_i32 s2, s7, s8
	s_lshl_b64 s[2:3], s[2:3], 3
	s_waitcnt lgkmcnt(0)
	s_add_u32 s8, s12, s2
	s_addc_u32 s9, s13, s3
	s_lshl_b64 s[2:3], s[14:15], 3
	s_add_u32 s8, s8, s2
	s_addc_u32 s9, s9, s3
	s_ashr_i32 s23, s22, 31
	v_lshl_add_u32 v22, v71, 6, v30
	s_lshl_b64 s[2:3], s[22:23], 3
	v_and_b32_e32 v0, 31, v30
	v_lshrrev_b32_e32 v1, 5, v22
	s_add_u32 s8, s8, s2
	s_addc_u32 s9, s9, s3
	v_mad_u64_u32 v[2:3], s[2:3], v1, s24, v[0:1]
	s_mul_i32 s2, s22, s24
	s_ashr_i32 s3, s2, 31
	s_lshl_b64 s[2:3], s[2:3], 3
	s_add_u32 s2, s2, s8
	v_ashrrev_i32_e32 v3, 31, v2
	s_addc_u32 s3, s3, s9
	v_lshlrev_b64 v[14:15], 3, v[2:3]
	s_cmp_eq_u32 s18, 0
	v_mov_b32_e32 v2, s3
	v_add_co_u32_e32 v4, vcc, s2, v14
	s_cselect_b64 s[20:21], -1, 0
	s_cmp_lg_u32 s18, 0
	v_addc_co_u32_e32 v5, vcc, v2, v15, vcc
	s_cselect_b64 s[30:31], -1, 0
	s_and_b64 vcc, exec, s[30:31]
	v_cmp_gt_i32_e64 s[2:3], s18, v0
	v_lshlrev_b32_e32 v10, 3, v0
	s_cbranch_vccz .LBB6_26
; %bb.11:
	v_sub_co_u32_e32 v2, vcc, v4, v10
	s_ashr_i32 s19, s18, 31
	v_subbrev_co_u32_e32 v3, vcc, 0, v5, vcc
	s_lshl_b64 s[8:9], s[18:19], 3
	v_mov_b32_e32 v6, s9
	v_add_co_u32_e32 v2, vcc, s8, v2
	v_addc_co_u32_e32 v3, vcc, v3, v6, vcc
	v_add_co_u32_e32 v2, vcc, -8, v2
	v_addc_co_u32_e32 v3, vcc, -1, v3, vcc
	v_mov_b32_e32 v6, 0
	v_cndmask_b32_e64 v3, v3, v5, s[2:3]
	v_cndmask_b32_e64 v2, v2, v4, s[2:3]
	v_cmp_gt_i32_e32 vcc, s18, v1
	v_mov_b32_e32 v7, v6
	s_and_saveexec_b64 s[10:11], vcc
	s_cbranch_execz .LBB6_13
; %bb.12:
	global_load_dwordx2 v[6:7], v[2:3], off
.LBB6_13:
	s_or_b64 exec, exec, s[10:11]
	v_mul_u32_u24_e32 v8, 33, v1
	v_add_lshl_u32 v8, v8, v0, 3
	s_waitcnt vmcnt(0)
	ds_write_b64 v8, v[6:7]
	v_add_u32_e32 v6, 8, v1
	v_cmp_le_i32_e32 vcc, s18, v6
	s_and_saveexec_b64 s[10:11], vcc
	s_xor_b64 s[10:11], exec, s[10:11]
	s_cbranch_execz .LBB6_15
; %bb.14:
	v_mul_u32_u24_e32 v6, 33, v6
	v_add_lshl_u32 v9, v6, v0, 3
	v_mov_b32_e32 v6, 0
	v_mov_b32_e32 v7, v6
	ds_write_b64 v9, v[6:7]
.LBB6_15:
	s_andn2_saveexec_b64 s[10:11], s[10:11]
	s_cbranch_execz .LBB6_17
; %bb.16:
	s_lshl_b32 s12, s24, 3
	s_ashr_i32 s13, s12, 31
	s_lshl_b64 s[12:13], s[12:13], 3
	v_mov_b32_e32 v7, s13
	v_add_co_u32_e32 v6, vcc, s12, v2
	v_addc_co_u32_e32 v7, vcc, v3, v7, vcc
	global_load_dwordx2 v[6:7], v[6:7], off
	s_waitcnt vmcnt(0)
	ds_write_b64 v8, v[6:7] offset:2112
.LBB6_17:
	s_or_b64 exec, exec, s[10:11]
	v_add_u32_e32 v6, 16, v1
	v_cmp_le_i32_e32 vcc, s18, v6
	s_and_saveexec_b64 s[10:11], vcc
	s_xor_b64 s[10:11], exec, s[10:11]
	s_cbranch_execz .LBB6_19
; %bb.18:
	v_mov_b32_e32 v6, 0
	v_mov_b32_e32 v7, v6
	ds_write_b64 v8, v[6:7] offset:4224
.LBB6_19:
	s_andn2_saveexec_b64 s[10:11], s[10:11]
	s_cbranch_execz .LBB6_21
; %bb.20:
	s_lshl_b32 s12, s24, 4
	s_ashr_i32 s13, s12, 31
	s_lshl_b64 s[12:13], s[12:13], 3
	v_mov_b32_e32 v7, s13
	v_add_co_u32_e32 v6, vcc, s12, v2
	v_addc_co_u32_e32 v7, vcc, v3, v7, vcc
	global_load_dwordx2 v[6:7], v[6:7], off
	s_waitcnt vmcnt(0)
	ds_write_b64 v8, v[6:7] offset:4224
.LBB6_21:
	s_or_b64 exec, exec, s[10:11]
	v_add_u32_e32 v6, 24, v1
	v_cmp_le_i32_e32 vcc, s18, v6
	s_and_saveexec_b64 s[10:11], vcc
	s_xor_b64 s[10:11], exec, s[10:11]
	s_cbranch_execz .LBB6_23
; %bb.22:
	v_mov_b32_e32 v6, 0
	v_mov_b32_e32 v7, v6
	ds_write_b64 v8, v[6:7] offset:6336
                                        ; implicit-def: $vgpr8
.LBB6_23:
	s_andn2_saveexec_b64 s[10:11], s[10:11]
	s_cbranch_execz .LBB6_25
; %bb.24:
	s_mul_i32 s12, s24, 24
	s_ashr_i32 s13, s12, 31
	s_lshl_b64 s[12:13], s[12:13], 3
	v_mov_b32_e32 v7, s13
	v_add_co_u32_e32 v6, vcc, s12, v2
	v_addc_co_u32_e32 v7, vcc, v3, v7, vcc
	global_load_dwordx2 v[6:7], v[6:7], off
	s_waitcnt vmcnt(0)
	ds_write_b64 v8, v[6:7] offset:6336
.LBB6_25:
	s_or_b64 exec, exec, s[10:11]
	v_add_co_u32_e32 v2, vcc, v2, v10
	v_addc_co_u32_e32 v3, vcc, 0, v3, vcc
	v_mov_b32_e32 v6, s9
	v_subrev_co_u32_e32 v2, vcc, s8, v2
	v_subb_co_u32_e32 v3, vcc, v3, v6, vcc
	v_add_co_u32_e32 v2, vcc, 8, v2
	v_addc_co_u32_e32 v3, vcc, 0, v3, vcc
	v_cndmask_b32_e64 v3, v3, v5, s[2:3]
	v_cndmask_b32_e64 v2, v2, v4, s[2:3]
	v_mul_u32_u24_e32 v11, 33, v1
	s_branch .LBB6_28
.LBB6_26:
                                        ; implicit-def: $vgpr2_vgpr3
	v_mul_u32_u24_e32 v11, 33, v1
	s_cbranch_execz .LBB6_28
; %bb.27:
	s_lshl_b32 s2, s24, 3
	s_ashr_i32 s3, s2, 31
	s_lshl_b64 s[2:3], s[2:3], 3
	v_mov_b32_e32 v3, s3
	v_add_co_u32_e32 v2, vcc, s2, v4
	s_ashr_i32 s25, s24, 31
	v_addc_co_u32_e32 v3, vcc, v5, v3, vcc
	s_lshl_b64 s[2:3], s[24:25], 6
	global_load_dwordx2 v[6:7], v[4:5], off
	global_load_dwordx2 v[8:9], v[2:3], off
	v_mov_b32_e32 v18, s3
	v_add_co_u32_e32 v2, vcc, s2, v2
	v_addc_co_u32_e32 v3, vcc, v3, v18, vcc
	global_load_dwordx2 v[16:17], v[2:3], off
	v_add_co_u32_e32 v2, vcc, s2, v2
	v_addc_co_u32_e32 v3, vcc, v3, v18, vcc
	global_load_dwordx2 v[2:3], v[2:3], off
	v_add_lshl_u32 v18, v11, v0, 3
	s_waitcnt vmcnt(3)
	ds_write_b64 v18, v[6:7]
	s_waitcnt vmcnt(2)
	ds_write_b64 v18, v[8:9] offset:2112
	s_waitcnt vmcnt(1)
	ds_write_b64 v18, v[16:17] offset:4224
	;; [unrolled: 2-line block ×3, first 2 shown]
	v_pk_mov_b32 v[2:3], v[4:5], v[4:5] op_sel:[0,1]
.LBB6_28:
	v_lshlrev_b32_e32 v21, 2, v1
	v_cmp_le_u32_e64 s[16:17], v21, v0
	s_waitcnt lgkmcnt(0)
	s_barrier
	s_and_saveexec_b64 s[2:3], s[16:17]
	s_xor_b64 s[2:3], exec, s[2:3]
	s_cbranch_execz .LBB6_32
; %bb.29:
	v_cmp_eq_u32_e32 vcc, v21, v0
	s_and_saveexec_b64 s[8:9], vcc
	s_cbranch_execz .LBB6_31
; %bb.30:
	v_mul_u32_u24_e32 v4, 34, v0
	v_lshlrev_b32_e32 v4, 3, v4
	v_mov_b32_e32 v5, 0
	ds_write_b32 v4, v5 offset:4
.LBB6_31:
	s_or_b64 exec, exec, s[8:9]
.LBB6_32:
	s_or_saveexec_b64 s[2:3], s[2:3]
	v_mul_u32_u24_e32 v18, 33, v0
	v_add_lshl_u32 v16, v21, v18, 3
	s_xor_b64 exec, exec, s[2:3]
	s_cbranch_execz .LBB6_34
; %bb.33:
	v_mul_u32_u24_e32 v4, 0x84, v1
	v_add_lshl_u32 v4, v4, v0, 3
	ds_read_b64 v[4:5], v4
	s_waitcnt lgkmcnt(0)
	v_xor_b32_e32 v5, 0x80000000, v5
	ds_write_b64 v16, v[4:5]
.LBB6_34:
	s_or_b64 exec, exec, s[2:3]
	v_or_b32_e32 v17, 1, v21
	v_cmp_ge_u32_e64 s[8:9], v21, v0
	v_mul_u32_u24_e32 v4, 33, v17
	s_and_saveexec_b64 s[2:3], s[8:9]
	s_xor_b64 s[2:3], exec, s[2:3]
	s_cbranch_execz .LBB6_36
; %bb.35:
	v_add_lshl_u32 v5, v4, v0, 3
	ds_read_b64 v[6:7], v5
	s_waitcnt lgkmcnt(0)
	v_xor_b32_e32 v7, 0x80000000, v7
	ds_write_b64 v16, v[6:7] offset:8
.LBB6_36:
	s_andn2_saveexec_b64 s[2:3], s[2:3]
	s_cbranch_execz .LBB6_40
; %bb.37:
	v_cmp_eq_u32_e32 vcc, v17, v0
	s_and_saveexec_b64 s[10:11], vcc
	s_cbranch_execz .LBB6_39
; %bb.38:
	v_mul_u32_u24_e32 v5, 34, v0
	v_lshlrev_b32_e32 v5, 3, v5
	v_mov_b32_e32 v6, 0
	ds_write_b32 v5, v6 offset:4
.LBB6_39:
	s_or_b64 exec, exec, s[10:11]
.LBB6_40:
	s_or_b64 exec, exec, s[2:3]
	v_or_b32_e32 v25, 2, v21
	v_cmp_le_u32_e64 s[10:11], v25, v0
	s_and_saveexec_b64 s[2:3], s[10:11]
	s_xor_b64 s[2:3], exec, s[2:3]
	s_cbranch_execz .LBB6_44
; %bb.41:
	v_cmp_eq_u32_e32 vcc, v25, v0
	s_and_saveexec_b64 s[12:13], vcc
	s_cbranch_execz .LBB6_43
; %bb.42:
	v_mul_u32_u24_e32 v5, 34, v0
	v_lshlrev_b32_e32 v5, 3, v5
	v_mov_b32_e32 v6, 0
	ds_write_b32 v5, v6 offset:4
.LBB6_43:
	s_or_b64 exec, exec, s[12:13]
.LBB6_44:
	s_andn2_saveexec_b64 s[2:3], s[2:3]
	s_cbranch_execz .LBB6_46
; %bb.45:
	v_mul_u32_u24_e32 v5, 33, v25
	v_add_lshl_u32 v5, v5, v0, 3
	ds_read_b64 v[6:7], v5
	s_waitcnt lgkmcnt(0)
	v_xor_b32_e32 v7, 0x80000000, v7
	ds_write_b64 v16, v[6:7] offset:16
.LBB6_46:
	s_or_b64 exec, exec, s[2:3]
	v_or_b32_e32 v26, 3, v21
	v_cmp_le_u32_e64 s[12:13], v26, v0
	s_and_saveexec_b64 s[2:3], s[12:13]
	s_xor_b64 s[2:3], exec, s[2:3]
	s_cbranch_execz .LBB6_50
; %bb.47:
	v_cmp_eq_u32_e32 vcc, v26, v0
	s_and_saveexec_b64 s[14:15], vcc
	s_cbranch_execz .LBB6_49
; %bb.48:
	v_mul_u32_u24_e32 v5, 34, v0
	v_lshlrev_b32_e32 v5, 3, v5
	v_mov_b32_e32 v6, 0
	ds_write_b32 v5, v6 offset:4
.LBB6_49:
	s_or_b64 exec, exec, s[14:15]
.LBB6_50:
	s_andn2_saveexec_b64 s[2:3], s[2:3]
	s_cbranch_execz .LBB6_52
; %bb.51:
	v_mul_u32_u24_e32 v5, 33, v26
	v_add_lshl_u32 v5, v5, v0, 3
	ds_read_b64 v[6:7], v5
	s_waitcnt lgkmcnt(0)
	v_xor_b32_e32 v7, 0x80000000, v7
	ds_write_b64 v16, v[6:7] offset:24
.LBB6_52:
	s_or_b64 exec, exec, s[2:3]
	v_mul_u32_u24_e32 v5, 0x84, v1
	v_lshlrev_b32_e32 v27, 3, v21
	s_waitcnt lgkmcnt(0)
	s_barrier
	v_add_lshl_u32 v20, v5, v0, 3
	v_add_lshl_u32 v19, v4, v0, 3
	ds_read_b128 v[4:7], v27 offset:9088
	ds_read_b64 v[8:9], v20
	ds_read2_b64 v[32:35], v19 offset1:33
	ds_read_b64 v[40:41], v19 offset:528
	ds_read_b128 v[36:39], v27 offset:9104
	s_mov_b32 s14, 0
	s_waitcnt lgkmcnt(3)
	v_pk_mul_f32 v[42:43], v[4:5], v[8:9] op_sel:[0,1]
	v_pk_fma_f32 v[44:45], v[4:5], v[8:9], v[42:43] op_sel:[0,0,1] op_sel_hi:[1,1,0] neg_lo:[0,0,1] neg_hi:[0,0,1]
	v_pk_fma_f32 v[4:5], v[4:5], v[8:9], v[42:43] op_sel:[0,0,1] op_sel_hi:[1,0,0]
	s_waitcnt lgkmcnt(2)
	v_pk_mul_f32 v[8:9], v[6:7], v[32:33] op_sel:[0,1]
	v_pk_fma_f32 v[42:43], v[6:7], v[32:33], v[8:9] op_sel:[0,0,1] op_sel_hi:[1,1,0] neg_lo:[0,0,1] neg_hi:[0,0,1]
	v_pk_fma_f32 v[6:7], v[6:7], v[32:33], v[8:9] op_sel:[0,0,1] op_sel_hi:[1,0,0]
	v_mov_b32_e32 v45, v5
	v_mov_b32_e32 v43, v7
	s_waitcnt lgkmcnt(0)
	v_pk_mul_f32 v[6:7], v[36:37], v[34:35] op_sel:[0,1]
	v_pk_add_f32 v[4:5], v[44:45], 0 op_sel_hi:[1,0]
	v_pk_fma_f32 v[8:9], v[36:37], v[34:35], v[6:7] op_sel:[0,0,1] op_sel_hi:[1,1,0] neg_lo:[0,0,1] neg_hi:[0,0,1]
	v_pk_fma_f32 v[6:7], v[36:37], v[34:35], v[6:7] op_sel:[0,0,1] op_sel_hi:[1,0,0]
	v_pk_add_f32 v[4:5], v[4:5], v[42:43]
	v_mov_b32_e32 v9, v7
	v_pk_mul_f32 v[6:7], v[38:39], v[40:41] op_sel:[0,1]
	v_pk_add_f32 v[4:5], v[4:5], v[8:9]
	v_pk_fma_f32 v[8:9], v[38:39], v[40:41], v[6:7] op_sel:[0,0,1] op_sel_hi:[1,1,0] neg_lo:[0,0,1] neg_hi:[0,0,1]
	v_pk_fma_f32 v[6:7], v[38:39], v[40:41], v[6:7] op_sel:[0,0,1] op_sel_hi:[1,0,0]
	s_mov_b32 s15, s14
	v_mov_b32_e32 v9, v7
	v_add_lshl_u32 v23, v1, v18, 3
	v_pk_add_f32 v[4:5], v[4:5], v[8:9]
	v_cmp_gt_u32_e64 s[2:3], 32, v22
	v_pk_mov_b32 v[32:33], s[14:15], s[14:15] op_sel:[0,1]
	v_lshlrev_b32_e32 v24, 3, v18
	s_barrier
	ds_write_b64 v23, v[4:5]
	s_waitcnt lgkmcnt(0)
	s_barrier
	s_and_saveexec_b64 s[14:15], s[2:3]
	s_cbranch_execz .LBB6_54
; %bb.53:
	ds_read2_b64 v[4:7], v24 offset1:7
	ds_read2_b64 v[32:35], v24 offset0:1 offset1:2
	ds_read2_b64 v[36:39], v24 offset0:3 offset1:4
	s_waitcnt lgkmcnt(1)
	v_add_f32_e32 v4, v32, v4
	v_add_f32_e32 v5, v33, v5
	;; [unrolled: 1-line block ×4, first 2 shown]
	ds_read2_b64 v[32:35], v24 offset0:5 offset1:6
	s_waitcnt lgkmcnt(1)
	v_add_f32_e32 v4, v4, v36
	v_add_f32_e32 v5, v5, v37
	;; [unrolled: 1-line block ×4, first 2 shown]
	s_waitcnt lgkmcnt(0)
	v_add_f32_e32 v4, v4, v32
	v_add_f32_e32 v5, v5, v33
	;; [unrolled: 1-line block ×4, first 2 shown]
	v_pk_add_f32 v[32:33], v[4:5], v[6:7]
.LBB6_54:
	s_or_b64 exec, exec, s[14:15]
	s_lshl_b32 s26, s24, 5
	s_ashr_i32 s27, s26, 31
	s_lshl_b64 s[28:29], s[26:27], 3
	v_mov_b32_e32 v4, s29
	v_add_co_u32_e32 v6, vcc, s28, v2
	v_addc_co_u32_e32 v7, vcc, v3, v4, vcc
	v_add_co_u32_e32 v4, vcc, 0x100, v6
	v_addc_co_u32_e32 v5, vcc, 0, v7, vcc
	s_and_b64 vcc, exec, s[30:31]
	s_barrier
	s_cbranch_vccz .LBB6_70
; %bb.55:
	v_sub_co_u32_e32 v3, vcc, v4, v10
	s_ashr_i32 s19, s18, 31
	v_subbrev_co_u32_e32 v8, vcc, 0, v5, vcc
	s_lshl_b64 s[34:35], s[18:19], 3
	v_mov_b32_e32 v9, s35
	v_add_co_u32_e32 v3, vcc, s34, v3
	v_addc_co_u32_e32 v8, vcc, v8, v9, vcc
	v_or_b32_e32 v2, 32, v0
	v_add_co_u32_e32 v9, vcc, 0xfffffef8, v3
	v_addc_co_u32_e32 v3, vcc, -1, v8, vcc
	v_cmp_gt_i32_e64 s[14:15], s18, v2
	s_sub_i32 s19, s18, 32
	v_mov_b32_e32 v8, 0
	v_cndmask_b32_e64 v3, v3, v5, s[14:15]
	v_cndmask_b32_e64 v2, v9, v4, s[14:15]
	v_cmp_gt_i32_e32 vcc, s19, v1
	v_mov_b32_e32 v9, v8
	s_and_saveexec_b64 s[36:37], vcc
	s_cbranch_execz .LBB6_57
; %bb.56:
	global_load_dwordx2 v[8:9], v[2:3], off
.LBB6_57:
	s_or_b64 exec, exec, s[36:37]
	v_add_lshl_u32 v29, v11, v0, 3
	s_waitcnt vmcnt(0)
	ds_write_b64 v29, v[8:9]
	v_add_u32_e32 v8, 8, v1
	v_cmp_le_i32_e32 vcc, s19, v8
	s_and_saveexec_b64 s[36:37], vcc
	s_xor_b64 s[36:37], exec, s[36:37]
	s_cbranch_execz .LBB6_59
; %bb.58:
	v_mul_u32_u24_e32 v8, 33, v8
	v_add_lshl_u32 v31, v8, v0, 3
	v_mov_b32_e32 v8, 0
	v_mov_b32_e32 v9, v8
	ds_write_b64 v31, v[8:9]
.LBB6_59:
	s_andn2_saveexec_b64 s[36:37], s[36:37]
	s_cbranch_execz .LBB6_61
; %bb.60:
	s_lshl_b32 s42, s24, 3
	s_ashr_i32 s43, s42, 31
	s_lshl_b64 s[42:43], s[42:43], 3
	v_mov_b32_e32 v9, s43
	v_add_co_u32_e32 v8, vcc, s42, v2
	v_addc_co_u32_e32 v9, vcc, v3, v9, vcc
	global_load_dwordx2 v[8:9], v[8:9], off
	s_waitcnt vmcnt(0)
	ds_write_b64 v29, v[8:9] offset:2112
.LBB6_61:
	s_or_b64 exec, exec, s[36:37]
	v_add_u32_e32 v8, 16, v1
	v_cmp_le_i32_e32 vcc, s19, v8
	s_and_saveexec_b64 s[36:37], vcc
	s_xor_b64 s[36:37], exec, s[36:37]
	s_cbranch_execz .LBB6_63
; %bb.62:
	v_mul_u32_u24_e32 v8, 33, v8
	v_add_lshl_u32 v31, v8, v0, 3
	v_mov_b32_e32 v8, 0
	v_mov_b32_e32 v9, v8
	ds_write_b64 v31, v[8:9]
.LBB6_63:
	s_andn2_saveexec_b64 s[36:37], s[36:37]
	s_cbranch_execz .LBB6_65
; %bb.64:
	s_lshl_b32 s42, s24, 4
	s_ashr_i32 s43, s42, 31
	s_lshl_b64 s[42:43], s[42:43], 3
	v_mov_b32_e32 v9, s43
	v_add_co_u32_e32 v8, vcc, s42, v2
	v_addc_co_u32_e32 v9, vcc, v3, v9, vcc
	global_load_dwordx2 v[8:9], v[8:9], off
	s_waitcnt vmcnt(0)
	ds_write_b64 v29, v[8:9] offset:4224
.LBB6_65:
	s_or_b64 exec, exec, s[36:37]
	v_add_u32_e32 v8, 24, v1
	v_cmp_le_i32_e32 vcc, s19, v8
	s_and_saveexec_b64 s[36:37], vcc
	s_xor_b64 s[36:37], exec, s[36:37]
	s_cbranch_execz .LBB6_67
; %bb.66:
	v_mov_b32_e32 v8, 0
	v_mov_b32_e32 v9, v8
	ds_write_b64 v29, v[8:9] offset:6336
                                        ; implicit-def: $vgpr29
.LBB6_67:
	s_andn2_saveexec_b64 s[36:37], s[36:37]
	s_cbranch_execz .LBB6_69
; %bb.68:
	s_mul_i32 s42, s24, 24
	s_ashr_i32 s43, s42, 31
	s_lshl_b64 s[42:43], s[42:43], 3
	v_mov_b32_e32 v9, s43
	v_add_co_u32_e32 v8, vcc, s42, v2
	v_addc_co_u32_e32 v9, vcc, v3, v9, vcc
	global_load_dwordx2 v[8:9], v[8:9], off
	s_waitcnt vmcnt(0)
	ds_write_b64 v29, v[8:9] offset:6336
.LBB6_69:
	s_or_b64 exec, exec, s[36:37]
	v_add_co_u32_e32 v2, vcc, v2, v10
	v_addc_co_u32_e32 v3, vcc, 0, v3, vcc
	v_mov_b32_e32 v8, s35
	v_subrev_co_u32_e32 v2, vcc, s34, v2
	v_subb_co_u32_e32 v3, vcc, v3, v8, vcc
	v_add_co_u32_e32 v2, vcc, 0x108, v2
	v_addc_co_u32_e32 v3, vcc, 0, v3, vcc
	v_cndmask_b32_e64 v3, v3, v5, s[14:15]
	v_cndmask_b32_e64 v2, v2, v4, s[14:15]
	s_branch .LBB6_72
.LBB6_70:
                                        ; implicit-def: $vgpr2_vgpr3
	s_cbranch_execz .LBB6_72
; %bb.71:
	s_lshl_b32 s14, s24, 3
	s_ashr_i32 s15, s14, 31
	s_lshl_b64 s[14:15], s[14:15], 3
	v_mov_b32_e32 v3, s15
	v_add_co_u32_e32 v2, vcc, s14, v6
	s_ashr_i32 s25, s24, 31
	v_addc_co_u32_e32 v3, vcc, v7, v3, vcc
	s_lshl_b64 s[14:15], s[24:25], 6
	v_mov_b32_e32 v29, s15
	v_add_co_u32_e32 v8, vcc, s14, v2
	v_addc_co_u32_e32 v9, vcc, v3, v29, vcc
	v_add_co_u32_e32 v34, vcc, s14, v8
	v_addc_co_u32_e32 v35, vcc, v9, v29, vcc
	global_load_dwordx2 v[36:37], v[6:7], off offset:256
	global_load_dwordx2 v[38:39], v[2:3], off offset:256
	global_load_dwordx2 v[40:41], v[8:9], off offset:256
	global_load_dwordx2 v[42:43], v[34:35], off offset:256
	v_add_lshl_u32 v2, v11, v0, 3
	s_waitcnt vmcnt(3)
	ds_write_b64 v2, v[36:37]
	s_waitcnt vmcnt(2)
	ds_write_b64 v2, v[38:39] offset:2112
	s_waitcnt vmcnt(1)
	ds_write_b64 v2, v[40:41] offset:4224
	;; [unrolled: 2-line block ×3, first 2 shown]
	v_pk_mov_b32 v[2:3], v[4:5], v[4:5] op_sel:[0,1]
.LBB6_72:
	s_waitcnt lgkmcnt(0)
	s_barrier
	s_and_saveexec_b64 s[14:15], s[16:17]
	s_xor_b64 s[14:15], exec, s[14:15]
	s_cbranch_execnz .LBB6_99
; %bb.73:
	s_andn2_saveexec_b64 s[14:15], s[14:15]
	s_cbranch_execnz .LBB6_102
.LBB6_74:
	s_or_b64 exec, exec, s[14:15]
	s_and_saveexec_b64 s[14:15], s[8:9]
	s_xor_b64 s[8:9], exec, s[14:15]
	s_cbranch_execnz .LBB6_103
.LBB6_75:
	s_andn2_saveexec_b64 s[8:9], s[8:9]
	s_cbranch_execnz .LBB6_104
.LBB6_76:
	s_or_b64 exec, exec, s[8:9]
	s_and_saveexec_b64 s[8:9], s[10:11]
	s_xor_b64 s[8:9], exec, s[8:9]
	s_cbranch_execnz .LBB6_107
.LBB6_77:
	s_andn2_saveexec_b64 s[8:9], s[8:9]
	s_cbranch_execnz .LBB6_110
.LBB6_78:
	s_or_b64 exec, exec, s[8:9]
	s_and_saveexec_b64 s[8:9], s[12:13]
	s_xor_b64 s[8:9], exec, s[8:9]
	s_cbranch_execnz .LBB6_111
.LBB6_79:
	s_or_saveexec_b64 s[8:9], s[8:9]
	v_add_u32_e32 v25, 0x2380, v27
	s_xor_b64 exec, exec, s[8:9]
	s_cbranch_execz .LBB6_81
.LBB6_80:
	ds_read_b64 v[4:5], v19 offset:528
	s_waitcnt lgkmcnt(0)
	v_xor_b32_e32 v5, 0x80000000, v5
	ds_write_b64 v16, v[4:5] offset:24
.LBB6_81:
	s_or_b64 exec, exec, s[8:9]
	s_waitcnt lgkmcnt(0)
	s_barrier
	ds_read_b64 v[8:9], v20
	ds_read_b128 v[4:7], v25 offset:256
	ds_read2_b64 v[34:37], v19 offset1:33
	ds_read_b64 v[16:17], v19 offset:528
	ds_read_b128 v[38:41], v25 offset:272
	v_cmp_eq_u32_e64 s[8:9], 1, v1
	s_waitcnt lgkmcnt(3)
	v_pk_mul_f32 v[26:27], v[4:5], v[8:9] op_sel:[0,1]
	v_pk_fma_f32 v[42:43], v[4:5], v[8:9], v[26:27] op_sel:[0,0,1] op_sel_hi:[1,1,0] neg_lo:[0,0,1] neg_hi:[0,0,1]
	v_pk_fma_f32 v[4:5], v[4:5], v[8:9], v[26:27] op_sel:[0,0,1] op_sel_hi:[1,0,0]
	s_waitcnt lgkmcnt(2)
	v_pk_mul_f32 v[8:9], v[6:7], v[34:35] op_sel:[0,1]
	v_pk_fma_f32 v[26:27], v[6:7], v[34:35], v[8:9] op_sel:[0,0,1] op_sel_hi:[1,1,0] neg_lo:[0,0,1] neg_hi:[0,0,1]
	v_pk_fma_f32 v[6:7], v[6:7], v[34:35], v[8:9] op_sel:[0,0,1] op_sel_hi:[1,0,0]
	v_mov_b32_e32 v43, v5
	v_mov_b32_e32 v27, v7
	s_waitcnt lgkmcnt(0)
	v_pk_mul_f32 v[6:7], v[38:39], v[36:37] op_sel:[0,1]
	v_pk_add_f32 v[4:5], v[42:43], 0 op_sel_hi:[1,0]
	v_pk_fma_f32 v[8:9], v[38:39], v[36:37], v[6:7] op_sel:[0,0,1] op_sel_hi:[1,1,0] neg_lo:[0,0,1] neg_hi:[0,0,1]
	v_pk_fma_f32 v[6:7], v[38:39], v[36:37], v[6:7] op_sel:[0,0,1] op_sel_hi:[1,0,0]
	v_pk_add_f32 v[4:5], v[4:5], v[26:27]
	v_mov_b32_e32 v9, v7
	v_pk_mul_f32 v[6:7], v[40:41], v[16:17] op_sel:[0,1]
	v_pk_add_f32 v[4:5], v[4:5], v[8:9]
	v_pk_fma_f32 v[8:9], v[40:41], v[16:17], v[6:7] op_sel:[0,0,1] op_sel_hi:[1,1,0] neg_lo:[0,0,1] neg_hi:[0,0,1]
	v_pk_fma_f32 v[6:7], v[40:41], v[16:17], v[6:7] op_sel:[0,0,1] op_sel_hi:[1,0,0]
	v_mov_b32_e32 v9, v7
	v_pk_add_f32 v[4:5], v[4:5], v[8:9]
	s_barrier
	ds_write_b64 v23, v[4:5]
	s_waitcnt lgkmcnt(0)
	s_barrier
	s_and_saveexec_b64 s[10:11], s[8:9]
	s_cbranch_execz .LBB6_83
; %bb.82:
	ds_read2_b64 v[4:7], v24 offset1:7
	ds_read2_b64 v[32:35], v24 offset0:1 offset1:2
	ds_read2_b64 v[36:39], v24 offset0:3 offset1:4
	s_waitcnt lgkmcnt(1)
	v_add_f32_e32 v4, v32, v4
	v_add_f32_e32 v5, v33, v5
	;; [unrolled: 1-line block ×4, first 2 shown]
	ds_read2_b64 v[32:35], v24 offset0:5 offset1:6
	s_waitcnt lgkmcnt(1)
	v_add_f32_e32 v4, v4, v36
	v_add_f32_e32 v5, v5, v37
	;; [unrolled: 1-line block ×4, first 2 shown]
	s_waitcnt lgkmcnt(0)
	v_add_f32_e32 v4, v4, v32
	v_add_f32_e32 v5, v5, v33
	v_pk_add_f32 v[4:5], v[4:5], v[34:35]
	v_pk_add_f32 v[32:33], v[4:5], v[6:7]
.LBB6_83:
	s_or_b64 exec, exec, s[10:11]
	v_add_co_u32_e32 v4, vcc, 0xffffff00, v2
	v_addc_co_u32_e32 v5, vcc, -1, v3, vcc
	s_and_b64 vcc, exec, s[30:31]
	s_barrier
	s_cbranch_vccz .LBB6_114
; %bb.84:
	v_sub_co_u32_e32 v6, vcc, v2, v10
	s_ashr_i32 s19, s18, 31
	v_subbrev_co_u32_e32 v7, vcc, 0, v3, vcc
	s_lshl_b64 s[12:13], s[18:19], 3
	v_mov_b32_e32 v8, s13
	v_add_co_u32_e32 v6, vcc, s12, v6
	v_addc_co_u32_e32 v7, vcc, v7, v8, vcc
	v_add_co_u32_e32 v6, vcc, 0xfffffef8, v6
	v_addc_co_u32_e32 v7, vcc, -1, v7, vcc
	v_cmp_gt_i32_e32 vcc, s18, v0
	s_sub_i32 s16, s18, 32
	v_mov_b32_e32 v8, 0
	v_cndmask_b32_e32 v7, v7, v5, vcc
	v_cndmask_b32_e32 v6, v6, v4, vcc
	v_cmp_gt_i32_e64 s[10:11], s16, v1
	v_mov_b32_e32 v9, v8
	s_and_saveexec_b64 s[14:15], s[10:11]
	s_cbranch_execz .LBB6_86
; %bb.85:
	global_load_dwordx2 v[8:9], v[6:7], off
.LBB6_86:
	s_or_b64 exec, exec, s[14:15]
	v_add_lshl_u32 v16, v11, v0, 3
	s_waitcnt vmcnt(0)
	ds_write_b64 v16, v[8:9]
	v_add_u32_e32 v8, 8, v1
	v_cmp_le_i32_e64 s[10:11], s16, v8
	s_and_saveexec_b64 s[14:15], s[10:11]
	s_xor_b64 s[10:11], exec, s[14:15]
	s_cbranch_execz .LBB6_88
; %bb.87:
	v_mul_u32_u24_e32 v9, 33, v8
	v_mov_b32_e32 v26, 0
	v_add_lshl_u32 v9, v9, v0, 3
	v_mov_b32_e32 v27, v26
	ds_write_b64 v9, v[26:27]
.LBB6_88:
	s_andn2_saveexec_b64 s[14:15], s[10:11]
	s_cbranch_execz .LBB6_90
; %bb.89:
	s_lshl_b32 s10, s24, 3
	s_ashr_i32 s11, s10, 31
	s_lshl_b64 s[10:11], s[10:11], 3
	v_mov_b32_e32 v9, s11
	v_add_co_u32_e64 v26, s[10:11], s10, v6
	v_addc_co_u32_e64 v27, s[10:11], v7, v9, s[10:11]
	global_load_dwordx2 v[26:27], v[26:27], off
	s_waitcnt vmcnt(0)
	ds_write_b64 v16, v[26:27] offset:2112
.LBB6_90:
	s_or_b64 exec, exec, s[14:15]
	v_add_u32_e32 v9, 16, v1
	v_cmp_le_i32_e64 s[10:11], s16, v9
	s_and_saveexec_b64 s[14:15], s[10:11]
	s_xor_b64 s[10:11], exec, s[14:15]
	s_cbranch_execz .LBB6_92
; %bb.91:
	v_mov_b32_e32 v26, 0
	v_mov_b32_e32 v27, v26
	ds_write_b64 v16, v[26:27] offset:4224
.LBB6_92:
	s_andn2_saveexec_b64 s[14:15], s[10:11]
	s_cbranch_execz .LBB6_94
; %bb.93:
	s_lshl_b32 s10, s24, 4
	s_ashr_i32 s11, s10, 31
	s_lshl_b64 s[10:11], s[10:11], 3
	v_mov_b32_e32 v17, s11
	v_add_co_u32_e64 v26, s[10:11], s10, v6
	v_addc_co_u32_e64 v27, s[10:11], v7, v17, s[10:11]
	global_load_dwordx2 v[26:27], v[26:27], off
	s_waitcnt vmcnt(0)
	ds_write_b64 v16, v[26:27] offset:4224
.LBB6_94:
	s_or_b64 exec, exec, s[14:15]
	v_add_u32_e32 v21, 24, v1
	v_cmp_le_i32_e64 s[10:11], s16, v21
	s_and_saveexec_b64 s[14:15], s[10:11]
	s_xor_b64 s[10:11], exec, s[14:15]
	s_cbranch_execz .LBB6_96
; %bb.95:
	v_mov_b32_e32 v26, 0
	v_mov_b32_e32 v27, v26
	ds_write_b64 v16, v[26:27] offset:6336
                                        ; implicit-def: $vgpr16
.LBB6_96:
	s_andn2_saveexec_b64 s[14:15], s[10:11]
	s_cbranch_execz .LBB6_98
; %bb.97:
	s_mul_i32 s10, s24, 24
	s_ashr_i32 s11, s10, 31
	s_lshl_b64 s[10:11], s[10:11], 3
	v_mov_b32_e32 v17, s11
	v_add_co_u32_e64 v26, s[10:11], s10, v6
	v_addc_co_u32_e64 v27, s[10:11], v7, v17, s[10:11]
	global_load_dwordx2 v[26:27], v[26:27], off
	s_waitcnt vmcnt(0)
	ds_write_b64 v16, v[26:27] offset:6336
.LBB6_98:
	s_or_b64 exec, exec, s[14:15]
	v_add_co_u32_e64 v6, s[10:11], v6, v10
	v_addc_co_u32_e64 v7, s[10:11], 0, v7, s[10:11]
	v_mov_b32_e32 v10, s13
	v_subrev_co_u32_e64 v6, s[10:11], s12, v6
	v_subb_co_u32_e64 v7, s[10:11], v7, v10, s[10:11]
	v_add_co_u32_e64 v6, s[10:11], 8, v6
	v_addc_co_u32_e64 v7, s[10:11], 0, v7, s[10:11]
	v_cndmask_b32_e32 v17, v7, v5, vcc
	v_cndmask_b32_e32 v16, v6, v4, vcc
	s_branch .LBB6_116
.LBB6_99:
	v_cmp_eq_u32_e32 vcc, v21, v0
	s_and_saveexec_b64 s[16:17], vcc
	s_cbranch_execz .LBB6_101
; %bb.100:
	v_mul_u32_u24_e32 v4, 34, v0
	v_lshlrev_b32_e32 v4, 3, v4
	v_mov_b32_e32 v5, 0
	ds_write_b32 v4, v5 offset:4
.LBB6_101:
	s_or_b64 exec, exec, s[16:17]
	s_andn2_saveexec_b64 s[14:15], s[14:15]
	s_cbranch_execz .LBB6_74
.LBB6_102:
	ds_read_b64 v[4:5], v20
	s_waitcnt lgkmcnt(0)
	v_xor_b32_e32 v5, 0x80000000, v5
	ds_write_b64 v16, v[4:5]
	s_or_b64 exec, exec, s[14:15]
	s_and_saveexec_b64 s[14:15], s[8:9]
	s_xor_b64 s[8:9], exec, s[14:15]
	s_cbranch_execz .LBB6_75
.LBB6_103:
	ds_read_b64 v[4:5], v19
                                        ; implicit-def: $vgpr17
	s_waitcnt lgkmcnt(0)
	v_xor_b32_e32 v5, 0x80000000, v5
	ds_write_b64 v16, v[4:5] offset:8
	s_andn2_saveexec_b64 s[8:9], s[8:9]
	s_cbranch_execz .LBB6_76
.LBB6_104:
	v_cmp_eq_u32_e32 vcc, v17, v0
	s_and_saveexec_b64 s[14:15], vcc
	s_cbranch_execz .LBB6_106
; %bb.105:
	v_mul_u32_u24_e32 v4, 34, v0
	v_lshlrev_b32_e32 v4, 3, v4
	v_mov_b32_e32 v5, 0
	ds_write_b32 v4, v5 offset:4
.LBB6_106:
	s_or_b64 exec, exec, s[14:15]
	s_or_b64 exec, exec, s[8:9]
	s_and_saveexec_b64 s[8:9], s[10:11]
	s_xor_b64 s[8:9], exec, s[8:9]
	s_cbranch_execz .LBB6_77
.LBB6_107:
	v_cmp_eq_u32_e32 vcc, v25, v0
	s_and_saveexec_b64 s[10:11], vcc
	s_cbranch_execz .LBB6_109
; %bb.108:
	v_mul_u32_u24_e32 v4, 34, v0
	v_lshlrev_b32_e32 v4, 3, v4
	v_mov_b32_e32 v5, 0
	ds_write_b32 v4, v5 offset:4
.LBB6_109:
	s_or_b64 exec, exec, s[10:11]
	s_andn2_saveexec_b64 s[8:9], s[8:9]
	s_cbranch_execz .LBB6_78
.LBB6_110:
	ds_read_b64 v[4:5], v19 offset:264
	s_waitcnt lgkmcnt(0)
	v_xor_b32_e32 v5, 0x80000000, v5
	ds_write_b64 v16, v[4:5] offset:16
	s_or_b64 exec, exec, s[8:9]
	s_and_saveexec_b64 s[8:9], s[12:13]
	s_xor_b64 s[8:9], exec, s[8:9]
	s_cbranch_execz .LBB6_79
.LBB6_111:
	v_cmp_eq_u32_e32 vcc, v26, v0
	s_and_saveexec_b64 s[10:11], vcc
	s_cbranch_execz .LBB6_113
; %bb.112:
	v_mul_u32_u24_e32 v4, 34, v0
	v_lshlrev_b32_e32 v4, 3, v4
	v_mov_b32_e32 v5, 0
	ds_write_b32 v4, v5 offset:4
.LBB6_113:
	s_or_b64 exec, exec, s[10:11]
                                        ; implicit-def: $vgpr16
	s_or_saveexec_b64 s[8:9], s[8:9]
	v_add_u32_e32 v25, 0x2380, v27
	s_xor_b64 exec, exec, s[8:9]
	s_cbranch_execnz .LBB6_80
	s_branch .LBB6_81
.LBB6_114:
                                        ; implicit-def: $vgpr16_vgpr17
                                        ; implicit-def: $vgpr8
                                        ; implicit-def: $vgpr9
                                        ; implicit-def: $vgpr21
	s_cbranch_execz .LBB6_116
; %bb.115:
	s_lshl_b32 s10, s24, 3
	s_ashr_i32 s11, s10, 31
	s_lshl_b64 s[10:11], s[10:11], 3
	global_load_dwordx2 v[6:7], v[2:3], off offset:-256
	v_mov_b32_e32 v8, s11
	v_add_co_u32_e32 v2, vcc, s10, v2
	s_ashr_i32 s25, s24, 31
	v_addc_co_u32_e32 v3, vcc, v3, v8, vcc
	s_lshl_b64 s[10:11], s[24:25], 6
	v_mov_b32_e32 v10, s11
	v_add_co_u32_e32 v8, vcc, s10, v2
	v_addc_co_u32_e32 v9, vcc, v3, v10, vcc
	global_load_dwordx2 v[16:17], v[2:3], off offset:-256
	global_load_dwordx2 v[26:27], v[8:9], off offset:-256
	v_add_co_u32_e32 v2, vcc, s10, v8
	v_addc_co_u32_e32 v3, vcc, v9, v10, vcc
	global_load_dwordx2 v[2:3], v[2:3], off offset:-256
	v_add_lshl_u32 v0, v11, v0, 3
	v_add_u32_e32 v8, 8, v1
	v_add_u32_e32 v9, 16, v1
	;; [unrolled: 1-line block ×3, first 2 shown]
	s_waitcnt vmcnt(3)
	ds_write_b64 v0, v[6:7]
	s_waitcnt vmcnt(2)
	ds_write_b64 v0, v[16:17] offset:2112
	s_waitcnt vmcnt(1)
	ds_write_b64 v0, v[26:27] offset:4224
	;; [unrolled: 2-line block ×3, first 2 shown]
	v_pk_mov_b32 v[16:17], v[4:5], v[4:5] op_sel:[0,1]
.LBB6_116:
	s_waitcnt lgkmcnt(0)
	s_barrier
	ds_read_b64 v[26:27], v23
	v_add_lshl_u32 v0, v9, v18, 3
	ds_read_b64 v[34:35], v0
	v_lshlrev_b32_e32 v4, 3, v1
	v_add_lshl_u32 v5, v8, v18, 3
	v_lshlrev_b32_e32 v6, 3, v8
	v_lshlrev_b32_e32 v7, 3, v9
	v_add_lshl_u32 v18, v21, v18, 3
	v_lshlrev_b32_e32 v29, 3, v21
	ds_read2_b64 v[0:3], v19 offset1:33
	ds_read_b64 v[20:21], v20
	ds_read_b128 v[8:11], v25 offset:256
	ds_read_b64 v[36:37], v6 offset:9088
	ds_read_b64 v[38:39], v5
	ds_read_b64 v[40:41], v4 offset:9088
	ds_read_b64 v[42:43], v29 offset:9088
	ds_read_b64 v[44:45], v18
	ds_read_b64 v[46:47], v7 offset:9088
	ds_read_b64 v[18:19], v19 offset:528
	ds_read_b128 v[4:7], v25 offset:272
	s_waitcnt lgkmcnt(5)
	v_pk_mul_f32 v[48:49], v[26:27], v[40:41] op_sel:[1,0]
	v_pk_mul_f32 v[50:51], v[38:39], v[36:37] op_sel:[1,0]
	v_pk_fma_f32 v[56:57], v[26:27], v[40:41], v[48:49] op_sel:[0,0,1] op_sel_hi:[1,1,0]
	v_pk_fma_f32 v[26:27], v[26:27], v[40:41], v[48:49] op_sel:[0,0,1] op_sel_hi:[0,1,0] neg_lo:[0,0,1] neg_hi:[0,0,1]
	s_waitcnt lgkmcnt(2)
	v_pk_mul_f32 v[52:53], v[34:35], v[46:47] op_sel:[1,0]
	v_mov_b32_e32 v57, v27
	v_pk_fma_f32 v[40:41], v[38:39], v[36:37], v[50:51] op_sel:[0,0,1] op_sel_hi:[1,1,0]
	v_pk_fma_f32 v[36:37], v[38:39], v[36:37], v[50:51] op_sel:[0,0,1] op_sel_hi:[0,1,0] neg_lo:[0,0,1] neg_hi:[0,0,1]
	v_pk_add_f32 v[26:27], v[56:57], 0 op_sel_hi:[1,0]
	v_mov_b32_e32 v41, v37
	v_pk_fma_f32 v[36:37], v[34:35], v[46:47], v[52:53] op_sel:[0,0,1] op_sel_hi:[1,1,0]
	v_pk_fma_f32 v[34:35], v[34:35], v[46:47], v[52:53] op_sel:[0,0,1] op_sel_hi:[0,1,0] neg_lo:[0,0,1] neg_hi:[0,0,1]
	v_pk_mul_f32 v[54:55], v[44:45], v[42:43] op_sel:[1,0]
	v_pk_add_f32 v[26:27], v[26:27], v[40:41]
	v_mov_b32_e32 v37, v35
	v_pk_add_f32 v[26:27], v[26:27], v[36:37]
	v_pk_fma_f32 v[34:35], v[44:45], v[42:43], v[54:55] op_sel:[0,0,1] op_sel_hi:[1,1,0]
	v_pk_fma_f32 v[36:37], v[44:45], v[42:43], v[54:55] op_sel:[0,0,1] op_sel_hi:[0,1,0] neg_lo:[0,0,1] neg_hi:[0,0,1]
	v_mov_b32_e32 v35, v37
	v_pk_add_f32 v[26:27], v[26:27], v[34:35]
	s_waitcnt lgkmcnt(0)
	s_barrier
	ds_write_b64 v23, v[26:27]
	s_waitcnt lgkmcnt(0)
	s_barrier
	s_and_saveexec_b64 s[10:11], s[8:9]
	s_cbranch_execz .LBB6_118
; %bb.117:
	ds_read2_b64 v[34:37], v24 offset1:1
	ds_read2_b64 v[38:41], v24 offset0:2 offset1:3
	ds_read2_b64 v[42:45], v24 offset0:6 offset1:7
	s_waitcnt lgkmcnt(2)
	v_pk_add_f32 v[26:27], v[32:33], v[34:35]
	ds_read2_b64 v[32:35], v24 offset0:4 offset1:5
	v_pk_add_f32 v[26:27], v[26:27], v[36:37]
	s_waitcnt lgkmcnt(2)
	v_pk_add_f32 v[26:27], v[26:27], v[38:39]
	v_pk_add_f32 v[26:27], v[26:27], v[40:41]
	s_waitcnt lgkmcnt(0)
	v_pk_add_f32 v[26:27], v[26:27], v[32:33]
	v_pk_add_f32 v[26:27], v[26:27], v[34:35]
	;; [unrolled: 1-line block ×4, first 2 shown]
.LBB6_118:
	s_or_b64 exec, exec, s[10:11]
	v_pk_mul_f32 v[26:27], v[8:9], v[20:21] op_sel:[0,1]
	v_pk_fma_f32 v[34:35], v[8:9], v[20:21], v[26:27] op_sel:[0,0,1] op_sel_hi:[1,1,0] neg_lo:[0,0,1] neg_hi:[0,0,1]
	v_pk_fma_f32 v[8:9], v[8:9], v[20:21], v[26:27] op_sel:[0,0,1] op_sel_hi:[1,0,0]
	v_pk_mul_f32 v[20:21], v[10:11], v[0:1] op_sel:[0,1]
	v_mov_b32_e32 v35, v9
	v_pk_fma_f32 v[26:27], v[10:11], v[0:1], v[20:21] op_sel:[0,0,1] op_sel_hi:[1,1,0] neg_lo:[0,0,1] neg_hi:[0,0,1]
	v_pk_fma_f32 v[0:1], v[10:11], v[0:1], v[20:21] op_sel:[0,0,1] op_sel_hi:[1,0,0]
	v_pk_add_f32 v[8:9], v[34:35], 0 op_sel_hi:[1,0]
	v_mov_b32_e32 v27, v1
	v_pk_add_f32 v[0:1], v[8:9], v[26:27]
	v_pk_mul_f32 v[8:9], v[4:5], v[2:3] op_sel:[0,1]
	v_pk_fma_f32 v[10:11], v[4:5], v[2:3], v[8:9] op_sel:[0,0,1] op_sel_hi:[1,1,0] neg_lo:[0,0,1] neg_hi:[0,0,1]
	v_pk_fma_f32 v[2:3], v[4:5], v[2:3], v[8:9] op_sel:[0,0,1] op_sel_hi:[1,0,0]
	v_mov_b32_e32 v11, v3
	v_pk_mul_f32 v[2:3], v[6:7], v[18:19] op_sel:[0,1]
	v_pk_fma_f32 v[4:5], v[6:7], v[18:19], v[2:3] op_sel:[0,0,1] op_sel_hi:[1,1,0] neg_lo:[0,0,1] neg_hi:[0,0,1]
	v_pk_fma_f32 v[2:3], v[6:7], v[18:19], v[2:3] op_sel:[0,0,1] op_sel_hi:[1,0,0]
	v_pk_add_f32 v[0:1], v[0:1], v[10:11]
	v_mov_b32_e32 v5, v3
	v_pk_add_f32 v[0:1], v[0:1], v[4:5]
	s_barrier
	ds_write_b64 v23, v[0:1]
	s_waitcnt lgkmcnt(0)
	s_barrier
	s_and_saveexec_b64 s[8:9], s[2:3]
	s_cbranch_execz .LBB6_120
; %bb.119:
	ds_read2_b64 v[0:3], v24 offset1:1
	ds_read2_b64 v[4:7], v24 offset0:2 offset1:3
	ds_read2_b64 v[8:11], v24 offset0:4 offset1:5
	s_waitcnt lgkmcnt(2)
	v_pk_add_f32 v[0:1], v[32:33], v[0:1]
	v_pk_add_f32 v[18:19], v[0:1], v[2:3]
	ds_read2_b64 v[0:3], v24 offset0:6 offset1:7
	s_waitcnt lgkmcnt(2)
	v_pk_add_f32 v[4:5], v[18:19], v[4:5]
	v_pk_add_f32 v[4:5], v[4:5], v[6:7]
	s_waitcnt lgkmcnt(1)
	v_pk_add_f32 v[4:5], v[4:5], v[8:9]
	v_pk_add_f32 v[4:5], v[4:5], v[10:11]
	;; [unrolled: 3-line block ×3, first 2 shown]
.LBB6_120:
	s_or_b64 exec, exec, s[8:9]
	s_load_dwordx2 s[2:3], s[4:5], 0x68
	s_mul_hi_u32 s4, s40, s7
	s_mul_i32 s41, s41, s7
	s_add_i32 s4, s4, s41
	s_mul_i32 s7, s40, s7
	s_mul_i32 s4, s4, s33
	s_mul_hi_u32 s5, s7, s33
	s_add_i32 s5, s5, s4
	s_mul_i32 s4, s7, s33
	s_lshl_b64 s[4:5], s[4:5], 3
	s_waitcnt lgkmcnt(0)
	s_add_u32 s4, s2, s4
	s_addc_u32 s5, s3, s5
	s_mul_hi_i32 s3, s40, s6
	s_mul_i32 s2, s40, s6
	s_lshl_b64 s[2:3], s[2:3], 3
	s_add_u32 s7, s4, s2
	s_addc_u32 s19, s5, s3
	s_add_i32 s8, s6, 1
	s_cmp_ge_u32 s8, s33
	v_lshlrev_b32_e32 v73, 3, v30
	s_barrier
	s_cbranch_scc1 .LBB6_178
; %bb.121:
	s_mul_i32 s2, s22, s39
	s_ashr_i32 s3, s2, 31
	s_lshl_b64 s[2:3], s[2:3], 3
	v_lshlrev_b32_e32 v119, 2, v71
	v_mov_b32_e32 v0, s3
	v_subrev_co_u32_e32 v133, vcc, s2, v12
	v_subb_co_u32_e32 v134, vcc, v13, v0, vcc
	v_mad_u64_u32 v[0:1], s[2:3], v119, s24, v[30:31]
	v_ashrrev_i32_e32 v1, 31, v0
	v_sub_co_u32_e32 v135, vcc, 0, v14
	s_lshl_b32 s2, s24, 4
	v_subb_co_u32_e32 v136, vcc, 0, v15, vcc
	v_lshlrev_b64 v[2:3], 3, v[0:1]
	s_lshl_b32 s31, s39, 6
	s_ashr_i32 s3, s2, 31
	s_ashr_i32 s25, s24, 31
	s_lshl_b32 s14, s24, 1
	s_mul_i32 s34, s24, 3
	s_mul_i32 s39, s39, s8
	v_mov_b32_e32 v4, s29
	v_add_co_u32_e32 v5, vcc, s28, v2
	s_add_i32 s30, s33, -2
	s_ashr_i32 s15, s14, 31
	s_ashr_i32 s35, s34, 31
	s_lshl_b64 s[4:5], s[24:25], 3
	s_lshl_b32 s10, s39, 6
	v_addc_co_u32_e32 v4, vcc, v4, v3, vcc
	s_lshl_b64 s[12:13], s[2:3], 5
	s_lshl_b64 s[8:9], s[24:25], 4
	v_add_co_u32_e32 v34, vcc, v16, v5
	s_add_u32 s11, s8, s28
	v_addc_co_u32_e32 v29, vcc, v17, v4, vcc
	s_addc_u32 s23, s9, s29
	v_mov_b32_e32 v4, s23
	v_add_co_u32_e32 v5, vcc, s11, v2
	v_addc_co_u32_e32 v4, vcc, v4, v3, vcc
	v_add_co_u32_e32 v36, vcc, v16, v5
	s_add_u32 s25, s4, s28
	v_addc_co_u32_e32 v31, vcc, v17, v4, vcc
	s_addc_u32 s36, s5, s29
	v_mov_b32_e32 v4, s36
	v_add_co_u32_e32 v5, vcc, s25, v2
	v_addc_co_u32_e32 v4, vcc, v4, v3, vcc
	s_lshl_b64 s[16:17], s[14:15], 3
	v_add_co_u32_e32 v38, vcc, v16, v5
	s_add_u32 s14, s28, s16
	v_addc_co_u32_e32 v35, vcc, v17, v4, vcc
	s_addc_u32 s15, s29, s17
	v_mov_b32_e32 v4, s15
	v_add_co_u32_e32 v5, vcc, s14, v2
	v_addc_co_u32_e32 v4, vcc, v4, v3, vcc
	s_lshl_b64 s[14:15], s[34:35], 3
	;; [unrolled: 8-line block ×3, first 2 shown]
	v_add_co_u32_e32 v42, vcc, v16, v5
	s_add_u32 s37, s28, s34
	v_addc_co_u32_e32 v39, vcc, v17, v4, vcc
	s_addc_u32 s39, s29, s35
	v_mov_b32_e32 v4, s39
	v_add_co_u32_e32 v5, vcc, s37, v2
	v_addc_co_u32_e32 v4, vcc, v4, v3, vcc
	v_add_co_u32_e32 v44, vcc, v16, v5
	s_add_u32 s25, s25, s34
	v_addc_co_u32_e32 v41, vcc, v17, v4, vcc
	s_addc_u32 s36, s36, s35
	v_mov_b32_e32 v4, s36
	v_add_co_u32_e32 v5, vcc, s25, v2
	v_addc_co_u32_e32 v4, vcc, v4, v3, vcc
	;; [unrolled: 7-line block ×5, first 2 shown]
	s_lshl_b64 s[34:35], s[2:3], 4
	v_add_co_u32_e32 v52, vcc, v16, v5
	s_add_u32 s3, s34, s28
	v_addc_co_u32_e32 v49, vcc, v17, v4, vcc
	s_addc_u32 s25, s35, s29
	v_mov_b32_e32 v4, s25
	v_add_co_u32_e32 v5, vcc, s3, v2
	v_addc_co_u32_e32 v4, vcc, v4, v3, vcc
	v_add_co_u32_e32 v54, vcc, v16, v5
	s_add_u32 s28, s3, s4
	v_addc_co_u32_e32 v51, vcc, v17, v4, vcc
	s_addc_u32 s29, s25, s5
	v_mov_b32_e32 v4, s29
	v_add_co_u32_e32 v5, vcc, s28, v2
	s_add_u32 s28, s3, s16
	v_addc_co_u32_e32 v4, vcc, v4, v3, vcc
	s_addc_u32 s29, s25, s17
	v_mov_b32_e32 v6, s29
	;; [unrolled: 5-line block ×4, first 2 shown]
	v_add_co_u32_e32 v11, vcc, s3, v2
	v_addc_co_u32_e32 v10, vcc, v10, v3, vcc
	v_mov_b32_e32 v2, s27
	v_add_co_u32_e32 v0, vcc, s26, v0
	v_addc_co_u32_e32 v1, vcc, v2, v1, vcc
	v_lshlrev_b64 v[0:1], 3, v[0:1]
	s_mul_hi_i32 s23, s2, 24
	v_mad_i64_i32 v[2:3], s[2:3], s2, 24, v[0:1]
	v_mov_b32_e32 v12, s5
	v_add_co_u32_e32 v13, vcc, s4, v2
	s_mul_i32 s11, s24, 0x180
	v_addc_co_u32_e32 v12, vcc, v3, v12, vcc
	v_mov_b32_e32 v14, s17
	v_add_co_u32_e32 v15, vcc, s16, v2
	s_add_u32 s2, s11, s8
	v_addc_co_u32_e32 v14, vcc, v3, v14, vcc
	s_addc_u32 s3, s23, s9
	v_mov_b32_e32 v18, s3
	v_add_co_u32_e32 v0, vcc, s2, v0
	v_addc_co_u32_e32 v1, vcc, v18, v1, vcc
	v_mov_b32_e32 v18, s15
	v_add_co_u32_e32 v19, vcc, s14, v2
	v_addc_co_u32_e32 v18, vcc, v3, v18, vcc
	v_add_co_u32_e32 v56, vcc, v16, v2
	v_addc_co_u32_e32 v53, vcc, v17, v3, vcc
	;; [unrolled: 2-line block ×8, first 2 shown]
	v_add_co_u32_e32 v70, vcc, v16, v0
	v_and_b32_e32 v2, 48, v30
	v_addc_co_u32_e32 v67, vcc, v17, v1, vcc
	s_movk_i32 s4, 0x218
	v_and_b32_e32 v1, 15, v30
	v_lshlrev_b32_e32 v3, 3, v2
	v_lshrrev_b32_e32 v0, 4, v22
	v_mad_u32_u24 v137, v1, s4, v3
	v_or_b32_e32 v3, 0x78, v73
	v_mad_u32_u24 v138, v1, s4, v3
	v_lshlrev_b32_e32 v3, 5, v0
	v_add_co_u32_e32 v72, vcc, v16, v19
	v_mad_u32_u24 v139, v1, s4, v3
	v_mov_b32_e32 v3, 0x2180
	s_movk_i32 s4, 0x860
	v_mul_i32_i24_e32 v0, 0xffffffe8, v0
	v_add_u32_e32 v2, s22, v2
	v_addc_co_u32_e32 v69, vcc, v17, v18, vcc
	v_cmp_gt_u32_e64 s[2:3], 64, v22
	v_lshl_add_u32 v140, v71, 5, v3
	v_add3_u32 v74, v2, v1, 64
	s_mov_b32 s14, 0
	v_add_u32_e32 v141, v139, v0
	v_add_u32_e32 v142, 0x2180, v73
	;; [unrolled: 1-line block ×3, first 2 shown]
	v_or_b32_e32 v144, 1, v119
	v_or_b32_e32 v145, 2, v119
	;; [unrolled: 1-line block ×3, first 2 shown]
	v_mad_u32_u24 v147, v71, s4, v73
	v_add_u32_e32 v148, 16, v119
	v_add_u32_e32 v149, 17, v119
	;; [unrolled: 1-line block ×12, first 2 shown]
	v_mov_b32_e32 v76, 0
	s_branch .LBB6_123
.LBB6_122:                              ;   in Loop: Header=BB6_123 Depth=1
	s_or_b64 exec, exec, s[4:5]
	v_mul_f32_e32 v0, v79, v87
	v_fma_f32 v0, v78, v86, -v0
	v_mul_f32_e32 v2, v81, v89
	v_add_f32_e32 v0, v32, v0
	v_fma_f32 v2, v80, v88, -v2
	v_add_f32_e32 v0, v0, v2
	v_mul_f32_e32 v2, v83, v91
	v_fma_f32 v2, v82, v90, -v2
	v_mul_f32_e32 v1, v78, v87
	v_add_f32_e32 v0, v0, v2
	v_mul_f32_e32 v2, v85, v93
	v_mul_f32_e32 v3, v80, v89
	v_fma_f32 v2, v84, v92, -v2
	v_fmac_f32_e32 v1, v79, v86
	v_mul_f32_e32 v4, v82, v91
	v_add_f32_e32 v0, v0, v2
	v_add_f32_e32 v1, v33, v1
	v_fmac_f32_e32 v3, v81, v88
	v_mul_f32_e32 v2, v95, v103
	v_mul_f32_e32 v5, v84, v93
	v_add_f32_e32 v1, v1, v3
	v_fmac_f32_e32 v4, v83, v90
	v_fma_f32 v2, v94, v102, -v2
	v_add_f32_e32 v1, v1, v4
	v_fmac_f32_e32 v5, v85, v92
	v_mul_f32_e32 v6, v94, v103
	v_add_f32_e32 v0, v0, v2
	v_mul_f32_e32 v2, v97, v105
	v_add_f32_e32 v1, v1, v5
	v_fma_f32 v2, v96, v104, -v2
	v_mul_f32_e32 v7, v96, v105
	v_fmac_f32_e32 v6, v95, v102
	v_add_f32_e32 v0, v0, v2
	v_mul_f32_e32 v2, v99, v107
	v_mul_f32_e32 v3, v98, v107
	v_add_f32_e32 v1, v1, v6
	v_fmac_f32_e32 v7, v97, v104
	v_fma_f32 v2, v98, v106, -v2
	v_mul_f32_e32 v4, v101, v109
	v_mul_f32_e32 v5, v100, v109
	v_add_f32_e32 v1, v1, v7
	v_fmac_f32_e32 v3, v99, v106
	v_fma_f32 v4, v100, v108, -v4
	v_pk_add_f32 v[0:1], v[0:1], v[2:3]
	v_fmac_f32_e32 v5, v101, v108
	v_pk_mul_f32 v[2:3], v[110:111], v[120:121] op_sel:[1,0]
	v_pk_add_f32 v[0:1], v[0:1], v[4:5]
	v_pk_fma_f32 v[4:5], v[110:111], v[120:121], v[2:3] op_sel:[0,0,1] op_sel_hi:[1,1,0] neg_lo:[0,0,1] neg_hi:[0,0,1]
	v_pk_fma_f32 v[2:3], v[110:111], v[120:121], v[2:3] op_sel:[0,0,1] op_sel_hi:[0,1,0]
	v_mov_b32_e32 v5, v3
	v_pk_mul_f32 v[2:3], v[112:113], v[8:9] op_sel:[1,0]
	v_pk_add_f32 v[0:1], v[0:1], v[4:5]
	v_pk_fma_f32 v[4:5], v[112:113], v[8:9], v[2:3] op_sel:[0,0,1] op_sel_hi:[1,1,0] neg_lo:[0,0,1] neg_hi:[0,0,1]
	v_pk_fma_f32 v[2:3], v[112:113], v[8:9], v[2:3] op_sel:[0,0,1] op_sel_hi:[0,1,0]
	v_mov_b32_e32 v5, v3
	;; [unrolled: 5-line block ×3, first 2 shown]
	v_pk_mul_f32 v[2:3], v[118:119], v[122:123] op_sel_hi:[0,1]
	v_pk_add_f32 v[0:1], v[0:1], v[4:5]
	v_pk_fma_f32 v[4:5], v[116:117], v[122:123], v[2:3] op_sel:[0,0,1] op_sel_hi:[1,1,0] neg_lo:[0,0,1] neg_hi:[0,0,1]
	v_pk_fma_f32 v[2:3], v[116:117], v[122:123], v[2:3] op_sel:[0,0,1] op_sel_hi:[0,1,0]
	v_mov_b32_e32 v5, v3
	v_pk_mul_f32 v[2:3], v[124:125], v[16:17] op_sel:[1,0]
	v_pk_add_f32 v[0:1], v[0:1], v[4:5]
	v_pk_fma_f32 v[4:5], v[124:125], v[16:17], v[2:3] op_sel:[0,0,1] op_sel_hi:[1,1,0] neg_lo:[0,0,1] neg_hi:[0,0,1]
	v_pk_fma_f32 v[2:3], v[124:125], v[16:17], v[2:3] op_sel:[0,0,1] op_sel_hi:[0,1,0]
	v_mov_b32_e32 v5, v3
	v_pk_mul_f32 v[2:3], v[126:127], v[18:19] op_sel:[1,0]
	v_pk_fma_f32 v[6:7], v[126:127], v[18:19], v[2:3] op_sel:[0,0,1] op_sel_hi:[1,1,0] neg_lo:[0,0,1] neg_hi:[0,0,1]
	v_pk_fma_f32 v[2:3], v[126:127], v[18:19], v[2:3] op_sel:[0,0,1] op_sel_hi:[0,1,0]
	v_mov_b32_e32 v7, v3
	v_pk_mul_f32 v[2:3], v[128:129], v[12:13] op_sel:[1,0]
	v_pk_fma_f32 v[8:9], v[128:129], v[12:13], v[2:3] op_sel:[0,0,1] op_sel_hi:[1,1,0] neg_lo:[0,0,1] neg_hi:[0,0,1]
	v_pk_fma_f32 v[2:3], v[128:129], v[12:13], v[2:3] op_sel:[0,0,1] op_sel_hi:[0,1,0]
	v_mov_b32_e32 v9, v3
	v_pk_mul_f32 v[2:3], v[132:133], v[14:15] op_sel_hi:[0,1]
	v_pk_add_f32 v[0:1], v[0:1], v[4:5]
	v_pk_fma_f32 v[10:11], v[130:131], v[14:15], v[2:3] op_sel:[0,0,1] op_sel_hi:[1,1,0] neg_lo:[0,0,1] neg_hi:[0,0,1]
	v_pk_fma_f32 v[2:3], v[130:131], v[14:15], v[2:3] op_sel:[0,0,1] op_sel_hi:[0,1,0]
	v_pk_add_f32 v[0:1], v[0:1], v[6:7]
	v_mov_b32_e32 v11, v3
	v_pk_add_f32 v[0:1], v[0:1], v[8:9]
	v_pk_add_f32 v[32:33], v[0:1], v[10:11]
	v_mov_b32_e32 v0, s13
	v_add_co_u32_e32 v34, vcc, s12, v34
	v_addc_co_u32_e32 v29, vcc, v29, v0, vcc
	v_add_co_u32_e32 v36, vcc, s12, v36
	v_addc_co_u32_e32 v31, vcc, v31, v0, vcc
	;; [unrolled: 2-line block ×19, first 2 shown]
	s_add_i32 s4, s6, 1
	s_add_i32 s10, s10, s31
	;; [unrolled: 1-line block ×3, first 2 shown]
	v_add_co_u32_e32 v72, vcc, s12, v72
	v_add_u32_e32 v74, 64, v74
	v_addc_co_u32_e32 v69, vcc, v69, v0, vcc
	s_cmp_ge_u32 s5, s33
	s_mov_b32 s6, s4
	s_barrier
	s_cbranch_scc1 .LBB6_178
.LBB6_123:                              ; =>This Inner Loop Header: Depth=1
	s_cmp_eq_u32 s30, s6
	s_cselect_b32 s24, s38, 0
	s_and_saveexec_b64 s[4:5], s[0:1]
	s_cbranch_execz .LBB6_128
; %bb.124:                              ;   in Loop: Header=BB6_123 Depth=1
	s_cmp_lg_u32 s24, 0
	s_cselect_b64 s[8:9], -1, 0
	v_cmp_le_i32_e32 vcc, s24, v30
	s_and_b64 s[8:9], s[8:9], vcc
	s_and_saveexec_b64 s[16:17], s[8:9]
	s_xor_b64 s[8:9], exec, s[16:17]
	s_cbranch_execz .LBB6_126
; %bb.125:                              ;   in Loop: Header=BB6_123 Depth=1
	v_mov_b32_e32 v77, v76
	ds_write_b64 v142, v[76:77]
.LBB6_126:                              ;   in Loop: Header=BB6_123 Depth=1
	s_andn2_saveexec_b64 s[8:9], s[8:9]
	s_cbranch_execz .LBB6_128
; %bb.127:                              ;   in Loop: Header=BB6_123 Depth=1
	s_ashr_i32 s11, s10, 31
	s_lshl_b64 s[8:9], s[10:11], 3
	v_mov_b32_e32 v1, s9
	v_add_co_u32_e32 v0, vcc, s8, v133
	v_addc_co_u32_e32 v1, vcc, v134, v1, vcc
	global_load_dwordx2 v[0:1], v[0:1], off
	s_waitcnt vmcnt(0)
	ds_write_b64 v142, v[0:1]
.LBB6_128:                              ;   in Loop: Header=BB6_123 Depth=1
	s_or_b64 exec, exec, s[4:5]
	s_cmp_eq_u32 s24, 0
	v_add_co_u32_e32 v0, vcc, v34, v135
	s_cselect_b64 s[16:17], -1, 0
	s_cmp_lg_u32 s24, 0
	v_addc_co_u32_e32 v1, vcc, v29, v136, vcc
	s_cselect_b64 s[8:9], -1, 0
	s_and_b64 vcc, exec, s[8:9]
	s_waitcnt lgkmcnt(0)
	s_barrier
	s_cbranch_vccz .LBB6_136
; %bb.129:                              ;   in Loop: Header=BB6_123 Depth=1
	s_mov_b32 s15, s14
	v_cmp_gt_i32_e32 vcc, s24, v119
	v_pk_mov_b32 v[78:79], s[14:15], s[14:15] op_sel:[0,1]
	s_and_saveexec_b64 s[4:5], vcc
	s_cbranch_execz .LBB6_131
; %bb.130:                              ;   in Loop: Header=BB6_123 Depth=1
	global_load_dwordx2 v[78:79], v[0:1], off
.LBB6_131:                              ;   in Loop: Header=BB6_123 Depth=1
	s_or_b64 exec, exec, s[4:5]
	v_cmp_gt_i32_e32 vcc, s24, v144
	v_pk_mov_b32 v[80:81], s[14:15], s[14:15] op_sel:[0,1]
	s_and_saveexec_b64 s[4:5], vcc
	s_cbranch_execz .LBB6_133
; %bb.132:                              ;   in Loop: Header=BB6_123 Depth=1
	v_add_co_u32_e32 v2, vcc, v38, v135
	v_addc_co_u32_e32 v3, vcc, v35, v136, vcc
	global_load_dwordx2 v[80:81], v[2:3], off
.LBB6_133:                              ;   in Loop: Header=BB6_123 Depth=1
	s_or_b64 exec, exec, s[4:5]
	s_mov_b32 s15, s14
	v_cmp_gt_i32_e32 vcc, s24, v145
	v_pk_mov_b32 v[82:83], s[14:15], s[14:15] op_sel:[0,1]
	s_and_saveexec_b64 s[4:5], vcc
	s_cbranch_execz .LBB6_135
; %bb.134:                              ;   in Loop: Header=BB6_123 Depth=1
	v_add_co_u32_e32 v2, vcc, v40, v135
	v_addc_co_u32_e32 v3, vcc, v37, v136, vcc
	global_load_dwordx2 v[82:83], v[2:3], off
.LBB6_135:                              ;   in Loop: Header=BB6_123 Depth=1
	s_or_b64 exec, exec, s[4:5]
	v_cmp_gt_i32_e64 s[4:5], s24, v146
	s_mov_b32 s11, 0
	s_branch .LBB6_138
.LBB6_136:                              ;   in Loop: Header=BB6_123 Depth=1
	s_mov_b64 s[4:5], 0
                                        ; implicit-def: $sgpr11
                                        ; implicit-def: $vgpr82_vgpr83
                                        ; implicit-def: $vgpr80_vgpr81
                                        ; implicit-def: $vgpr78_vgpr79
	s_cbranch_execz .LBB6_138
; %bb.137:                              ;   in Loop: Header=BB6_123 Depth=1
	global_load_dwordx2 v[78:79], v[0:1], off
	v_add_co_u32_e32 v0, vcc, v38, v135
	v_addc_co_u32_e32 v1, vcc, v35, v136, vcc
	global_load_dwordx2 v[80:81], v[0:1], off
	v_add_co_u32_e32 v0, vcc, v36, v135
	v_addc_co_u32_e32 v1, vcc, v31, v136, vcc
	global_load_dwordx2 v[82:83], v[0:1], off
	s_or_b64 s[4:5], s[4:5], exec
                                        ; implicit-def: $sgpr11
.LBB6_138:                              ;   in Loop: Header=BB6_123 Depth=1
	v_mov_b32_e32 v84, s11
	v_mov_b32_e32 v85, s11
	s_and_saveexec_b64 s[22:23], s[4:5]
	s_cbranch_execz .LBB6_140
; %bb.139:                              ;   in Loop: Header=BB6_123 Depth=1
	v_add_co_u32_e32 v0, vcc, v42, v135
	v_addc_co_u32_e32 v1, vcc, v39, v136, vcc
	global_load_dwordx2 v[84:85], v[0:1], off
.LBB6_140:                              ;   in Loop: Header=BB6_123 Depth=1
	s_or_b64 exec, exec, s[22:23]
	ds_read_b64 v[0:1], v143
	ds_read_b64 v[86:87], v140
	v_cndmask_b32_e64 v8, 0, 1, s[8:9]
	v_cmp_ne_u32_e64 s[4:5], 1, v8
	s_andn2_b64 vcc, exec, s[8:9]
	s_waitcnt vmcnt(0) lgkmcnt(1)
	v_mul_f32_e32 v2, v79, v1
	v_mul_f32_e32 v3, v79, v0
	v_fmac_f32_e32 v2, v78, v0
	v_fma_f32 v3, v78, v1, -v3
	v_mul_f32_e32 v4, v81, v1
	ds_write_b64 v147, v[2:3]
	v_mul_f32_e32 v2, v81, v0
	v_fmac_f32_e32 v4, v80, v0
	v_fma_f32 v5, v80, v1, -v2
	v_mul_f32_e32 v2, v83, v1
	v_mul_f32_e32 v3, v83, v0
	ds_read_b64 v[88:89], v140 offset:8
	ds_write_b64 v147, v[4:5] offset:536
	v_fmac_f32_e32 v2, v82, v0
	v_fma_f32 v3, v82, v1, -v3
	ds_read_b64 v[90:91], v140 offset:16
	ds_write_b64 v147, v[2:3] offset:1072
	v_mul_f32_e32 v2, v85, v1
	v_fmac_f32_e32 v2, v84, v0
	v_mul_f32_e32 v0, v85, v0
	v_fma_f32 v3, v84, v1, -v0
	ds_read_b64 v[92:93], v140 offset:24
	ds_write_b64 v147, v[2:3] offset:1608
	s_waitcnt lgkmcnt(0)
	s_barrier
	ds_read2_b64 v[4:7], v139 offset1:1
	ds_read2_b64 v[0:3], v139 offset0:2 offset1:3
	v_add_co_u32_e64 v8, s[8:9], v44, v135
	v_addc_co_u32_e64 v9, s[8:9], v41, v136, s[8:9]
	s_waitcnt lgkmcnt(0)
	s_barrier
	s_cbranch_vccnz .LBB6_148
; %bb.141:                              ;   in Loop: Header=BB6_123 Depth=1
	s_mov_b32 s15, s14
	v_cmp_gt_i32_e32 vcc, s24, v148
	v_pk_mov_b32 v[94:95], s[14:15], s[14:15] op_sel:[0,1]
	s_and_saveexec_b64 s[8:9], vcc
	s_cbranch_execz .LBB6_143
; %bb.142:                              ;   in Loop: Header=BB6_123 Depth=1
	global_load_dwordx2 v[94:95], v[8:9], off
.LBB6_143:                              ;   in Loop: Header=BB6_123 Depth=1
	s_or_b64 exec, exec, s[8:9]
	v_cmp_gt_i32_e32 vcc, s24, v149
	v_pk_mov_b32 v[96:97], s[14:15], s[14:15] op_sel:[0,1]
	s_and_saveexec_b64 s[8:9], vcc
	s_cbranch_execz .LBB6_145
; %bb.144:                              ;   in Loop: Header=BB6_123 Depth=1
	v_add_co_u32_e32 v10, vcc, v46, v135
	v_addc_co_u32_e32 v11, vcc, v43, v136, vcc
	global_load_dwordx2 v[96:97], v[10:11], off
.LBB6_145:                              ;   in Loop: Header=BB6_123 Depth=1
	s_or_b64 exec, exec, s[8:9]
	s_mov_b32 s15, s14
	v_cmp_gt_i32_e32 vcc, s24, v150
	v_pk_mov_b32 v[98:99], s[14:15], s[14:15] op_sel:[0,1]
	s_and_saveexec_b64 s[8:9], vcc
	s_cbranch_execz .LBB6_147
; %bb.146:                              ;   in Loop: Header=BB6_123 Depth=1
	v_add_co_u32_e32 v10, vcc, v48, v135
	v_addc_co_u32_e32 v11, vcc, v45, v136, vcc
	global_load_dwordx2 v[98:99], v[10:11], off
.LBB6_147:                              ;   in Loop: Header=BB6_123 Depth=1
	s_or_b64 exec, exec, s[8:9]
	v_cmp_gt_i32_e64 s[8:9], s24, v151
	s_mov_b32 s11, 0
	s_branch .LBB6_150
.LBB6_148:                              ;   in Loop: Header=BB6_123 Depth=1
	s_mov_b64 s[8:9], 0
                                        ; implicit-def: $sgpr11
                                        ; implicit-def: $vgpr98_vgpr99
                                        ; implicit-def: $vgpr96_vgpr97
                                        ; implicit-def: $vgpr94_vgpr95
	s_cbranch_execz .LBB6_150
; %bb.149:                              ;   in Loop: Header=BB6_123 Depth=1
	global_load_dwordx2 v[94:95], v[8:9], off
	v_add_co_u32_e32 v8, vcc, v46, v135
	v_addc_co_u32_e32 v9, vcc, v43, v136, vcc
	global_load_dwordx2 v[96:97], v[8:9], off
	v_add_co_u32_e32 v8, vcc, v50, v135
	v_addc_co_u32_e32 v9, vcc, v47, v136, vcc
	global_load_dwordx2 v[98:99], v[8:9], off
	s_or_b64 s[8:9], s[8:9], exec
                                        ; implicit-def: $sgpr11
.LBB6_150:                              ;   in Loop: Header=BB6_123 Depth=1
	v_mov_b32_e32 v100, s11
	v_mov_b32_e32 v101, s11
	s_and_saveexec_b64 s[22:23], s[8:9]
	s_cbranch_execz .LBB6_152
; %bb.151:                              ;   in Loop: Header=BB6_123 Depth=1
	v_add_co_u32_e32 v8, vcc, v52, v135
	v_addc_co_u32_e32 v9, vcc, v49, v136, vcc
	global_load_dwordx2 v[100:101], v[8:9], off
.LBB6_152:                              ;   in Loop: Header=BB6_123 Depth=1
	s_or_b64 exec, exec, s[22:23]
	ds_read_b64 v[8:9], v143
	ds_read_b64 v[102:103], v140 offset:128
	s_and_b64 vcc, exec, s[4:5]
	s_waitcnt vmcnt(0) lgkmcnt(1)
	v_mul_f32_e32 v10, v95, v9
	v_mul_f32_e32 v11, v95, v8
	v_fmac_f32_e32 v10, v94, v8
	v_fma_f32 v11, v94, v9, -v11
	v_mul_f32_e32 v12, v97, v9
	ds_write_b64 v147, v[10:11]
	v_mul_f32_e32 v10, v97, v8
	v_fmac_f32_e32 v12, v96, v8
	v_fma_f32 v13, v96, v9, -v10
	v_mul_f32_e32 v10, v99, v9
	v_mul_f32_e32 v11, v99, v8
	ds_read_b64 v[104:105], v140 offset:136
	ds_write_b64 v147, v[12:13] offset:536
	v_fmac_f32_e32 v10, v98, v8
	v_fma_f32 v11, v98, v9, -v11
	ds_read_b64 v[106:107], v140 offset:144
	ds_write_b64 v147, v[10:11] offset:1072
	v_mul_f32_e32 v10, v101, v9
	v_fmac_f32_e32 v10, v100, v8
	v_mul_f32_e32 v8, v101, v8
	v_fma_f32 v11, v100, v9, -v8
	ds_read_b64 v[108:109], v140 offset:152
	ds_write_b64 v147, v[10:11] offset:1608
	s_waitcnt lgkmcnt(0)
	s_barrier
	ds_read2_b64 v[16:19], v139 offset1:1
	ds_read2_b64 v[12:15], v139 offset0:2 offset1:3
	v_add_co_u32_e64 v8, s[8:9], v54, v135
	v_addc_co_u32_e64 v9, s[8:9], v51, v136, s[8:9]
	s_waitcnt lgkmcnt(0)
	s_barrier
	s_cbranch_vccnz .LBB6_160
; %bb.153:                              ;   in Loop: Header=BB6_123 Depth=1
	s_mov_b32 s15, s14
	v_cmp_gt_i32_e32 vcc, s24, v152
	v_pk_mov_b32 v[110:111], s[14:15], s[14:15] op_sel:[0,1]
	s_and_saveexec_b64 s[8:9], vcc
	s_cbranch_execz .LBB6_155
; %bb.154:                              ;   in Loop: Header=BB6_123 Depth=1
	global_load_dwordx2 v[110:111], v[8:9], off
.LBB6_155:                              ;   in Loop: Header=BB6_123 Depth=1
	s_or_b64 exec, exec, s[8:9]
	v_cmp_gt_i32_e32 vcc, s24, v153
	v_pk_mov_b32 v[112:113], s[14:15], s[14:15] op_sel:[0,1]
	s_and_saveexec_b64 s[8:9], vcc
	s_cbranch_execz .LBB6_157
; %bb.156:                              ;   in Loop: Header=BB6_123 Depth=1
	v_add_co_u32_e32 v10, vcc, v58, v135
	v_addc_co_u32_e32 v11, vcc, v55, v136, vcc
	global_load_dwordx2 v[112:113], v[10:11], off
.LBB6_157:                              ;   in Loop: Header=BB6_123 Depth=1
	s_or_b64 exec, exec, s[8:9]
	s_mov_b32 s15, s14
	v_cmp_gt_i32_e32 vcc, s24, v154
	v_pk_mov_b32 v[114:115], s[14:15], s[14:15] op_sel:[0,1]
	s_and_saveexec_b64 s[8:9], vcc
	s_cbranch_execz .LBB6_159
; %bb.158:                              ;   in Loop: Header=BB6_123 Depth=1
	v_add_co_u32_e32 v10, vcc, v60, v135
	v_addc_co_u32_e32 v11, vcc, v57, v136, vcc
	global_load_dwordx2 v[114:115], v[10:11], off
.LBB6_159:                              ;   in Loop: Header=BB6_123 Depth=1
	s_or_b64 exec, exec, s[8:9]
	v_cmp_gt_i32_e64 s[8:9], s24, v155
	s_mov_b32 s11, 0
	s_branch .LBB6_162
.LBB6_160:                              ;   in Loop: Header=BB6_123 Depth=1
	s_mov_b64 s[8:9], 0
                                        ; implicit-def: $sgpr11
                                        ; implicit-def: $vgpr114_vgpr115
                                        ; implicit-def: $vgpr112_vgpr113
                                        ; implicit-def: $vgpr110_vgpr111
	s_cbranch_execz .LBB6_162
; %bb.161:                              ;   in Loop: Header=BB6_123 Depth=1
	global_load_dwordx2 v[110:111], v[8:9], off
	v_add_co_u32_e32 v8, vcc, v58, v135
	v_addc_co_u32_e32 v9, vcc, v55, v136, vcc
	global_load_dwordx2 v[112:113], v[8:9], off
	v_add_co_u32_e32 v8, vcc, v62, v135
	v_addc_co_u32_e32 v9, vcc, v59, v136, vcc
	global_load_dwordx2 v[114:115], v[8:9], off
	s_or_b64 s[8:9], s[8:9], exec
                                        ; implicit-def: $sgpr11
.LBB6_162:                              ;   in Loop: Header=BB6_123 Depth=1
	v_mov_b32_e32 v116, s11
	v_mov_b32_e32 v118, s11
	s_and_saveexec_b64 s[22:23], s[8:9]
	s_cbranch_execz .LBB6_164
; %bb.163:                              ;   in Loop: Header=BB6_123 Depth=1
	v_add_co_u32_e32 v8, vcc, v64, v135
	v_addc_co_u32_e32 v9, vcc, v61, v136, vcc
	global_load_dwordx2 v[116:117], v[8:9], off
	s_waitcnt vmcnt(0)
	v_mov_b32_e32 v118, v117
.LBB6_164:                              ;   in Loop: Header=BB6_123 Depth=1
	s_or_b64 exec, exec, s[22:23]
	ds_read_b64 v[8:9], v143
	ds_read_b64 v[120:121], v140 offset:256
	s_and_b64 vcc, exec, s[4:5]
	v_add_co_u32_e64 v130, s[4:5], v56, v135
	s_waitcnt vmcnt(0) lgkmcnt(1)
	v_mul_f32_e32 v10, v111, v9
	v_mul_f32_e32 v11, v111, v8
	v_mul_f32_e32 v20, v113, v9
	v_mul_f32_e32 v21, v113, v8
	v_fmac_f32_e32 v10, v110, v8
	v_fma_f32 v11, v110, v9, -v11
	v_fmac_f32_e32 v20, v112, v8
	v_fma_f32 v21, v112, v9, -v21
	ds_write2_b64 v147, v[10:11], v[20:21] offset1:67
	v_mul_f32_e32 v10, v115, v9
	v_mul_f32_e32 v20, v118, v9
	v_fmac_f32_e32 v10, v114, v8
	v_mul_f32_e32 v11, v115, v8
	v_fmac_f32_e32 v20, v116, v8
	v_mul_f32_e32 v8, v118, v8
	v_fma_f32 v11, v114, v9, -v11
	v_fma_f32 v21, v116, v9, -v8
	ds_write2_b64 v147, v[10:11], v[20:21] offset0:134 offset1:201
	ds_read2_b64 v[8:11], v140 offset0:33 offset1:34
	ds_read_b64 v[122:123], v140 offset:280
	s_waitcnt lgkmcnt(0)
	s_barrier
	ds_read2_b64 v[24:27], v139 offset1:1
	ds_read2_b64 v[20:23], v139 offset0:2 offset1:3
	v_addc_co_u32_e64 v131, s[4:5], v53, v136, s[4:5]
	s_waitcnt lgkmcnt(0)
	s_barrier
	s_cbranch_vccnz .LBB6_172
; %bb.165:                              ;   in Loop: Header=BB6_123 Depth=1
	s_mov_b32 s15, s14
	v_cmp_gt_i32_e32 vcc, s24, v156
	v_pk_mov_b32 v[124:125], s[14:15], s[14:15] op_sel:[0,1]
	s_and_saveexec_b64 s[4:5], vcc
	s_cbranch_execz .LBB6_167
; %bb.166:                              ;   in Loop: Header=BB6_123 Depth=1
	global_load_dwordx2 v[124:125], v[130:131], off
.LBB6_167:                              ;   in Loop: Header=BB6_123 Depth=1
	s_or_b64 exec, exec, s[4:5]
	v_cmp_gt_i32_e32 vcc, s24, v157
	v_pk_mov_b32 v[126:127], s[14:15], s[14:15] op_sel:[0,1]
	s_and_saveexec_b64 s[4:5], vcc
	s_cbranch_execz .LBB6_169
; %bb.168:                              ;   in Loop: Header=BB6_123 Depth=1
	v_add_co_u32_e32 v126, vcc, v66, v135
	v_addc_co_u32_e32 v127, vcc, v63, v136, vcc
	global_load_dwordx2 v[126:127], v[126:127], off
.LBB6_169:                              ;   in Loop: Header=BB6_123 Depth=1
	s_or_b64 exec, exec, s[4:5]
	s_mov_b32 s15, s14
	v_cmp_gt_i32_e32 vcc, s24, v158
	v_pk_mov_b32 v[128:129], s[14:15], s[14:15] op_sel:[0,1]
	s_and_saveexec_b64 s[4:5], vcc
	s_cbranch_execz .LBB6_171
; %bb.170:                              ;   in Loop: Header=BB6_123 Depth=1
	v_add_co_u32_e32 v128, vcc, v68, v135
	v_addc_co_u32_e32 v129, vcc, v65, v136, vcc
	global_load_dwordx2 v[128:129], v[128:129], off
.LBB6_171:                              ;   in Loop: Header=BB6_123 Depth=1
	s_or_b64 exec, exec, s[4:5]
	v_cmp_gt_i32_e64 s[4:5], s24, v159
	s_mov_b32 s11, 0
	s_branch .LBB6_174
.LBB6_172:                              ;   in Loop: Header=BB6_123 Depth=1
	s_mov_b64 s[4:5], 0
                                        ; implicit-def: $sgpr11
                                        ; implicit-def: $vgpr128_vgpr129
                                        ; implicit-def: $vgpr126_vgpr127
                                        ; implicit-def: $vgpr124_vgpr125
	s_cbranch_execz .LBB6_174
; %bb.173:                              ;   in Loop: Header=BB6_123 Depth=1
	s_waitcnt vmcnt(0)
	v_add_co_u32_e32 v126, vcc, v66, v135
	v_addc_co_u32_e32 v127, vcc, v63, v136, vcc
	v_add_co_u32_e32 v128, vcc, v70, v135
	v_addc_co_u32_e32 v129, vcc, v67, v136, vcc
	global_load_dwordx2 v[124:125], v[130:131], off
	s_or_b64 s[4:5], s[4:5], exec
	global_load_dwordx2 v[126:127], v[126:127], off
                                        ; implicit-def: $sgpr11
	s_nop 0
	global_load_dwordx2 v[128:129], v[128:129], off
.LBB6_174:                              ;   in Loop: Header=BB6_123 Depth=1
	v_mov_b32_e32 v130, s11
	v_mov_b32_e32 v132, s11
	s_and_saveexec_b64 s[8:9], s[4:5]
	s_cbranch_execz .LBB6_176
; %bb.175:                              ;   in Loop: Header=BB6_123 Depth=1
	v_add_co_u32_e32 v130, vcc, v72, v135
	v_addc_co_u32_e32 v131, vcc, v69, v136, vcc
	global_load_dwordx2 v[130:131], v[130:131], off
	s_waitcnt vmcnt(0)
	v_mov_b32_e32 v132, v131
.LBB6_176:                              ;   in Loop: Header=BB6_123 Depth=1
	s_or_b64 exec, exec, s[8:9]
	v_pk_add_f32 v[24:25], v[24:25], 0 op_sel_hi:[1,0]
	v_pk_add_f32 v[24:25], v[24:25], v[26:27]
	v_pk_add_f32 v[20:21], v[24:25], v[20:21]
	v_pk_add_f32 v[24:25], v[20:21], v[22:23]
	ds_read_b64 v[20:21], v143
	v_pk_add_f32 v[16:17], v[16:17], 0 op_sel_hi:[1,0]
	v_pk_add_f32 v[16:17], v[16:17], v[18:19]
	v_pk_add_f32 v[12:13], v[16:17], v[12:13]
	;; [unrolled: 1-line block ×3, first 2 shown]
	s_waitcnt vmcnt(0) lgkmcnt(0)
	v_mul_f32_e32 v12, v125, v21
	v_mul_f32_e32 v13, v125, v20
	;; [unrolled: 1-line block ×4, first 2 shown]
	v_fmac_f32_e32 v12, v124, v20
	v_fma_f32 v13, v124, v21, -v13
	v_fmac_f32_e32 v14, v126, v20
	v_fma_f32 v15, v126, v21, -v15
	ds_write2_b64 v147, v[12:13], v[14:15] offset1:67
	v_mul_f32_e32 v12, v129, v21
	v_mul_f32_e32 v13, v129, v20
	;; [unrolled: 1-line block ×4, first 2 shown]
	v_fmac_f32_e32 v12, v128, v20
	v_fma_f32 v13, v128, v21, -v13
	v_fmac_f32_e32 v14, v130, v20
	v_fma_f32 v15, v130, v21, -v15
	ds_write2_b64 v147, v[12:13], v[14:15] offset0:134 offset1:201
	ds_read_b128 v[16:19], v140 offset:384
	ds_read_b128 v[12:15], v140 offset:400
	s_waitcnt lgkmcnt(0)
	s_barrier
	ds_read2_b64 v[20:23], v139 offset1:1
	v_pk_add_f32 v[4:5], v[4:5], 0 op_sel_hi:[1,0]
	v_pk_add_f32 v[160:161], v[4:5], v[6:7]
	ds_read2_b64 v[4:7], v139 offset0:2 offset1:3
	v_pk_add_f32 v[0:1], v[160:161], v[0:1]
	v_pk_add_f32 v[0:1], v[0:1], v[2:3]
	s_waitcnt lgkmcnt(1)
	v_pk_add_f32 v[2:3], v[20:21], 0 op_sel_hi:[1,0]
	v_cmp_gt_i32_e32 vcc, s24, v30
	v_pk_add_f32 v[2:3], v[2:3], v[22:23]
	s_or_b64 s[4:5], s[16:17], vcc
	s_waitcnt lgkmcnt(0)
	v_pk_add_f32 v[2:3], v[2:3], v[4:5]
	s_and_b64 s[8:9], s[2:3], s[4:5]
	v_pk_add_f32 v[2:3], v[2:3], v[6:7]
	s_barrier
	ds_write2_b64 v141, v[0:1], v[26:27] offset1:16
	ds_write2_b64 v141, v[24:25], v[2:3] offset0:32 offset1:48
	s_waitcnt lgkmcnt(0)
	s_barrier
	s_and_saveexec_b64 s[4:5], s[8:9]
	s_cbranch_execz .LBB6_122
; %bb.177:                              ;   in Loop: Header=BB6_123 Depth=1
	ds_read_b64 v[20:21], v137
	ds_read2_b64 v[0:3], v137 offset0:1 offset1:2
	ds_read2_b64 v[4:7], v137 offset0:3 offset1:4
	v_ashrrev_i32_e32 v75, 31, v74
	v_lshlrev_b64 v[22:23], 3, v[74:75]
	v_mov_b32_e32 v25, s19
	s_waitcnt lgkmcnt(1)
	v_add_f32_e32 v0, v0, v20
	v_add_f32_e32 v1, v1, v21
	;; [unrolled: 1-line block ×4, first 2 shown]
	ds_read2_b64 v[0:3], v137 offset0:5 offset1:6
	s_waitcnt lgkmcnt(1)
	v_add_f32_e32 v4, v20, v4
	v_add_f32_e32 v5, v21, v5
	;; [unrolled: 1-line block ×4, first 2 shown]
	ds_read2_b64 v[4:7], v137 offset0:7 offset1:8
	v_add_co_u32_e32 v24, vcc, s7, v22
	v_addc_co_u32_e32 v25, vcc, v25, v23, vcc
	s_waitcnt lgkmcnt(1)
	v_pk_add_f32 v[0:1], v[20:21], v[0:1]
	ds_read2_b64 v[20:23], v137 offset0:9 offset1:10
	v_pk_add_f32 v[0:1], v[0:1], v[2:3]
	s_waitcnt lgkmcnt(1)
	v_pk_add_f32 v[0:1], v[0:1], v[4:5]
	v_pk_add_f32 v[4:5], v[0:1], v[6:7]
	ds_read2_b64 v[0:3], v137 offset0:11 offset1:12
	s_waitcnt lgkmcnt(1)
	v_pk_add_f32 v[20:21], v[4:5], v[20:21]
	ds_read2_b64 v[4:7], v137 offset0:13 offset1:14
	v_pk_add_f32 v[20:21], v[20:21], v[22:23]
	ds_read_b64 v[22:23], v138
	s_waitcnt lgkmcnt(2)
	v_pk_add_f32 v[0:1], v[20:21], v[0:1]
	v_pk_add_f32 v[0:1], v[0:1], v[2:3]
	s_waitcnt lgkmcnt(1)
	v_pk_add_f32 v[0:1], v[0:1], v[4:5]
	v_pk_add_f32 v[0:1], v[0:1], v[6:7]
	s_waitcnt lgkmcnt(0)
	v_pk_add_f32 v[0:1], v[0:1], v[22:23]
	global_store_dwordx2 v[24:25], v[0:1], off
	s_branch .LBB6_122
.LBB6_178:
	s_movk_i32 s2, 0x218
	v_cmp_gt_i32_e32 vcc, s18, v30
	v_mad_u32_u24 v0, v71, s2, v73
	s_or_b64 s[2:3], s[20:21], vcc
	s_and_b64 s[0:1], s[0:1], s[2:3]
	ds_write_b64 v0, v[32:33]
	s_waitcnt lgkmcnt(0)
	s_barrier
	s_and_saveexec_b64 s[2:3], s[0:1]
	s_cbranch_execz .LBB6_180
; %bb.179:
	ds_read2_b64 v[0:3], v73 offset1:67
	ds_read2_b64 v[4:7], v73 offset0:134 offset1:201
	v_ashrrev_i32_e32 v29, 31, v28
	v_lshlrev_b64 v[8:9], 3, v[28:29]
	v_mov_b32_e32 v10, s19
	s_waitcnt lgkmcnt(1)
	v_pk_add_f32 v[0:1], v[2:3], v[0:1]
	v_add_co_u32_e32 v8, vcc, s7, v8
	s_waitcnt lgkmcnt(0)
	v_pk_add_f32 v[0:1], v[0:1], v[4:5]
	v_addc_co_u32_e32 v9, vcc, v10, v9, vcc
	v_pk_add_f32 v[0:1], v[0:1], v[6:7]
	global_store_dwordx2 v[8:9], v[0:1], off
.LBB6_180:
	s_endpgm
	.section	.rodata,"a",@progbits
	.p2align	6, 0x0
	.amdhsa_kernel _ZL26rocblas_hemvn_kernel_upperILb1ELi64ELi4ELi33ELi32ELi16Ei19rocblas_complex_numIfEPKS1_PS1_EviT6_lT7_lT5_lS6_lS7_lS5_lT8_i
		.amdhsa_group_segment_fixed_size 9600
		.amdhsa_private_segment_fixed_size 0
		.amdhsa_kernarg_size 376
		.amdhsa_user_sgpr_count 6
		.amdhsa_user_sgpr_private_segment_buffer 1
		.amdhsa_user_sgpr_dispatch_ptr 0
		.amdhsa_user_sgpr_queue_ptr 0
		.amdhsa_user_sgpr_kernarg_segment_ptr 1
		.amdhsa_user_sgpr_dispatch_id 0
		.amdhsa_user_sgpr_flat_scratch_init 0
		.amdhsa_user_sgpr_kernarg_preload_length 0
		.amdhsa_user_sgpr_kernarg_preload_offset 0
		.amdhsa_user_sgpr_private_segment_size 0
		.amdhsa_uses_dynamic_stack 0
		.amdhsa_system_sgpr_private_segment_wavefront_offset 0
		.amdhsa_system_sgpr_workgroup_id_x 1
		.amdhsa_system_sgpr_workgroup_id_y 0
		.amdhsa_system_sgpr_workgroup_id_z 1
		.amdhsa_system_sgpr_workgroup_info 0
		.amdhsa_system_vgpr_workitem_id 1
		.amdhsa_next_free_vgpr 162
		.amdhsa_next_free_sgpr 44
		.amdhsa_accum_offset 164
		.amdhsa_reserve_vcc 1
		.amdhsa_reserve_flat_scratch 0
		.amdhsa_float_round_mode_32 0
		.amdhsa_float_round_mode_16_64 0
		.amdhsa_float_denorm_mode_32 3
		.amdhsa_float_denorm_mode_16_64 3
		.amdhsa_dx10_clamp 1
		.amdhsa_ieee_mode 1
		.amdhsa_fp16_overflow 0
		.amdhsa_tg_split 0
		.amdhsa_exception_fp_ieee_invalid_op 0
		.amdhsa_exception_fp_denorm_src 0
		.amdhsa_exception_fp_ieee_div_zero 0
		.amdhsa_exception_fp_ieee_overflow 0
		.amdhsa_exception_fp_ieee_underflow 0
		.amdhsa_exception_fp_ieee_inexact 0
		.amdhsa_exception_int_div_zero 0
	.end_amdhsa_kernel
	.section	.text._ZL26rocblas_hemvn_kernel_upperILb1ELi64ELi4ELi33ELi32ELi16Ei19rocblas_complex_numIfEPKS1_PS1_EviT6_lT7_lT5_lS6_lS7_lS5_lT8_i,"axG",@progbits,_ZL26rocblas_hemvn_kernel_upperILb1ELi64ELi4ELi33ELi32ELi16Ei19rocblas_complex_numIfEPKS1_PS1_EviT6_lT7_lT5_lS6_lS7_lS5_lT8_i,comdat
.Lfunc_end6:
	.size	_ZL26rocblas_hemvn_kernel_upperILb1ELi64ELi4ELi33ELi32ELi16Ei19rocblas_complex_numIfEPKS1_PS1_EviT6_lT7_lT5_lS6_lS7_lS5_lT8_i, .Lfunc_end6-_ZL26rocblas_hemvn_kernel_upperILb1ELi64ELi4ELi33ELi32ELi16Ei19rocblas_complex_numIfEPKS1_PS1_EviT6_lT7_lT5_lS6_lS7_lS5_lT8_i
                                        ; -- End function
	.section	.AMDGPU.csdata,"",@progbits
; Kernel info:
; codeLenInByte = 9116
; NumSgprs: 48
; NumVgprs: 162
; NumAgprs: 0
; TotalNumVgprs: 162
; ScratchSize: 0
; MemoryBound: 1
; FloatMode: 240
; IeeeMode: 1
; LDSByteSize: 9600 bytes/workgroup (compile time only)
; SGPRBlocks: 5
; VGPRBlocks: 20
; NumSGPRsForWavesPerEU: 48
; NumVGPRsForWavesPerEU: 162
; AccumOffset: 164
; Occupancy: 3
; WaveLimiterHint : 1
; COMPUTE_PGM_RSRC2:SCRATCH_EN: 0
; COMPUTE_PGM_RSRC2:USER_SGPR: 6
; COMPUTE_PGM_RSRC2:TRAP_HANDLER: 0
; COMPUTE_PGM_RSRC2:TGID_X_EN: 1
; COMPUTE_PGM_RSRC2:TGID_Y_EN: 0
; COMPUTE_PGM_RSRC2:TGID_Z_EN: 1
; COMPUTE_PGM_RSRC2:TIDIG_COMP_CNT: 1
; COMPUTE_PGM_RSRC3_GFX90A:ACCUM_OFFSET: 40
; COMPUTE_PGM_RSRC3_GFX90A:TG_SPLIT: 0
	.section	.text._ZL36rocblas_hemvn_kernel_upper_block_sumILi64Ei19rocblas_complex_numIfEPS1_S1_EviT1_lS3_lT2_lT0_lPT3_i,"axG",@progbits,_ZL36rocblas_hemvn_kernel_upper_block_sumILi64Ei19rocblas_complex_numIfEPS1_S1_EviT1_lS3_lT2_lT0_lPT3_i,comdat
	.globl	_ZL36rocblas_hemvn_kernel_upper_block_sumILi64Ei19rocblas_complex_numIfEPS1_S1_EviT1_lS3_lT2_lT0_lPT3_i ; -- Begin function _ZL36rocblas_hemvn_kernel_upper_block_sumILi64Ei19rocblas_complex_numIfEPS1_S1_EviT1_lS3_lT2_lT0_lPT3_i
	.p2align	8
	.type	_ZL36rocblas_hemvn_kernel_upper_block_sumILi64Ei19rocblas_complex_numIfEPS1_S1_EviT1_lS3_lT2_lT0_lPT3_i,@function
_ZL36rocblas_hemvn_kernel_upper_block_sumILi64Ei19rocblas_complex_numIfEPS1_S1_EviT1_lS3_lT2_lT0_lPT3_i: ; @_ZL36rocblas_hemvn_kernel_upper_block_sumILi64Ei19rocblas_complex_numIfEPS1_S1_EviT1_lS3_lT2_lT0_lPT3_i
; %bb.0:
	s_load_dwordx4 s[8:11], s[4:5], 0x0
	s_load_dwordx2 s[12:13], s[4:5], 0x18
	s_waitcnt lgkmcnt(0)
	s_or_b32 s0, s9, s10
	s_bitset0_b32 s0, 31
	s_cmp_eq_u32 s0, 0
	v_cmp_eq_f32_e64 s[0:1], s12, 1.0
	v_cmp_eq_f32_e64 s[2:3], s13, 0
	s_mov_b32 s15, s10
	s_cselect_b64 s[10:11], -1, 0
	s_and_b64 s[0:1], s[0:1], s[2:3]
	s_and_b64 s[0:1], s[10:11], s[0:1]
	s_and_b64 vcc, exec, s[0:1]
	s_cbranch_vccnz .LBB7_17
; %bb.1:
	s_load_dwordx4 s[0:3], s[4:5], 0x40
	s_load_dwordx4 s[16:19], s[4:5], 0x28
	s_load_dword s20, s[4:5], 0x38
	s_mov_b32 s14, s9
	v_lshl_or_b32 v0, s6, 6, v0
	s_waitcnt lgkmcnt(0)
	s_mul_i32 s1, s7, s1
	s_mul_hi_u32 s9, s7, s0
	s_mul_i32 s0, s7, s0
	s_add_i32 s1, s9, s1
	s_lshl_b64 s[0:1], s[0:1], 3
	s_add_u32 s9, s16, s0
	s_addc_u32 s16, s17, s1
	s_lshl_b64 s[0:1], s[18:19], 3
	s_add_u32 s18, s9, s0
	s_addc_u32 s19, s16, s1
	s_mov_b64 s[16:17], -1
	s_andn2_b64 vcc, exec, s[10:11]
	v_cmp_gt_i32_e64 s[0:1], s8, v0
	s_cbranch_vccnz .LBB7_7
; %bb.2:
	s_and_saveexec_b64 s[10:11], s[0:1]
	s_cbranch_execz .LBB7_6
; %bb.3:
	v_cmp_neq_f32_e64 s[0:1], s12, 0
	v_cmp_neq_f32_e64 s[16:17], s13, 0
	v_mul_lo_u32 v2, v0, s20
	v_ashrrev_i32_e32 v3, 31, v2
	s_or_b64 s[0:1], s[0:1], s[16:17]
	s_andn2_b64 vcc, exec, s[0:1]
	v_mov_b32_e32 v4, 0
	v_lshlrev_b64 v[2:3], 3, v[2:3]
	v_mov_b32_e32 v5, 0
	s_cbranch_vccnz .LBB7_5
; %bb.4:
	v_mov_b32_e32 v1, s19
	v_add_co_u32_e32 v4, vcc, s18, v2
	v_addc_co_u32_e32 v5, vcc, v1, v3, vcc
	global_load_dwordx2 v[6:7], v[4:5], off
	s_waitcnt vmcnt(0)
	v_pk_mul_f32 v[8:9], v[6:7], s[12:13] op_sel:[1,0]
	v_pk_fma_f32 v[4:5], v[6:7], s[12:13], v[8:9] op_sel:[0,0,1] op_sel_hi:[1,1,0] neg_lo:[0,0,1] neg_hi:[0,0,1]
	v_pk_fma_f32 v[6:7], v[6:7], s[12:13], v[8:9] op_sel:[0,0,1] op_sel_hi:[0,1,0]
	v_mov_b32_e32 v5, v7
.LBB7_5:
	v_mov_b32_e32 v1, s19
	v_add_co_u32_e32 v2, vcc, s18, v2
	v_addc_co_u32_e32 v3, vcc, v1, v3, vcc
	global_store_dwordx2 v[2:3], v[4:5], off
.LBB7_6:
	s_or_b64 exec, exec, s[10:11]
	s_mov_b64 s[16:17], 0
.LBB7_7:
	s_andn2_b64 vcc, exec, s[16:17]
	s_cbranch_vccnz .LBB7_17
; %bb.8:
	v_cmp_gt_i32_e32 vcc, s8, v0
	s_and_saveexec_b64 s[0:1], vcc
	s_cbranch_execz .LBB7_17
; %bb.9:
	v_mov_b32_e32 v3, 0
	s_cmp_lt_i32 s6, 0
	v_mov_b32_e32 v2, v3
	s_cbranch_scc1 .LBB7_12
; %bb.10:
	s_load_dword s0, s[4:5], 0x58
	s_ashr_i32 s9, s8, 31
	s_mul_hi_u32 s1, s8, s7
	s_mul_i32 s4, s9, s7
	s_add_i32 s1, s1, s4
	s_mul_i32 s4, s8, s7
	s_waitcnt lgkmcnt(0)
	s_mul_i32 s1, s1, s0
	s_mul_hi_u32 s5, s4, s0
	s_add_i32 s1, s5, s1
	s_mul_i32 s0, s4, s0
	s_lshl_b64 s[0:1], s[0:1], 3
	s_add_u32 s0, s2, s0
	v_mov_b32_e32 v1, 0
	s_addc_u32 s1, s3, s1
	v_lshlrev_b64 v[2:3], 3, v[0:1]
	v_mov_b32_e32 v5, s1
	v_add_co_u32_e32 v4, vcc, s0, v2
	s_lshl_b64 s[0:1], s[8:9], 3
	v_addc_co_u32_e32 v5, vcc, v5, v3, vcc
	s_add_i32 s2, s6, 1
	v_mov_b32_e32 v6, s1
	v_mov_b32_e32 v2, v1
	;; [unrolled: 1-line block ×3, first 2 shown]
.LBB7_11:                               ; =>This Inner Loop Header: Depth=1
	global_load_dwordx2 v[8:9], v[4:5], off
	s_add_i32 s2, s2, -1
	v_add_co_u32_e32 v4, vcc, s0, v4
	v_addc_co_u32_e32 v5, vcc, v5, v6, vcc
	s_cmp_eq_u32 s2, 0
	s_waitcnt vmcnt(0)
	v_pk_add_f32 v[2:3], v[2:3], v[8:9]
	s_cbranch_scc0 .LBB7_11
.LBB7_12:
	v_cmp_neq_f32_e64 s[0:1], s12, 0
	v_cmp_neq_f32_e64 s[2:3], s13, 0
	s_or_b64 s[0:1], s[0:1], s[2:3]
	v_pk_mul_f32 v[6:7], v[2:3], s[14:15] op_sel:[1,0]
	v_mul_lo_u32 v4, v0, s20
	s_andn2_b64 vcc, exec, s[0:1]
	v_pk_fma_f32 v[0:1], v[2:3], s[14:15], v[6:7] op_sel:[0,0,1] op_sel_hi:[0,1,0]
	v_ashrrev_i32_e32 v5, 31, v4
	s_cbranch_vccz .LBB7_14
; %bb.13:
	v_pk_mul_f32 v[8:9], v[2:3], s[14:15] op_sel_hi:[0,1]
	v_sub_f32_e32 v0, v8, v7
	s_cbranch_execz .LBB7_15
	s_branch .LBB7_16
.LBB7_14:
.LBB7_15:
	v_lshlrev_b64 v[8:9], 3, v[4:5]
	v_mov_b32_e32 v0, s19
	v_add_co_u32_e32 v8, vcc, s18, v8
	v_addc_co_u32_e32 v9, vcc, v0, v9, vcc
	global_load_dwordx2 v[8:9], v[8:9], off
	v_pk_fma_f32 v[2:3], v[2:3], s[14:15], v[6:7] op_sel:[0,0,1] op_sel_hi:[1,1,0] neg_lo:[0,0,1] neg_hi:[0,0,1]
	v_mov_b32_e32 v3, v1
	s_waitcnt vmcnt(0)
	v_pk_mul_f32 v[6:7], v[8:9], s[12:13] op_sel:[1,0]
	v_pk_fma_f32 v[10:11], v[8:9], s[12:13], v[6:7] op_sel:[0,0,1] op_sel_hi:[1,1,0] neg_lo:[0,0,1] neg_hi:[0,0,1]
	v_pk_fma_f32 v[6:7], v[8:9], s[12:13], v[6:7] op_sel:[0,0,1] op_sel_hi:[0,1,0]
	v_mov_b32_e32 v11, v7
	v_pk_add_f32 v[0:1], v[2:3], v[10:11]
.LBB7_16:
	v_lshlrev_b64 v[2:3], 3, v[4:5]
	v_mov_b32_e32 v4, s19
	v_add_co_u32_e32 v2, vcc, s18, v2
	v_addc_co_u32_e32 v3, vcc, v4, v3, vcc
	global_store_dwordx2 v[2:3], v[0:1], off
.LBB7_17:
	s_endpgm
	.section	.rodata,"a",@progbits
	.p2align	6, 0x0
	.amdhsa_kernel _ZL36rocblas_hemvn_kernel_upper_block_sumILi64Ei19rocblas_complex_numIfEPS1_S1_EviT1_lS3_lT2_lT0_lPT3_i
		.amdhsa_group_segment_fixed_size 0
		.amdhsa_private_segment_fixed_size 0
		.amdhsa_kernarg_size 344
		.amdhsa_user_sgpr_count 6
		.amdhsa_user_sgpr_private_segment_buffer 1
		.amdhsa_user_sgpr_dispatch_ptr 0
		.amdhsa_user_sgpr_queue_ptr 0
		.amdhsa_user_sgpr_kernarg_segment_ptr 1
		.amdhsa_user_sgpr_dispatch_id 0
		.amdhsa_user_sgpr_flat_scratch_init 0
		.amdhsa_user_sgpr_kernarg_preload_length 0
		.amdhsa_user_sgpr_kernarg_preload_offset 0
		.amdhsa_user_sgpr_private_segment_size 0
		.amdhsa_uses_dynamic_stack 0
		.amdhsa_system_sgpr_private_segment_wavefront_offset 0
		.amdhsa_system_sgpr_workgroup_id_x 1
		.amdhsa_system_sgpr_workgroup_id_y 0
		.amdhsa_system_sgpr_workgroup_id_z 1
		.amdhsa_system_sgpr_workgroup_info 0
		.amdhsa_system_vgpr_workitem_id 0
		.amdhsa_next_free_vgpr 12
		.amdhsa_next_free_sgpr 21
		.amdhsa_accum_offset 12
		.amdhsa_reserve_vcc 1
		.amdhsa_reserve_flat_scratch 0
		.amdhsa_float_round_mode_32 0
		.amdhsa_float_round_mode_16_64 0
		.amdhsa_float_denorm_mode_32 3
		.amdhsa_float_denorm_mode_16_64 3
		.amdhsa_dx10_clamp 1
		.amdhsa_ieee_mode 1
		.amdhsa_fp16_overflow 0
		.amdhsa_tg_split 0
		.amdhsa_exception_fp_ieee_invalid_op 0
		.amdhsa_exception_fp_denorm_src 0
		.amdhsa_exception_fp_ieee_div_zero 0
		.amdhsa_exception_fp_ieee_overflow 0
		.amdhsa_exception_fp_ieee_underflow 0
		.amdhsa_exception_fp_ieee_inexact 0
		.amdhsa_exception_int_div_zero 0
	.end_amdhsa_kernel
	.section	.text._ZL36rocblas_hemvn_kernel_upper_block_sumILi64Ei19rocblas_complex_numIfEPS1_S1_EviT1_lS3_lT2_lT0_lPT3_i,"axG",@progbits,_ZL36rocblas_hemvn_kernel_upper_block_sumILi64Ei19rocblas_complex_numIfEPS1_S1_EviT1_lS3_lT2_lT0_lPT3_i,comdat
.Lfunc_end7:
	.size	_ZL36rocblas_hemvn_kernel_upper_block_sumILi64Ei19rocblas_complex_numIfEPS1_S1_EviT1_lS3_lT2_lT0_lPT3_i, .Lfunc_end7-_ZL36rocblas_hemvn_kernel_upper_block_sumILi64Ei19rocblas_complex_numIfEPS1_S1_EviT1_lS3_lT2_lT0_lPT3_i
                                        ; -- End function
	.section	.AMDGPU.csdata,"",@progbits
; Kernel info:
; codeLenInByte = 684
; NumSgprs: 25
; NumVgprs: 12
; NumAgprs: 0
; TotalNumVgprs: 12
; ScratchSize: 0
; MemoryBound: 0
; FloatMode: 240
; IeeeMode: 1
; LDSByteSize: 0 bytes/workgroup (compile time only)
; SGPRBlocks: 3
; VGPRBlocks: 1
; NumSGPRsForWavesPerEU: 25
; NumVGPRsForWavesPerEU: 12
; AccumOffset: 12
; Occupancy: 8
; WaveLimiterHint : 0
; COMPUTE_PGM_RSRC2:SCRATCH_EN: 0
; COMPUTE_PGM_RSRC2:USER_SGPR: 6
; COMPUTE_PGM_RSRC2:TRAP_HANDLER: 0
; COMPUTE_PGM_RSRC2:TGID_X_EN: 1
; COMPUTE_PGM_RSRC2:TGID_Y_EN: 0
; COMPUTE_PGM_RSRC2:TGID_Z_EN: 1
; COMPUTE_PGM_RSRC2:TIDIG_COMP_CNT: 0
; COMPUTE_PGM_RSRC3_GFX90A:ACCUM_OFFSET: 2
; COMPUTE_PGM_RSRC3_GFX90A:TG_SPLIT: 0
	.section	.text._ZL26rocblas_hemvn_kernel_lowerILb1ELi64ELi4ELi33ELi32ELi16ElPK19rocblas_complex_numIfES3_PS1_EviT6_lT7_lT5_lS6_lS7_lS5_lT8_i,"axG",@progbits,_ZL26rocblas_hemvn_kernel_lowerILb1ELi64ELi4ELi33ELi32ELi16ElPK19rocblas_complex_numIfES3_PS1_EviT6_lT7_lT5_lS6_lS7_lS5_lT8_i,comdat
	.globl	_ZL26rocblas_hemvn_kernel_lowerILb1ELi64ELi4ELi33ELi32ELi16ElPK19rocblas_complex_numIfES3_PS1_EviT6_lT7_lT5_lS6_lS7_lS5_lT8_i ; -- Begin function _ZL26rocblas_hemvn_kernel_lowerILb1ELi64ELi4ELi33ELi32ELi16ElPK19rocblas_complex_numIfES3_PS1_EviT6_lT7_lT5_lS6_lS7_lS5_lT8_i
	.p2align	8
	.type	_ZL26rocblas_hemvn_kernel_lowerILb1ELi64ELi4ELi33ELi32ELi16ElPK19rocblas_complex_numIfES3_PS1_EviT6_lT7_lT5_lS6_lS7_lS5_lT8_i,@function
_ZL26rocblas_hemvn_kernel_lowerILb1ELi64ELi4ELi33ELi32ELi16ElPK19rocblas_complex_numIfES3_PS1_EviT6_lT7_lT5_lS6_lS7_lS5_lT8_i: ; @_ZL26rocblas_hemvn_kernel_lowerILb1ELi64ELi4ELi33ELi32ELi16ElPK19rocblas_complex_numIfES3_PS1_EviT6_lT7_lT5_lS6_lS7_lS5_lT8_i
; %bb.0:
	s_load_dwordx2 s[2:3], s[4:5], 0x84
	s_add_u32 s0, s4, 0x78
	s_addc_u32 s1, s5, 0
	s_waitcnt lgkmcnt(0)
	s_lshr_b32 s8, s2, 16
	s_and_b32 s2, s2, 0xffff
	s_and_b32 s3, s3, 0xffff
	s_mul_i32 s2, s8, s2
	s_mul_i32 s2, s2, s3
	s_cmpk_lg_i32 s2, 0x100
	s_cbranch_scc1 .LBB8_129
; %bb.1:
	s_load_dwordx16 s[12:27], s[4:5], 0x8
	s_waitcnt lgkmcnt(0)
	s_mul_i32 s3, s7, s15
	s_mul_hi_u32 s8, s7, s14
	s_mul_i32 s2, s7, s14
	s_add_i32 s3, s8, s3
	s_lshl_b64 s[2:3], s[2:3], 3
	s_add_u32 s2, s12, s2
	s_addc_u32 s3, s13, s3
	s_load_dwordx2 s[8:9], s[2:3], 0x0
	s_load_dwordx2 s[28:29], s[4:5], 0x68
	s_load_dwordx8 s[36:43], s[4:5], 0x48
	s_waitcnt lgkmcnt(0)
	s_or_b32 s2, s8, s9
	s_bitset0_b32 s2, 31
	s_cmp_lg_u32 s2, 0
	s_cselect_b64 s[2:3], -1, 0
	s_mov_b64 s[8:9], -1
	s_and_b64 vcc, exec, s[2:3]
	s_cbranch_vccnz .LBB8_3
; %bb.2:
	s_mul_i32 s8, s7, s43
	s_mul_hi_u32 s9, s7, s42
	s_add_i32 s9, s9, s8
	s_mul_i32 s8, s7, s42
	s_lshl_b64 s[8:9], s[8:9], 3
	s_add_u32 s8, s40, s8
	s_addc_u32 s9, s41, s9
	s_load_dwordx2 s[8:9], s[8:9], 0x0
	s_waitcnt lgkmcnt(0)
	v_cmp_neq_f32_e64 s[10:11], s8, 1.0
	v_cmp_neq_f32_e64 s[8:9], s9, 0
	s_or_b64 s[8:9], s[10:11], s[8:9]
.LBB8_3:
	s_andn2_b64 vcc, exec, s[8:9]
	s_cbranch_vccnz .LBB8_129
; %bb.4:
	s_andn2_b64 vcc, exec, s[2:3]
	s_cbranch_vccnz .LBB8_129
; %bb.5:
	s_load_dword s42, s[0:1], 0x0
	s_load_dword s33, s[4:5], 0x0
	s_mul_i32 s0, s7, s39
	s_mul_hi_u32 s1, s7, s38
	s_add_i32 s1, s1, s0
	s_mul_i32 s0, s7, s38
	s_lshl_b64 s[0:1], s[0:1], 3
	s_add_u32 s2, s24, s0
	s_addc_u32 s3, s25, s1
	s_lshl_b64 s[0:1], s[26:27], 3
	s_add_u32 s2, s2, s0
	s_addc_u32 s3, s3, s1
	s_waitcnt lgkmcnt(0)
	s_ashr_i32 s43, s33, 31
	s_lshr_b32 s1, s43, 26
	s_add_i32 s1, s33, s1
	v_and_b32_e32 v26, 0x3ff, v0
	s_lshl_b32 s26, s6, 6
	s_andn2_b32 s1, s1, 63
	s_add_i32 s0, s42, -1
	s_sub_i32 s1, s33, s1
	v_add_u32_e32 v16, s26, v26
	s_cmp_eq_u32 s6, s0
	v_ashrrev_i32_e32 v17, 31, v16
	v_bfe_u32 v72, v0, 10, 10
	s_cselect_b32 s24, s1, 0
	v_mul_lo_u32 v2, v17, s36
	v_mul_lo_u32 v3, v16, s37
	v_mad_u64_u32 v[0:1], s[0:1], v16, s36, 0
	v_add3_u32 v1, v1, v3, v2
	v_lshlrev_b64 v[0:1], 3, v[0:1]
	v_mov_b32_e32 v2, s3
	v_add_co_u32_e32 v20, vcc, s2, v0
	v_addc_co_u32_e32 v21, vcc, v2, v1, vcc
	v_cmp_ne_u32_e64 s[0:1], 0, v72
	v_cmp_eq_u32_e64 s[2:3], 0, v72
	s_and_saveexec_b64 s[4:5], s[2:3]
	s_cbranch_execz .LBB8_10
; %bb.6:
	s_cmp_lg_u32 s24, 0
	s_cselect_b64 s[8:9], -1, 0
	v_cmp_le_i32_e32 vcc, s24, v26
	v_mov_b32_e32 v0, 0x2380
	s_and_b64 s[8:9], s[8:9], vcc
	v_lshl_add_u32 v0, v26, 3, v0
	s_and_saveexec_b64 s[10:11], s[8:9]
	s_xor_b64 s[8:9], exec, s[10:11]
	s_cbranch_execz .LBB8_8
; %bb.7:
	v_mov_b32_e32 v2, 0
	v_mov_b32_e32 v3, v2
	ds_write_b64 v0, v[2:3]
                                        ; implicit-def: $vgpr0
.LBB8_8:
	s_andn2_saveexec_b64 s[8:9], s[8:9]
	s_cbranch_execz .LBB8_10
; %bb.9:
	global_load_dwordx2 v[2:3], v[20:21], off
	s_waitcnt vmcnt(0)
	ds_write_b64 v0, v[2:3]
.LBB8_10:
	s_or_b64 exec, exec, s[4:5]
	s_mul_i32 s4, s7, s23
	s_mul_hi_u32 s5, s7, s22
	s_add_i32 s5, s5, s4
	s_mul_i32 s4, s7, s22
	s_lshl_b64 s[4:5], s[4:5], 3
	s_add_u32 s8, s16, s4
	s_addc_u32 s9, s17, s5
	s_lshl_b64 s[4:5], s[18:19], 3
	s_add_u32 s8, s8, s4
	s_addc_u32 s9, s9, s5
	s_ashr_i32 s27, s26, 31
	v_lshl_add_u32 v27, v72, 6, v26
	s_lshl_b64 s[4:5], s[26:27], 3
	v_and_b32_e32 v0, 31, v26
	v_lshrrev_b32_e32 v8, 5, v27
	s_add_u32 s8, s8, s4
	v_mov_b32_e32 v1, 0
	s_addc_u32 s9, s9, s5
	v_mad_u64_u32 v[2:3], s[4:5], v8, s20, v[0:1]
	v_mov_b32_e32 v4, v3
	v_mad_u64_u32 v[4:5], s[4:5], v8, s21, v[4:5]
	s_mul_i32 s4, s26, s21
	s_mul_hi_u32 s5, s26, s20
	s_add_i32 s4, s5, s4
	s_mul_i32 s5, s27, s20
	s_add_i32 s5, s4, s5
	s_mul_i32 s4, s26, s20
	s_lshl_b64 s[30:31], s[4:5], 3
	v_mov_b32_e32 v3, v4
	s_add_u32 s4, s30, s8
	v_lshlrev_b64 v[22:23], 3, v[2:3]
	s_addc_u32 s5, s31, s9
	v_mov_b32_e32 v1, s5
	v_add_co_u32_e32 v2, vcc, s4, v22
	s_cmp_lg_u32 s24, 0
	v_addc_co_u32_e32 v3, vcc, v1, v23, vcc
	s_cselect_b64 s[34:35], -1, 0
	s_cmp_eq_u32 s24, 0
	s_cselect_b64 s[38:39], -1, 0
	s_and_b64 vcc, exec, s[34:35]
	s_cbranch_vccnz .LBB8_12
; %bb.11:
	s_lshl_b64 s[4:5], s[20:21], 6
	v_mov_b32_e32 v1, s5
	v_add_co_u32_e32 v4, vcc, s4, v2
	v_addc_co_u32_e32 v5, vcc, v3, v1, vcc
	global_load_dwordx2 v[6:7], v[4:5], off
	global_load_dwordx2 v[12:13], v[2:3], off
	v_add_co_u32_e32 v4, vcc, s4, v4
	v_addc_co_u32_e32 v5, vcc, v5, v1, vcc
	v_mov_b32_e32 v1, 0xc0
	v_mad_u64_u32 v[10:11], s[4:5], s20, v1, v[2:3]
	s_mul_i32 s4, s21, 0xc0
	v_add_u32_e32 v11, s4, v11
	global_load_dwordx2 v[14:15], v[10:11], off
	global_load_dwordx2 v[18:19], v[4:5], off
	v_mul_u32_u24_e32 v1, 33, v8
	v_add_lshl_u32 v1, v1, v0, 3
	s_waitcnt vmcnt(2)
	ds_write_b64 v1, v[12:13]
	ds_write_b64 v1, v[6:7] offset:2112
	s_waitcnt vmcnt(1)
	ds_write_b64 v1, v[14:15] offset:6336
	s_waitcnt vmcnt(0)
	ds_write_b64 v1, v[18:19] offset:4224
	s_cbranch_execz .LBB8_13
	s_branch .LBB8_28
.LBB8_12:
.LBB8_13:
	v_lshlrev_b32_e32 v1, 3, v0
	v_sub_co_u32_e32 v4, vcc, v2, v1
	s_ashr_i32 s25, s24, 31
	v_subbrev_co_u32_e32 v5, vcc, 0, v3, vcc
	s_lshl_b64 s[8:9], s[24:25], 3
	v_mov_b32_e32 v6, s9
	v_add_co_u32_e32 v4, vcc, s8, v4
	v_addc_co_u32_e32 v5, vcc, v5, v6, vcc
	v_add_co_u32_e32 v4, vcc, -8, v4
	v_addc_co_u32_e32 v5, vcc, -1, v5, vcc
	v_cmp_gt_i32_e32 vcc, s24, v0
	v_mov_b32_e32 v6, 0
	v_cndmask_b32_e32 v5, v5, v3, vcc
	v_cndmask_b32_e32 v4, v4, v2, vcc
	v_cmp_gt_i32_e64 s[4:5], s24, v8
	v_mov_b32_e32 v7, v6
	s_and_saveexec_b64 s[10:11], s[4:5]
	s_cbranch_execz .LBB8_15
; %bb.14:
	global_load_dwordx2 v[6:7], v[4:5], off
.LBB8_15:
	s_or_b64 exec, exec, s[10:11]
	v_mul_u32_u24_e32 v9, 33, v8
	v_add_lshl_u32 v9, v9, v0, 3
	s_waitcnt vmcnt(0)
	ds_write_b64 v9, v[6:7]
	v_add_u32_e32 v6, 8, v8
	v_cmp_le_i32_e64 s[4:5], s24, v6
	s_and_saveexec_b64 s[10:11], s[4:5]
	s_xor_b64 s[4:5], exec, s[10:11]
	s_cbranch_execz .LBB8_17
; %bb.16:
	v_mul_u32_u24_e32 v6, 33, v6
	v_add_lshl_u32 v10, v6, v0, 3
	v_mov_b32_e32 v6, 0
	v_mov_b32_e32 v7, v6
	ds_write_b64 v10, v[6:7]
.LBB8_17:
	s_andn2_saveexec_b64 s[10:11], s[4:5]
	s_cbranch_execz .LBB8_19
; %bb.18:
	s_lshl_b64 s[4:5], s[20:21], 6
	v_mov_b32_e32 v7, s5
	v_add_co_u32_e64 v6, s[4:5], s4, v4
	v_addc_co_u32_e64 v7, s[4:5], v5, v7, s[4:5]
	global_load_dwordx2 v[6:7], v[6:7], off
	s_waitcnt vmcnt(0)
	ds_write_b64 v9, v[6:7] offset:2112
.LBB8_19:
	s_or_b64 exec, exec, s[10:11]
	v_add_u32_e32 v6, 16, v8
	v_cmp_le_i32_e64 s[4:5], s24, v6
	s_and_saveexec_b64 s[10:11], s[4:5]
	s_xor_b64 s[4:5], exec, s[10:11]
	s_cbranch_execz .LBB8_21
; %bb.20:
	v_mov_b32_e32 v6, 0
	v_mov_b32_e32 v7, v6
	ds_write_b64 v9, v[6:7] offset:4224
.LBB8_21:
	s_andn2_saveexec_b64 s[10:11], s[4:5]
	s_cbranch_execz .LBB8_23
; %bb.22:
	s_lshl_b64 s[4:5], s[20:21], 7
	v_mov_b32_e32 v7, s5
	v_add_co_u32_e64 v6, s[4:5], s4, v4
	v_addc_co_u32_e64 v7, s[4:5], v5, v7, s[4:5]
	global_load_dwordx2 v[6:7], v[6:7], off
	s_waitcnt vmcnt(0)
	ds_write_b64 v9, v[6:7] offset:4224
.LBB8_23:
	s_or_b64 exec, exec, s[10:11]
	v_add_u32_e32 v6, 24, v8
	v_cmp_le_i32_e64 s[4:5], s24, v6
	s_and_saveexec_b64 s[10:11], s[4:5]
	s_xor_b64 s[4:5], exec, s[10:11]
	s_cbranch_execz .LBB8_25
; %bb.24:
	v_mov_b32_e32 v6, 0
	v_mov_b32_e32 v7, v6
	ds_write_b64 v9, v[6:7] offset:6336
                                        ; implicit-def: $vgpr9
.LBB8_25:
	s_andn2_saveexec_b64 s[4:5], s[4:5]
	s_cbranch_execz .LBB8_27
; %bb.26:
	v_mov_b32_e32 v6, 0xc0
	v_mad_u64_u32 v[6:7], s[10:11], s20, v6, v[4:5]
	s_mul_i32 s10, s21, 0xc0
	v_add_u32_e32 v7, s10, v7
	global_load_dwordx2 v[6:7], v[6:7], off
	s_waitcnt vmcnt(0)
	ds_write_b64 v9, v[6:7] offset:6336
.LBB8_27:
	s_or_b64 exec, exec, s[4:5]
	v_add_co_u32_e64 v1, s[4:5], v4, v1
	v_addc_co_u32_e64 v4, s[4:5], 0, v5, s[4:5]
	v_mov_b32_e32 v5, s9
	v_subrev_co_u32_e64 v1, s[4:5], s8, v1
	v_subb_co_u32_e64 v4, s[4:5], v4, v5, s[4:5]
	v_add_co_u32_e64 v1, s[4:5], 8, v1
	v_addc_co_u32_e64 v4, s[4:5], 0, v4, s[4:5]
	v_cndmask_b32_e32 v3, v4, v3, vcc
	v_cndmask_b32_e32 v2, v1, v2, vcc
.LBB8_28:
	v_lshlrev_b32_e32 v9, 2, v8
	v_cmp_ge_u32_e64 s[18:19], v9, v0
	s_waitcnt lgkmcnt(0)
	s_barrier
	s_and_saveexec_b64 s[4:5], s[18:19]
	s_xor_b64 s[4:5], exec, s[4:5]
	s_cbranch_execz .LBB8_32
; %bb.29:
	v_cmp_eq_u32_e32 vcc, v9, v0
	s_and_saveexec_b64 s[8:9], vcc
	s_cbranch_execz .LBB8_31
; %bb.30:
	v_mul_u32_u24_e32 v1, 34, v0
	v_lshlrev_b32_e32 v1, 3, v1
	v_mov_b32_e32 v4, 0
	ds_write_b32 v1, v4 offset:4
.LBB8_31:
	s_or_b64 exec, exec, s[8:9]
.LBB8_32:
	s_or_saveexec_b64 s[4:5], s[4:5]
	v_mul_u32_u24_e32 v28, 33, v0
	v_add_lshl_u32 v12, v9, v28, 3
	s_xor_b64 exec, exec, s[4:5]
	s_cbranch_execz .LBB8_34
; %bb.33:
	v_mul_u32_u24_e32 v1, 0x84, v8
	v_add_lshl_u32 v1, v1, v0, 3
	ds_read_b64 v[4:5], v1
	s_waitcnt lgkmcnt(0)
	v_xor_b32_e32 v5, 0x80000000, v5
	ds_write_b64 v12, v[4:5]
.LBB8_34:
	s_or_b64 exec, exec, s[4:5]
	v_or_b32_e32 v10, 1, v9
	v_cmp_ge_u32_e64 s[8:9], v10, v0
	s_and_saveexec_b64 s[4:5], s[8:9]
	s_xor_b64 s[4:5], exec, s[4:5]
	s_cbranch_execz .LBB8_38
; %bb.35:
	v_cmp_eq_u32_e32 vcc, v10, v0
	s_and_saveexec_b64 s[10:11], vcc
	s_cbranch_execz .LBB8_37
; %bb.36:
	v_mul_u32_u24_e32 v1, 34, v0
	v_lshlrev_b32_e32 v1, 3, v1
	v_mov_b32_e32 v4, 0
	ds_write_b32 v1, v4 offset:4
.LBB8_37:
	s_or_b64 exec, exec, s[10:11]
.LBB8_38:
	s_or_saveexec_b64 s[4:5], s[4:5]
	v_mul_u32_u24_e32 v1, 33, v10
	s_xor_b64 exec, exec, s[4:5]
	s_cbranch_execz .LBB8_40
; %bb.39:
	v_add_lshl_u32 v4, v1, v0, 3
	ds_read_b64 v[4:5], v4
	s_waitcnt lgkmcnt(0)
	v_xor_b32_e32 v5, 0x80000000, v5
	ds_write_b64 v12, v[4:5] offset:8
.LBB8_40:
	s_or_b64 exec, exec, s[4:5]
	v_or_b32_e32 v11, 2, v9
	v_cmp_ge_u32_e64 s[10:11], v11, v0
	s_and_saveexec_b64 s[4:5], s[10:11]
	s_xor_b64 s[4:5], exec, s[4:5]
	s_cbranch_execz .LBB8_44
; %bb.41:
	v_cmp_eq_u32_e32 vcc, v11, v0
	s_and_saveexec_b64 s[12:13], vcc
	s_cbranch_execz .LBB8_43
; %bb.42:
	v_mul_u32_u24_e32 v4, 34, v0
	v_lshlrev_b32_e32 v4, 3, v4
	v_mov_b32_e32 v5, 0
	ds_write_b32 v4, v5 offset:4
.LBB8_43:
	s_or_b64 exec, exec, s[12:13]
.LBB8_44:
	s_andn2_saveexec_b64 s[4:5], s[4:5]
	s_cbranch_execz .LBB8_46
; %bb.45:
	v_mul_u32_u24_e32 v4, 33, v11
	v_add_lshl_u32 v4, v4, v0, 3
	ds_read_b64 v[4:5], v4
	s_waitcnt lgkmcnt(0)
	v_xor_b32_e32 v5, 0x80000000, v5
	ds_write_b64 v12, v[4:5] offset:16
.LBB8_46:
	s_or_b64 exec, exec, s[4:5]
	v_or_b32_e32 v13, 3, v9
	v_cmp_ge_u32_e64 s[12:13], v13, v0
	s_and_saveexec_b64 s[4:5], s[12:13]
	s_xor_b64 s[4:5], exec, s[4:5]
	s_cbranch_execz .LBB8_50
; %bb.47:
	v_cmp_eq_u32_e32 vcc, v13, v0
	s_and_saveexec_b64 s[14:15], vcc
	s_cbranch_execz .LBB8_49
; %bb.48:
	v_mul_u32_u24_e32 v4, 34, v0
	v_lshlrev_b32_e32 v4, 3, v4
	v_mov_b32_e32 v5, 0
	ds_write_b32 v4, v5 offset:4
.LBB8_49:
	s_or_b64 exec, exec, s[14:15]
.LBB8_50:
	s_andn2_saveexec_b64 s[4:5], s[4:5]
	s_cbranch_execz .LBB8_52
; %bb.51:
	v_mul_u32_u24_e32 v4, 33, v13
	v_add_lshl_u32 v4, v4, v0, 3
	ds_read_b64 v[4:5], v4
	s_waitcnt lgkmcnt(0)
	v_xor_b32_e32 v5, 0x80000000, v5
	ds_write_b64 v12, v[4:5] offset:24
.LBB8_52:
	s_or_b64 exec, exec, s[4:5]
	v_mul_u32_u24_e32 v4, 0x84, v8
	v_lshlrev_b32_e32 v24, 3, v9
	s_waitcnt lgkmcnt(0)
	s_barrier
	v_add_lshl_u32 v15, v4, v0, 3
	v_add_lshl_u32 v14, v1, v0, 3
	ds_read_b128 v[4:7], v24 offset:9088
	ds_read_b64 v[18:19], v15
	ds_read2_b64 v[30:33], v14 offset1:33
	ds_read_b64 v[38:39], v14 offset:528
	ds_read_b128 v[34:37], v24 offset:9104
	s_mov_b32 s14, 0
	s_waitcnt lgkmcnt(3)
	v_pk_mul_f32 v[40:41], v[4:5], v[18:19] op_sel:[0,1]
	v_pk_fma_f32 v[42:43], v[4:5], v[18:19], v[40:41] op_sel:[0,0,1] op_sel_hi:[1,1,0] neg_lo:[0,0,1] neg_hi:[0,0,1]
	v_pk_fma_f32 v[4:5], v[4:5], v[18:19], v[40:41] op_sel:[0,0,1] op_sel_hi:[1,0,0]
	s_waitcnt lgkmcnt(2)
	v_pk_mul_f32 v[18:19], v[6:7], v[30:31] op_sel:[0,1]
	v_pk_fma_f32 v[40:41], v[6:7], v[30:31], v[18:19] op_sel:[0,0,1] op_sel_hi:[1,1,0] neg_lo:[0,0,1] neg_hi:[0,0,1]
	v_pk_fma_f32 v[6:7], v[6:7], v[30:31], v[18:19] op_sel:[0,0,1] op_sel_hi:[1,0,0]
	v_mov_b32_e32 v43, v5
	v_mov_b32_e32 v41, v7
	s_waitcnt lgkmcnt(0)
	v_pk_mul_f32 v[6:7], v[34:35], v[32:33] op_sel:[0,1]
	v_pk_add_f32 v[4:5], v[42:43], 0 op_sel_hi:[1,0]
	v_pk_fma_f32 v[18:19], v[34:35], v[32:33], v[6:7] op_sel:[0,0,1] op_sel_hi:[1,1,0] neg_lo:[0,0,1] neg_hi:[0,0,1]
	v_pk_fma_f32 v[6:7], v[34:35], v[32:33], v[6:7] op_sel:[0,0,1] op_sel_hi:[1,0,0]
	v_pk_add_f32 v[4:5], v[4:5], v[40:41]
	v_mov_b32_e32 v19, v7
	v_pk_mul_f32 v[6:7], v[36:37], v[38:39] op_sel:[0,1]
	v_pk_add_f32 v[4:5], v[4:5], v[18:19]
	v_pk_fma_f32 v[18:19], v[36:37], v[38:39], v[6:7] op_sel:[0,0,1] op_sel_hi:[1,1,0] neg_lo:[0,0,1] neg_hi:[0,0,1]
	v_pk_fma_f32 v[6:7], v[36:37], v[38:39], v[6:7] op_sel:[0,0,1] op_sel_hi:[1,0,0]
	s_mov_b32 s15, s14
	v_mov_b32_e32 v19, v7
	v_add_lshl_u32 v29, v8, v28, 3
	v_pk_add_f32 v[4:5], v[4:5], v[18:19]
	v_cmp_gt_u32_e64 s[4:5], 32, v27
	v_pk_mov_b32 v[18:19], s[14:15], s[14:15] op_sel:[0,1]
	s_barrier
	ds_write_b64 v29, v[4:5]
	s_waitcnt lgkmcnt(0)
	s_barrier
	s_and_saveexec_b64 s[14:15], s[4:5]
	s_cbranch_execz .LBB8_54
; %bb.53:
	v_lshlrev_b32_e32 v1, 3, v28
	ds_read2_b64 v[4:7], v1 offset1:7
	ds_read2_b64 v[30:33], v1 offset0:1 offset1:2
	ds_read2_b64 v[34:37], v1 offset0:3 offset1:4
	s_waitcnt lgkmcnt(1)
	v_add_f32_e32 v4, v30, v4
	v_add_f32_e32 v5, v31, v5
	;; [unrolled: 1-line block ×4, first 2 shown]
	ds_read2_b64 v[30:33], v1 offset0:5 offset1:6
	s_waitcnt lgkmcnt(1)
	v_add_f32_e32 v1, v4, v34
	v_add_f32_e32 v4, v5, v35
	;; [unrolled: 1-line block ×4, first 2 shown]
	s_waitcnt lgkmcnt(0)
	v_add_f32_e32 v1, v1, v30
	v_add_f32_e32 v5, v4, v31
	;; [unrolled: 1-line block ×4, first 2 shown]
	v_pk_add_f32 v[18:19], v[4:5], v[6:7]
.LBB8_54:
	s_or_b64 exec, exec, s[14:15]
	s_lshl_b64 s[22:23], s[20:21], 8
	v_mov_b32_e32 v1, s23
	v_add_co_u32_e32 v4, vcc, s22, v2
	v_addc_co_u32_e32 v5, vcc, v3, v1, vcc
	v_add_co_u32_e32 v2, vcc, 0x100, v4
	v_cndmask_b32_e64 v1, 0, 1, s[38:39]
	s_mov_b64 s[16:17], vcc
	v_cmp_ne_u32_e64 s[14:15], 1, v1
	s_andn2_b64 vcc, exec, s[38:39]
	v_addc_co_u32_e64 v1, s[16:17], 0, v5, s[16:17]
	s_barrier
	s_cbranch_vccnz .LBB8_56
; %bb.55:
	s_lshl_b64 s[16:17], s[20:21], 6
	v_mov_b32_e32 v3, s17
	v_add_co_u32_e32 v6, vcc, s16, v4
	v_addc_co_u32_e32 v7, vcc, v5, v3, vcc
	v_add_co_u32_e32 v30, vcc, s16, v6
	v_addc_co_u32_e32 v31, vcc, v7, v3, vcc
	v_mov_b32_e32 v3, 0xc0
	v_mad_u64_u32 v[32:33], s[16:17], s20, v3, v[4:5]
	s_mul_i32 s16, s21, 0xc0
	v_add_u32_e32 v33, s16, v33
	global_load_dwordx2 v[34:35], v[4:5], off offset:256
	global_load_dwordx2 v[36:37], v[6:7], off offset:256
	;; [unrolled: 1-line block ×4, first 2 shown]
	v_mul_u32_u24_e32 v3, 33, v8
	v_add_lshl_u32 v3, v3, v0, 3
	s_waitcnt vmcnt(3)
	ds_write_b64 v3, v[34:35]
	s_waitcnt vmcnt(2)
	ds_write_b64 v3, v[36:37] offset:2112
	s_waitcnt vmcnt(1)
	ds_write_b64 v3, v[38:39] offset:4224
	;; [unrolled: 2-line block ×3, first 2 shown]
	s_cbranch_execz .LBB8_57
	s_branch .LBB8_72
.LBB8_56:
.LBB8_57:
	v_lshlrev_b32_e32 v3, 3, v0
	v_sub_co_u32_e32 v5, vcc, v2, v3
	s_ashr_i32 s25, s24, 31
	v_subbrev_co_u32_e32 v6, vcc, 0, v1, vcc
	s_lshl_b64 s[38:39], s[24:25], 3
	v_mov_b32_e32 v7, s39
	v_add_co_u32_e32 v5, vcc, s38, v5
	v_addc_co_u32_e32 v6, vcc, v6, v7, vcc
	v_or_b32_e32 v4, 32, v0
	v_add_co_u32_e32 v7, vcc, 0xfffffef8, v5
	v_addc_co_u32_e32 v5, vcc, -1, v6, vcc
	v_cmp_gt_i32_e64 s[16:17], s24, v4
	s_sub_i32 s25, s24, 32
	v_mov_b32_e32 v6, 0
	v_cndmask_b32_e64 v5, v5, v1, s[16:17]
	v_cndmask_b32_e64 v4, v7, v2, s[16:17]
	v_cmp_gt_i32_e32 vcc, s25, v8
	v_mov_b32_e32 v7, v6
	s_and_saveexec_b64 s[40:41], vcc
	s_cbranch_execz .LBB8_59
; %bb.58:
	global_load_dwordx2 v[6:7], v[4:5], off
.LBB8_59:
	s_or_b64 exec, exec, s[40:41]
	v_mul_u32_u24_e32 v25, 33, v8
	v_add_lshl_u32 v25, v25, v0, 3
	s_waitcnt vmcnt(0)
	ds_write_b64 v25, v[6:7]
	v_add_u32_e32 v6, 8, v8
	v_cmp_le_i32_e32 vcc, s25, v6
	s_and_saveexec_b64 s[40:41], vcc
	s_xor_b64 s[40:41], exec, s[40:41]
	s_cbranch_execz .LBB8_61
; %bb.60:
	v_mul_u32_u24_e32 v6, 33, v6
	v_add_lshl_u32 v30, v6, v0, 3
	v_mov_b32_e32 v6, 0
	v_mov_b32_e32 v7, v6
	ds_write_b64 v30, v[6:7]
.LBB8_61:
	s_andn2_saveexec_b64 s[40:41], s[40:41]
	s_cbranch_execz .LBB8_63
; %bb.62:
	s_lshl_b64 s[44:45], s[20:21], 6
	v_mov_b32_e32 v7, s45
	v_add_co_u32_e32 v6, vcc, s44, v4
	v_addc_co_u32_e32 v7, vcc, v5, v7, vcc
	global_load_dwordx2 v[6:7], v[6:7], off
	s_waitcnt vmcnt(0)
	ds_write_b64 v25, v[6:7] offset:2112
.LBB8_63:
	s_or_b64 exec, exec, s[40:41]
	v_add_u32_e32 v6, 16, v8
	v_cmp_le_i32_e32 vcc, s25, v6
	s_and_saveexec_b64 s[40:41], vcc
	s_xor_b64 s[40:41], exec, s[40:41]
	s_cbranch_execz .LBB8_65
; %bb.64:
	v_mov_b32_e32 v6, 0
	v_mov_b32_e32 v7, v6
	ds_write_b64 v25, v[6:7] offset:4224
.LBB8_65:
	s_andn2_saveexec_b64 s[40:41], s[40:41]
	s_cbranch_execz .LBB8_67
; %bb.66:
	s_lshl_b64 s[44:45], s[20:21], 7
	v_mov_b32_e32 v7, s45
	v_add_co_u32_e32 v6, vcc, s44, v4
	v_addc_co_u32_e32 v7, vcc, v5, v7, vcc
	global_load_dwordx2 v[6:7], v[6:7], off
	s_waitcnt vmcnt(0)
	ds_write_b64 v25, v[6:7] offset:4224
.LBB8_67:
	s_or_b64 exec, exec, s[40:41]
	v_add_u32_e32 v6, 24, v8
	v_cmp_le_i32_e32 vcc, s25, v6
	s_and_saveexec_b64 s[40:41], vcc
	s_xor_b64 s[40:41], exec, s[40:41]
	s_cbranch_execz .LBB8_69
; %bb.68:
	v_mov_b32_e32 v6, 0
	v_mov_b32_e32 v7, v6
	ds_write_b64 v25, v[6:7] offset:6336
                                        ; implicit-def: $vgpr25
.LBB8_69:
	s_andn2_saveexec_b64 s[40:41], s[40:41]
	s_cbranch_execz .LBB8_71
; %bb.70:
	v_mov_b32_e32 v6, 0xc0
	v_mad_u64_u32 v[6:7], s[44:45], s20, v6, v[4:5]
	s_mul_i32 s25, s21, 0xc0
	v_add_u32_e32 v7, s25, v7
	global_load_dwordx2 v[6:7], v[6:7], off
	s_waitcnt vmcnt(0)
	ds_write_b64 v25, v[6:7] offset:6336
.LBB8_71:
	s_or_b64 exec, exec, s[40:41]
	v_add_co_u32_e32 v3, vcc, v4, v3
	v_addc_co_u32_e32 v4, vcc, 0, v5, vcc
	v_mov_b32_e32 v5, s39
	v_subrev_co_u32_e32 v3, vcc, s38, v3
	v_subb_co_u32_e32 v4, vcc, v4, v5, vcc
	v_add_co_u32_e32 v3, vcc, 0x108, v3
	v_addc_co_u32_e32 v4, vcc, 0, v4, vcc
	v_cndmask_b32_e64 v1, v4, v1, s[16:17]
	v_cndmask_b32_e64 v2, v3, v2, s[16:17]
.LBB8_72:
	v_add_u32_e32 v6, 0x2380, v24
	s_lshl_b64 s[16:17], s[20:21], 5
	s_waitcnt lgkmcnt(0)
	s_barrier
	s_and_saveexec_b64 s[38:39], s[18:19]
	s_xor_b64 s[18:19], exec, s[38:39]
	s_cbranch_execnz .LBB8_85
; %bb.73:
	s_andn2_saveexec_b64 s[18:19], s[18:19]
	s_cbranch_execnz .LBB8_88
.LBB8_74:
	s_or_b64 exec, exec, s[18:19]
	s_and_saveexec_b64 s[18:19], s[8:9]
	s_xor_b64 s[8:9], exec, s[18:19]
	s_cbranch_execnz .LBB8_89
.LBB8_75:
	s_andn2_saveexec_b64 s[8:9], s[8:9]
	s_cbranch_execnz .LBB8_92
.LBB8_76:
	s_or_b64 exec, exec, s[8:9]
	s_and_saveexec_b64 s[8:9], s[10:11]
	s_xor_b64 s[8:9], exec, s[8:9]
	s_cbranch_execnz .LBB8_93
.LBB8_77:
	s_andn2_saveexec_b64 s[8:9], s[8:9]
	s_cbranch_execnz .LBB8_96
.LBB8_78:
	s_or_b64 exec, exec, s[8:9]
	s_and_saveexec_b64 s[8:9], s[12:13]
	s_xor_b64 s[8:9], exec, s[8:9]
	s_cbranch_execnz .LBB8_97
.LBB8_79:
	s_andn2_saveexec_b64 s[8:9], s[8:9]
	s_cbranch_execz .LBB8_81
.LBB8_80:
	ds_read_b64 v[4:5], v14 offset:528
	s_waitcnt lgkmcnt(0)
	v_xor_b32_e32 v5, 0x80000000, v5
	ds_write_b64 v12, v[4:5] offset:24
.LBB8_81:
	s_or_b64 exec, exec, s[8:9]
	s_waitcnt lgkmcnt(0)
	s_barrier
	ds_read_b64 v[4:5], v15
	ds_read_b128 v[30:33], v6 offset:256
	ds_read2_b64 v[34:37], v14 offset1:33
	ds_read_b64 v[10:11], v14 offset:528
	ds_read_b128 v[38:41], v6 offset:272
	v_cmp_eq_u32_e64 s[10:11], 1, v8
	s_waitcnt lgkmcnt(3)
	v_pk_mul_f32 v[14:15], v[30:31], v[4:5] op_sel:[0,1]
	v_pk_fma_f32 v[24:25], v[30:31], v[4:5], v[14:15] op_sel:[0,0,1] op_sel_hi:[1,1,0] neg_lo:[0,0,1] neg_hi:[0,0,1]
	v_pk_fma_f32 v[4:5], v[30:31], v[4:5], v[14:15] op_sel:[0,0,1] op_sel_hi:[1,0,0]
	v_mov_b32_e32 v25, v5
	s_waitcnt lgkmcnt(2)
	v_pk_mul_f32 v[14:15], v[32:33], v[34:35] op_sel:[0,1]
	v_pk_add_f32 v[4:5], v[24:25], 0 op_sel_hi:[1,0]
	v_pk_fma_f32 v[24:25], v[32:33], v[34:35], v[14:15] op_sel:[0,0,1] op_sel_hi:[1,1,0] neg_lo:[0,0,1] neg_hi:[0,0,1]
	v_pk_fma_f32 v[14:15], v[32:33], v[34:35], v[14:15] op_sel:[0,0,1] op_sel_hi:[1,0,0]
	v_mov_b32_e32 v25, v15
	s_waitcnt lgkmcnt(0)
	v_pk_mul_f32 v[14:15], v[38:39], v[36:37] op_sel:[0,1]
	v_pk_add_f32 v[4:5], v[4:5], v[24:25]
	v_pk_fma_f32 v[24:25], v[38:39], v[36:37], v[14:15] op_sel:[0,0,1] op_sel_hi:[1,1,0] neg_lo:[0,0,1] neg_hi:[0,0,1]
	v_pk_fma_f32 v[14:15], v[38:39], v[36:37], v[14:15] op_sel:[0,0,1] op_sel_hi:[1,0,0]
	v_mov_b32_e32 v25, v15
	v_pk_mul_f32 v[14:15], v[40:41], v[10:11] op_sel:[0,1]
	v_pk_add_f32 v[4:5], v[4:5], v[24:25]
	v_pk_fma_f32 v[24:25], v[40:41], v[10:11], v[14:15] op_sel:[0,0,1] op_sel_hi:[1,1,0] neg_lo:[0,0,1] neg_hi:[0,0,1]
	v_pk_fma_f32 v[10:11], v[40:41], v[10:11], v[14:15] op_sel:[0,0,1] op_sel_hi:[1,0,0]
	v_mov_b32_e32 v25, v11
	v_pk_add_f32 v[4:5], v[4:5], v[24:25]
	s_barrier
	ds_write_b64 v29, v[4:5]
	s_waitcnt lgkmcnt(0)
	s_barrier
	s_and_saveexec_b64 s[8:9], s[10:11]
	s_cbranch_execz .LBB8_83
; %bb.82:
	v_lshlrev_b32_e32 v3, 3, v28
	ds_read2_b64 v[30:33], v3 offset1:7
	ds_read2_b64 v[34:37], v3 offset0:1 offset1:2
	ds_read2_b64 v[38:41], v3 offset0:3 offset1:4
	s_waitcnt lgkmcnt(1)
	v_add_f32_e32 v4, v34, v30
	v_add_f32_e32 v5, v35, v31
	;; [unrolled: 1-line block ×4, first 2 shown]
	ds_read2_b64 v[34:37], v3 offset0:5 offset1:6
	s_waitcnt lgkmcnt(1)
	v_add_f32_e32 v3, v4, v38
	v_add_f32_e32 v4, v5, v39
	;; [unrolled: 1-line block ×4, first 2 shown]
	s_waitcnt lgkmcnt(0)
	v_add_f32_e32 v4, v3, v34
	v_add_f32_e32 v5, v5, v35
	v_pk_add_f32 v[4:5], v[4:5], v[36:37]
	v_pk_add_f32 v[18:19], v[4:5], v[32:33]
.LBB8_83:
	s_or_b64 exec, exec, s[8:9]
	s_lshl_b64 s[8:9], s[16:17], 3
	v_mov_b32_e32 v3, s9
	v_subrev_co_u32_e64 v24, s[8:9], s8, v2
	s_and_b64 vcc, exec, s[14:15]
	v_subb_co_u32_e64 v25, s[8:9], v1, v3, s[8:9]
	s_barrier
	s_cbranch_vccnz .LBB8_100
; %bb.84:
	s_lshl_b64 s[8:9], s[20:21], 6
	v_mov_b32_e32 v1, s9
	v_add_co_u32_e32 v2, vcc, s8, v24
	v_addc_co_u32_e32 v3, vcc, v25, v1, vcc
	v_add_co_u32_e32 v4, vcc, s8, v2
	v_addc_co_u32_e32 v5, vcc, v3, v1, vcc
	v_mov_b32_e32 v1, 0xc0
	v_mad_u64_u32 v[10:11], s[8:9], s20, v1, v[24:25]
	s_mul_i32 s8, s21, 0xc0
	v_add_u32_e32 v11, s8, v11
	global_load_dwordx2 v[14:15], v[24:25], off
	global_load_dwordx2 v[30:31], v[2:3], off
	;; [unrolled: 1-line block ×4, first 2 shown]
	v_mad_u32_u24 v1, v8, 33, v0
	v_add_u32_e32 v4, 8, v8
	v_add_u32_e32 v5, 16, v8
	;; [unrolled: 1-line block ×3, first 2 shown]
	v_lshlrev_b32_e32 v7, 3, v1
	v_add_u32_e32 v2, 0x108, v1
	v_add_u32_e32 v3, 0x210, v1
	;; [unrolled: 1-line block ×3, first 2 shown]
	s_waitcnt vmcnt(3)
	ds_write_b64 v7, v[14:15]
	s_waitcnt vmcnt(2)
	ds_write_b64 v7, v[30:31] offset:2112
	s_waitcnt vmcnt(1)
	ds_write_b64 v7, v[32:33] offset:4224
	;; [unrolled: 2-line block ×3, first 2 shown]
	s_cbranch_execz .LBB8_101
	s_branch .LBB8_116
.LBB8_85:
	v_cmp_eq_u32_e32 vcc, v9, v0
	s_and_saveexec_b64 s[38:39], vcc
	s_cbranch_execz .LBB8_87
; %bb.86:
	v_mul_u32_u24_e32 v3, 34, v0
	v_lshlrev_b32_e32 v3, 3, v3
	v_mov_b32_e32 v4, 0
	ds_write_b32 v3, v4 offset:4
.LBB8_87:
	s_or_b64 exec, exec, s[38:39]
	s_andn2_saveexec_b64 s[18:19], s[18:19]
	s_cbranch_execz .LBB8_74
.LBB8_88:
	ds_read_b64 v[4:5], v15
	s_waitcnt lgkmcnt(0)
	v_xor_b32_e32 v5, 0x80000000, v5
	ds_write_b64 v12, v[4:5]
	s_or_b64 exec, exec, s[18:19]
	s_and_saveexec_b64 s[18:19], s[8:9]
	s_xor_b64 s[8:9], exec, s[18:19]
	s_cbranch_execz .LBB8_75
.LBB8_89:
	v_cmp_eq_u32_e32 vcc, v10, v0
	s_and_saveexec_b64 s[18:19], vcc
	s_cbranch_execz .LBB8_91
; %bb.90:
	v_mul_u32_u24_e32 v3, 34, v0
	v_lshlrev_b32_e32 v3, 3, v3
	v_mov_b32_e32 v4, 0
	ds_write_b32 v3, v4 offset:4
.LBB8_91:
	s_or_b64 exec, exec, s[18:19]
	s_andn2_saveexec_b64 s[8:9], s[8:9]
	s_cbranch_execz .LBB8_76
.LBB8_92:
	ds_read_b64 v[4:5], v14
	s_waitcnt lgkmcnt(0)
	v_xor_b32_e32 v5, 0x80000000, v5
	ds_write_b64 v12, v[4:5] offset:8
	s_or_b64 exec, exec, s[8:9]
	s_and_saveexec_b64 s[8:9], s[10:11]
	s_xor_b64 s[8:9], exec, s[8:9]
	s_cbranch_execz .LBB8_77
.LBB8_93:
	v_cmp_eq_u32_e32 vcc, v11, v0
	s_and_saveexec_b64 s[10:11], vcc
	s_cbranch_execz .LBB8_95
; %bb.94:
	v_mul_u32_u24_e32 v3, 34, v0
	v_lshlrev_b32_e32 v3, 3, v3
	v_mov_b32_e32 v4, 0
	ds_write_b32 v3, v4 offset:4
.LBB8_95:
	s_or_b64 exec, exec, s[10:11]
	s_andn2_saveexec_b64 s[8:9], s[8:9]
	s_cbranch_execz .LBB8_78
.LBB8_96:
	ds_read_b64 v[4:5], v14 offset:264
	s_waitcnt lgkmcnt(0)
	v_xor_b32_e32 v5, 0x80000000, v5
	ds_write_b64 v12, v[4:5] offset:16
	s_or_b64 exec, exec, s[8:9]
	s_and_saveexec_b64 s[8:9], s[12:13]
	s_xor_b64 s[8:9], exec, s[8:9]
	s_cbranch_execz .LBB8_79
.LBB8_97:
	v_cmp_eq_u32_e32 vcc, v13, v0
	s_and_saveexec_b64 s[10:11], vcc
	s_cbranch_execz .LBB8_99
; %bb.98:
	v_mul_u32_u24_e32 v3, 34, v0
	v_lshlrev_b32_e32 v3, 3, v3
	v_mov_b32_e32 v4, 0
	ds_write_b32 v3, v4 offset:4
.LBB8_99:
	s_or_b64 exec, exec, s[10:11]
	s_andn2_saveexec_b64 s[8:9], s[8:9]
	s_cbranch_execnz .LBB8_80
	s_branch .LBB8_81
.LBB8_100:
                                        ; implicit-def: $vgpr1
                                        ; implicit-def: $vgpr4
                                        ; implicit-def: $vgpr2
                                        ; implicit-def: $vgpr5
                                        ; implicit-def: $vgpr3
                                        ; implicit-def: $vgpr9
                                        ; implicit-def: $vgpr10
.LBB8_101:
	v_lshlrev_b32_e32 v7, 3, v0
	v_sub_co_u32_e32 v2, vcc, v24, v7
	s_ashr_i32 s25, s24, 31
	v_subbrev_co_u32_e32 v3, vcc, 0, v25, vcc
	s_lshl_b64 s[12:13], s[24:25], 3
	v_mov_b32_e32 v4, s13
	v_add_co_u32_e32 v2, vcc, s12, v2
	v_addc_co_u32_e32 v3, vcc, v3, v4, vcc
	v_or_b32_e32 v1, 32, v0
	v_add_co_u32_e32 v2, vcc, 0xfffffef8, v2
	v_addc_co_u32_e32 v3, vcc, -1, v3, vcc
	v_cmp_gt_i32_e64 s[8:9], s24, v1
	v_mov_b32_e32 v4, 0
	v_cndmask_b32_e64 v3, v3, v25, s[8:9]
	v_cndmask_b32_e64 v2, v2, v24, s[8:9]
	v_cmp_gt_i32_e32 vcc, s24, v8
	v_mov_b32_e32 v5, v4
	s_and_saveexec_b64 s[14:15], vcc
	s_cbranch_execz .LBB8_103
; %bb.102:
	global_load_dwordx2 v[4:5], v[2:3], off
.LBB8_103:
	s_or_b64 exec, exec, s[14:15]
	v_mad_u32_u24 v1, v8, 33, v0
	v_lshlrev_b32_e32 v11, 3, v1
	s_waitcnt vmcnt(0)
	ds_write_b64 v11, v[4:5]
	v_add_u32_e32 v4, 8, v8
	v_cmp_le_i32_e32 vcc, s24, v4
	s_and_saveexec_b64 s[14:15], vcc
	s_xor_b64 s[14:15], exec, s[14:15]
	s_cbranch_execz .LBB8_105
; %bb.104:
	v_mul_u32_u24_e32 v5, 33, v4
	v_mov_b32_e32 v14, 0
	v_add_lshl_u32 v5, v5, v0, 3
	v_mov_b32_e32 v15, v14
	ds_write_b64 v5, v[14:15]
.LBB8_105:
	s_andn2_saveexec_b64 s[14:15], s[14:15]
	s_cbranch_execz .LBB8_107
; %bb.106:
	s_lshl_b64 s[16:17], s[20:21], 6
	v_mov_b32_e32 v5, s17
	v_add_co_u32_e32 v14, vcc, s16, v2
	v_addc_co_u32_e32 v15, vcc, v3, v5, vcc
	global_load_dwordx2 v[14:15], v[14:15], off
	s_waitcnt vmcnt(0)
	ds_write_b64 v11, v[14:15] offset:2112
.LBB8_107:
	s_or_b64 exec, exec, s[14:15]
	v_add_u32_e32 v5, 16, v8
	v_cmp_le_i32_e32 vcc, s24, v5
	s_and_saveexec_b64 s[14:15], vcc
	s_xor_b64 s[14:15], exec, s[14:15]
	s_cbranch_execz .LBB8_109
; %bb.108:
	v_mul_u32_u24_e32 v9, 33, v5
	v_mov_b32_e32 v14, 0
	v_add_lshl_u32 v0, v9, v0, 3
	v_mov_b32_e32 v15, v14
	ds_write_b64 v0, v[14:15]
.LBB8_109:
	s_andn2_saveexec_b64 s[14:15], s[14:15]
	s_cbranch_execz .LBB8_111
; %bb.110:
	s_lshl_b64 s[16:17], s[20:21], 7
	v_mov_b32_e32 v0, s17
	v_add_co_u32_e32 v14, vcc, s16, v2
	v_addc_co_u32_e32 v15, vcc, v3, v0, vcc
	global_load_dwordx2 v[14:15], v[14:15], off
	s_waitcnt vmcnt(0)
	ds_write_b64 v11, v[14:15] offset:4224
.LBB8_111:
	s_or_b64 exec, exec, s[14:15]
	v_add_u32_e32 v9, 24, v8
	v_cmp_le_i32_e32 vcc, s24, v9
                                        ; implicit-def: $vgpr10
	s_and_saveexec_b64 s[14:15], vcc
	s_xor_b64 s[14:15], exec, s[14:15]
	s_cbranch_execz .LBB8_113
; %bb.112:
	v_mov_b32_e32 v14, 0
	v_add_u32_e32 v10, 0x318, v1
	v_mov_b32_e32 v15, v14
	ds_write_b64 v11, v[14:15] offset:6336
                                        ; implicit-def: $vgpr11
.LBB8_113:
	s_andn2_saveexec_b64 s[14:15], s[14:15]
	s_cbranch_execz .LBB8_115
; %bb.114:
	v_mov_b32_e32 v0, 0xc0
	v_mad_u64_u32 v[14:15], s[16:17], s20, v0, v[2:3]
	s_mul_i32 s16, s21, 0xc0
	v_add_u32_e32 v15, s16, v15
	global_load_dwordx2 v[14:15], v[14:15], off
	v_add_u32_e32 v10, 0x318, v1
	s_waitcnt vmcnt(0)
	ds_write_b64 v11, v[14:15] offset:6336
.LBB8_115:
	s_or_b64 exec, exec, s[14:15]
	v_add_co_u32_e32 v0, vcc, v2, v7
	v_addc_co_u32_e32 v2, vcc, 0, v3, vcc
	v_mov_b32_e32 v3, s13
	v_subrev_co_u32_e32 v0, vcc, s12, v0
	v_subb_co_u32_e32 v2, vcc, v2, v3, vcc
	v_add_co_u32_e32 v0, vcc, 0x108, v0
	v_addc_co_u32_e32 v2, vcc, 0, v2, vcc
	v_cndmask_b32_e64 v25, v2, v25, s[8:9]
	v_cndmask_b32_e64 v24, v0, v24, s[8:9]
	v_add_u32_e32 v2, 0x108, v1
	v_add_u32_e32 v3, 0x210, v1
.LBB8_116:
	v_lshlrev_b32_e32 v0, 3, v1
	s_waitcnt lgkmcnt(0)
	s_barrier
	ds_read_b64 v[30:31], v0
	v_lshlrev_b32_e32 v7, 3, v8
	v_lshlrev_b32_e32 v13, 3, v2
	;; [unrolled: 1-line block ×7, first 2 shown]
	ds_read_b64 v[32:33], v0
	ds_read2_b64 v[8:11], v12 offset1:1
	ds_read2_b64 v[0:3], v12 offset0:2 offset1:3
	ds_read_b64 v[34:35], v4 offset:9088
	ds_read_b64 v[36:37], v13
	ds_read_b64 v[38:39], v7 offset:9088
	ds_read_b128 v[12:15], v6 offset:256
	ds_read_b128 v[4:7], v6 offset:272
	ds_read_b64 v[40:41], v40 offset:9088
	ds_read_b64 v[42:43], v42
	ds_read_b64 v[44:45], v44 offset:9088
	s_waitcnt lgkmcnt(5)
	v_pk_mul_f32 v[46:47], v[38:39], v[30:31] op_sel:[0,1]
	v_pk_fma_f32 v[48:49], v[38:39], v[30:31], v[46:47] op_sel:[0,0,1] op_sel_hi:[1,1,0] neg_lo:[0,0,1] neg_hi:[0,0,1]
	v_pk_fma_f32 v[30:31], v[38:39], v[30:31], v[46:47] op_sel:[0,0,1] op_sel_hi:[1,0,0]
	v_pk_mul_f32 v[38:39], v[34:35], v[36:37] op_sel:[0,1]
	v_pk_fma_f32 v[46:47], v[34:35], v[36:37], v[38:39] op_sel:[0,0,1] op_sel_hi:[1,1,0] neg_lo:[0,0,1] neg_hi:[0,0,1]
	v_pk_fma_f32 v[34:35], v[34:35], v[36:37], v[38:39] op_sel:[0,0,1] op_sel_hi:[1,0,0]
	v_mov_b32_e32 v47, v35
	s_waitcnt lgkmcnt(0)
	v_pk_mul_f32 v[34:35], v[44:45], v[32:33] op_sel:[0,1]
	v_mov_b32_e32 v49, v31
	v_pk_fma_f32 v[36:37], v[44:45], v[32:33], v[34:35] op_sel:[0,0,1] op_sel_hi:[1,1,0] neg_lo:[0,0,1] neg_hi:[0,0,1]
	v_pk_fma_f32 v[32:33], v[44:45], v[32:33], v[34:35] op_sel:[0,0,1] op_sel_hi:[1,0,0]
	v_pk_add_f32 v[30:31], v[48:49], 0 op_sel_hi:[1,0]
	v_mov_b32_e32 v37, v33
	v_pk_mul_f32 v[32:33], v[40:41], v[42:43] op_sel:[0,1]
	v_pk_add_f32 v[30:31], v[30:31], v[46:47]
	v_pk_fma_f32 v[34:35], v[40:41], v[42:43], v[32:33] op_sel:[0,0,1] op_sel_hi:[1,1,0] neg_lo:[0,0,1] neg_hi:[0,0,1]
	v_pk_fma_f32 v[32:33], v[40:41], v[42:43], v[32:33] op_sel:[0,0,1] op_sel_hi:[1,0,0]
	v_pk_add_f32 v[30:31], v[30:31], v[36:37]
	v_mov_b32_e32 v35, v33
	v_pk_add_f32 v[30:31], v[30:31], v[34:35]
	s_barrier
	ds_write_b64 v29, v[30:31]
	s_waitcnt lgkmcnt(0)
	s_barrier
	s_and_saveexec_b64 s[8:9], s[10:11]
	s_cbranch_execz .LBB8_118
; %bb.117:
	v_lshlrev_b32_e32 v42, 3, v28
	ds_read2_b64 v[30:33], v42 offset1:1
	ds_read2_b64 v[34:37], v42 offset0:2 offset1:3
	ds_read2_b64 v[38:41], v42 offset0:4 offset1:5
	s_waitcnt lgkmcnt(2)
	v_pk_add_f32 v[18:19], v[18:19], v[30:31]
	v_pk_add_f32 v[18:19], v[18:19], v[32:33]
	ds_read2_b64 v[30:33], v42 offset0:6 offset1:7
	s_waitcnt lgkmcnt(2)
	v_pk_add_f32 v[18:19], v[18:19], v[34:35]
	v_pk_add_f32 v[18:19], v[18:19], v[36:37]
	s_waitcnt lgkmcnt(1)
	v_pk_add_f32 v[18:19], v[18:19], v[38:39]
	v_pk_add_f32 v[18:19], v[18:19], v[40:41]
	;; [unrolled: 3-line block ×3, first 2 shown]
.LBB8_118:
	s_or_b64 exec, exec, s[8:9]
	v_pk_mul_f32 v[30:31], v[8:9], v[12:13] op_sel:[1,0]
	v_pk_fma_f32 v[32:33], v[8:9], v[12:13], v[30:31] op_sel:[0,0,1] op_sel_hi:[1,1,0]
	v_pk_fma_f32 v[8:9], v[8:9], v[12:13], v[30:31] op_sel:[0,0,1] op_sel_hi:[0,1,0] neg_lo:[0,0,1] neg_hi:[0,0,1]
	v_mov_b32_e32 v12, v11
	v_pk_mul_f32 v[12:13], v[12:13], v[14:15] op_sel_hi:[0,1]
	v_pk_fma_f32 v[30:31], v[10:11], v[14:15], v[12:13] op_sel:[0,0,1] op_sel_hi:[1,1,0]
	v_pk_fma_f32 v[10:11], v[10:11], v[14:15], v[12:13] op_sel:[0,0,1] op_sel_hi:[0,1,0] neg_lo:[0,0,1] neg_hi:[0,0,1]
	v_mov_b32_e32 v33, v9
	v_mov_b32_e32 v31, v11
	v_pk_mul_f32 v[10:11], v[0:1], v[4:5] op_sel:[1,0]
	v_pk_add_f32 v[8:9], v[32:33], 0 op_sel_hi:[1,0]
	v_pk_fma_f32 v[12:13], v[0:1], v[4:5], v[10:11] op_sel:[0,0,1] op_sel_hi:[1,1,0]
	v_pk_fma_f32 v[0:1], v[0:1], v[4:5], v[10:11] op_sel:[0,0,1] op_sel_hi:[0,1,0] neg_lo:[0,0,1] neg_hi:[0,0,1]
	v_mov_b32_e32 v4, v3
	v_pk_add_f32 v[8:9], v[8:9], v[30:31]
	v_mov_b32_e32 v13, v1
	v_pk_mul_f32 v[4:5], v[4:5], v[6:7] op_sel_hi:[0,1]
	v_pk_add_f32 v[0:1], v[8:9], v[12:13]
	v_pk_fma_f32 v[8:9], v[2:3], v[6:7], v[4:5] op_sel:[0,0,1] op_sel_hi:[1,1,0]
	v_pk_fma_f32 v[2:3], v[2:3], v[6:7], v[4:5] op_sel:[0,0,1] op_sel_hi:[0,1,0] neg_lo:[0,0,1] neg_hi:[0,0,1]
	v_mov_b32_e32 v9, v3
	v_pk_add_f32 v[0:1], v[0:1], v[8:9]
	s_barrier
	ds_write_b64 v29, v[0:1]
	s_waitcnt lgkmcnt(0)
	s_barrier
	s_and_saveexec_b64 s[8:9], s[4:5]
	s_cbranch_execz .LBB8_120
; %bb.119:
	v_lshlrev_b32_e32 v14, 3, v28
	ds_read2_b64 v[0:3], v14 offset1:1
	ds_read2_b64 v[4:7], v14 offset0:2 offset1:3
	ds_read2_b64 v[8:11], v14 offset0:4 offset1:5
	s_waitcnt lgkmcnt(2)
	v_pk_add_f32 v[0:1], v[18:19], v[0:1]
	v_pk_add_f32 v[12:13], v[0:1], v[2:3]
	ds_read2_b64 v[0:3], v14 offset0:6 offset1:7
	s_waitcnt lgkmcnt(2)
	v_pk_add_f32 v[4:5], v[12:13], v[4:5]
	v_pk_add_f32 v[4:5], v[4:5], v[6:7]
	s_waitcnt lgkmcnt(1)
	v_pk_add_f32 v[4:5], v[4:5], v[8:9]
	v_pk_add_f32 v[4:5], v[4:5], v[10:11]
	;; [unrolled: 3-line block ×3, first 2 shown]
.LBB8_120:
	s_or_b64 exec, exec, s[8:9]
	s_mul_hi_u32 s4, s33, s7
	s_mul_i32 s43, s43, s7
	s_add_i32 s4, s4, s43
	s_mul_i32 s7, s33, s7
	s_mul_i32 s4, s4, s42
	s_mul_hi_u32 s5, s7, s42
	s_add_i32 s5, s5, s4
	s_mul_i32 s4, s7, s42
	s_lshl_b64 s[4:5], s[4:5], 3
	s_add_u32 s7, s28, s4
	s_mul_i32 s4, s6, s33
	s_addc_u32 s8, s29, s5
	s_ashr_i32 s5, s4, 31
	s_lshl_b64 s[4:5], s[4:5], 3
	s_add_u32 s7, s7, s4
	v_cmp_le_i32_e32 vcc, s24, v26
	s_addc_u32 s28, s8, s5
	s_and_b64 vcc, s[34:35], vcc
	s_cmp_lt_i32 s6, 1
	v_lshlrev_b32_e32 v73, 3, v26
	s_barrier
	s_cbranch_scc1 .LBB8_127
; %bb.121:
	s_mul_i32 s4, s26, s37
	s_mul_hi_u32 s5, s26, s36
	s_add_i32 s4, s5, s4
	s_mul_i32 s5, s27, s36
	s_add_i32 s5, s4, s5
	s_mul_i32 s4, s26, s36
	s_lshl_b64 s[4:5], s[4:5], 3
	v_mov_b32_e32 v0, s5
	v_subrev_co_u32_e64 v74, s[4:5], s4, v20
	v_subb_co_u32_e64 v75, s[4:5], v21, v0, s[4:5]
	v_mov_b32_e32 v0, s31
	v_subrev_co_u32_e64 v1, s[4:5], s30, v24
	v_subb_co_u32_e64 v0, s[4:5], v25, v0, s[4:5]
	v_lshlrev_b32_e32 v3, 2, v72
	v_sub_co_u32_e64 v6, s[4:5], v1, v22
	v_subb_co_u32_e64 v7, s[4:5], v0, v23, s[4:5]
	v_mad_u64_u32 v[0:1], s[4:5], v3, s20, 0
	v_mov_b32_e32 v2, v1
	v_mad_u64_u32 v[2:3], s[4:5], v3, s21, v[2:3]
	v_mov_b32_e32 v1, v2
	v_lshlrev_b64 v[0:1], 3, v[0:1]
	v_add_co_u32_e64 v0, s[4:5], v6, v0
	v_addc_co_u32_e64 v1, s[4:5], v7, v1, s[4:5]
	s_ashr_i32 s25, s24, 31
	s_lshl_b64 s[4:5], s[24:25], 3
	v_mov_b32_e32 v2, s5
	v_add_co_u32_e64 v3, s[4:5], s4, v0
	v_addc_co_u32_e64 v2, s[4:5], v1, v2, s[4:5]
	s_movk_i32 s4, 0xfef8
	v_add_co_u32_e64 v3, s[4:5], s4, v3
	v_addc_co_u32_e64 v2, s[4:5], -1, v2, s[4:5]
	v_add_co_u32_e64 v0, s[4:5], v0, v73
	v_addc_co_u32_e64 v1, s[4:5], 0, v1, s[4:5]
	s_movk_i32 s4, 0xff00
	v_add_co_u32_e64 v0, s[4:5], s4, v0
	v_addc_co_u32_e64 v1, s[4:5], -1, v1, s[4:5]
	v_cndmask_b32_e32 v14, v0, v3, vcc
	v_and_b32_e32 v0, 48, v26
	v_and_b32_e32 v4, 15, v26
	v_cndmask_b32_e32 v15, v1, v2, vcc
	v_lshlrev_b32_e32 v1, 3, v0
	s_movk_i32 s8, 0x218
	v_lshrrev_b32_e32 v5, 4, v27
	v_mad_u32_u24 v78, v4, s8, v1
	v_or_b32_e32 v1, 0x78, v73
	v_mad_u32_u24 v79, v4, s8, v1
	v_lshlrev_b32_e32 v1, 5, v5
	v_mad_u32_u24 v80, v4, s8, v1
	v_mov_b32_e32 v1, 0x2180
	v_lshl_add_u32 v81, v72, 5, v1
	s_movk_i32 s9, 0x860
	v_lshlrev_b32_e32 v1, 3, v5
	v_mad_u32_u24 v82, v72, s9, v73
	v_mad_u32_u24 v83, v4, s8, v1
	s_mul_i32 s8, s21, 24
	s_mul_hi_u32 s9, s20, 24
	s_add_i32 s8, s9, s8
	s_mul_i32 s9, s21, 0x90
	s_mul_hi_u32 s16, s20, 0x90
	s_add_i32 s9, s16, s9
	;; [unrolled: 3-line block ×10, first 2 shown]
	s_mul_i32 s16, s21, 0x88
	s_mul_hi_u32 s17, s20, 0x88
	s_lshl_b64 s[10:11], s[20:21], 3
	s_lshl_b64 s[14:15], s[20:21], 4
	s_add_i32 s45, s17, s16
	s_lshl_b64 s[16:17], s[20:21], 7
	v_mov_b32_e32 v13, 0
	v_add_u32_e32 v76, 0x2180, v73
	v_add_u32_e32 v77, 0x2380, v73
	v_cmp_gt_u32_e64 s[4:5], 64, v27
	s_lshl_b64 s[12:13], s[20:21], 9
	s_mul_i32 s24, s20, 24
	s_mul_i32 s25, s20, 0x90
	;; [unrolled: 1-line block ×11, first 2 shown]
	v_or_b32_e32 v84, v0, v4
	s_mov_b32 s20, 0
	v_mov_b32_e32 v85, s11
	v_mov_b32_e32 v86, s15
	;; [unrolled: 1-line block ×15, first 2 shown]
	s_branch .LBB8_123
.LBB8_122:                              ;   in Loop: Header=BB8_123 Depth=1
	s_or_b64 exec, exec, s[18:19]
	v_mul_f32_e32 v12, v20, v28
	v_fma_f32 v12, -v21, v29, v12
	v_pk_mul_f32 v[20:21], v[20:21], v[28:29] op_sel:[1,0] op_sel_hi:[0,1]
	v_add_f32_e32 v12, v18, v12
	v_add_f32_e32 v18, v20, v21
	;; [unrolled: 1-line block ×3, first 2 shown]
	v_mul_f32_e32 v18, v22, v42
	v_fma_f32 v18, -v23, v43, v18
	v_add_f32_e32 v12, v12, v18
	v_pk_mul_f32 v[18:19], v[22:23], v[42:43] op_sel:[1,0] op_sel_hi:[0,1]
	v_add_f32_e32 v18, v18, v19
	v_add_f32_e32 v20, v20, v18
	v_mul_f32_e32 v18, v24, v38
	v_fma_f32 v18, -v25, v39, v18
	v_add_f32_e32 v12, v12, v18
	v_pk_mul_f32 v[18:19], v[24:25], v[38:39] op_sel:[1,0] op_sel_hi:[0,1]
	v_add_f32_e32 v18, v18, v19
	v_add_f32_e32 v20, v20, v18
	;; [unrolled: 6-line block ×4, first 2 shown]
	v_mul_f32_e32 v18, v32, v58
	v_fma_f32 v18, -v33, v59, v18
	v_pk_mul_f32 v[20:21], v[32:33], v[58:59] op_sel:[1,0] op_sel_hi:[0,1]
	v_add_f32_e32 v18, v12, v18
	v_add_f32_e32 v12, v20, v21
	v_add_f32_e32 v19, v19, v12
	v_mov_b32_e32 v12, v57
	v_pk_mul_f32 v[20:21], v[30:31], v[12:13] op_sel:[1,0] op_sel_hi:[0,1]
	v_pk_fma_f32 v[20:21], v[30:31], v[56:57], v[20:21] neg_lo:[0,0,1] neg_hi:[0,0,1]
	v_pk_mul_f32 v[22:23], v[30:31], v[56:57] op_sel:[1,0] op_sel_hi:[0,1]
	v_mov_b32_e32 v21, v22
	v_pk_mul_f32 v[26:27], v[36:37], v[54:55] op_sel:[1,0] op_sel_hi:[0,1]
	v_pk_fma_f32 v[22:23], v[30:31], v[56:57], v[20:21] op_sel:[1,0,0] op_sel_hi:[0,1,1]
	v_mov_b32_e32 v12, v55
	v_mov_b32_e32 v21, v26
	v_pk_mul_f32 v[24:25], v[36:37], v[12:13] op_sel:[1,0] op_sel_hi:[0,1]
	v_pk_fma_f32 v[26:27], v[36:37], v[54:55], v[20:21] op_sel:[1,0,0] op_sel_hi:[0,1,1]
	v_mov_b32_e32 v21, v23
	v_pk_fma_f32 v[24:25], v[36:37], v[54:55], v[24:25] neg_lo:[0,0,1] neg_hi:[0,0,1]
	v_pk_add_f32 v[18:19], v[18:19], v[20:21]
	v_pk_mul_f32 v[20:21], v[50:51], v[64:65] op_sel:[1,1] op_sel_hi:[0,1]
	v_mov_b32_e32 v25, v27
	v_pk_mul_f32 v[22:23], v[48:49], v[8:9] op_sel:[0,1]
	v_pk_fma_f32 v[28:29], v[50:51], v[64:65], v[20:21] neg_lo:[0,0,1] neg_hi:[0,0,1]
	v_pk_fma_f32 v[20:21], v[50:51], v[64:65], v[20:21] op_sel_hi:[1,0,1]
	v_pk_add_f32 v[18:19], v[18:19], v[24:25]
	v_mov_b32_e32 v12, v11
	v_mov_b32_e32 v29, v21
	v_pk_fma_f32 v[20:21], v[48:49], v[8:9], v[22:23] op_sel:[0,0,1] op_sel_hi:[1,1,0] neg_lo:[0,0,1] neg_hi:[0,0,1]
	v_pk_fma_f32 v[8:9], v[48:49], v[8:9], v[22:23] op_sel:[0,0,1] op_sel_hi:[1,0,0]
	v_pk_mul_f32 v[24:25], v[44:45], v[12:13] op_sel_hi:[1,0]
	v_pk_add_f32 v[18:19], v[18:19], v[28:29]
	v_mov_b32_e32 v21, v9
	v_pk_add_f32 v[8:9], v[18:19], v[20:21]
	v_pk_fma_f32 v[18:19], v[44:45], v[10:11], v[24:25] op_sel:[0,0,1] op_sel_hi:[1,1,0] neg_lo:[0,0,1] neg_hi:[0,0,1]
	v_pk_fma_f32 v[10:11], v[44:45], v[10:11], v[24:25] op_sel:[0,0,1] op_sel_hi:[1,0,0]
	v_pk_mul_f32 v[26:27], v[46:47], v[66:67] op_sel:[0,1]
	v_mov_b32_e32 v19, v11
	v_pk_add_f32 v[8:9], v[8:9], v[18:19]
	v_pk_fma_f32 v[10:11], v[46:47], v[66:67], v[26:27] op_sel:[0,0,1] op_sel_hi:[1,1,0] neg_lo:[0,0,1] neg_hi:[0,0,1]
	v_pk_fma_f32 v[18:19], v[46:47], v[66:67], v[26:27] op_sel:[0,0,1] op_sel_hi:[1,0,0]
	v_mov_b32_e32 v11, v19
	v_pk_add_f32 v[8:9], v[8:9], v[10:11]
	v_pk_mul_f32 v[10:11], v[70:71], v[0:1] op_sel:[0,1]
	v_pk_mul_f32 v[18:19], v[68:69], v[6:7] op_sel:[0,1]
	v_pk_fma_f32 v[24:25], v[70:71], v[0:1], v[10:11] op_sel:[0,0,1] op_sel_hi:[1,1,0] neg_lo:[0,0,1] neg_hi:[0,0,1]
	v_pk_fma_f32 v[0:1], v[70:71], v[0:1], v[10:11] op_sel:[0,0,1] op_sel_hi:[1,0,0]
	v_pk_mul_f32 v[20:21], v[60:61], v[4:5] op_sel:[0,1]
	v_mov_b32_e32 v25, v1
	v_pk_fma_f32 v[0:1], v[68:69], v[6:7], v[18:19] op_sel:[0,0,1] op_sel_hi:[1,1,0] neg_lo:[0,0,1] neg_hi:[0,0,1]
	v_pk_fma_f32 v[6:7], v[68:69], v[6:7], v[18:19] op_sel:[0,0,1] op_sel_hi:[1,0,0]
	v_pk_mul_f32 v[22:23], v[62:63], v[2:3] op_sel:[0,1]
	v_mov_b32_e32 v1, v7
	v_pk_fma_f32 v[6:7], v[60:61], v[4:5], v[20:21] op_sel:[0,0,1] op_sel_hi:[1,1,0] neg_lo:[0,0,1] neg_hi:[0,0,1]
	v_pk_fma_f32 v[4:5], v[60:61], v[4:5], v[20:21] op_sel:[0,0,1] op_sel_hi:[1,0,0]
	v_mov_b32_e32 v7, v5
	v_pk_fma_f32 v[4:5], v[62:63], v[2:3], v[22:23] op_sel:[0,0,1] op_sel_hi:[1,1,0] neg_lo:[0,0,1] neg_hi:[0,0,1]
	v_pk_fma_f32 v[2:3], v[62:63], v[2:3], v[22:23] op_sel:[0,0,1] op_sel_hi:[1,0,0]
	v_mov_b32_e32 v5, v3
	v_pk_add_f32 v[2:3], v[8:9], v[24:25]
	v_pk_add_f32 v[0:1], v[2:3], v[0:1]
	;; [unrolled: 1-line block ×4, first 2 shown]
	v_mov_b32_e32 v0, s13
	s_add_i32 s20, s20, 64
	s_add_i32 s6, s6, -1
	v_add_co_u32_e64 v14, s[8:9], s12, v14
	s_cmp_eq_u32 s6, 0
	v_addc_co_u32_e64 v15, s[8:9], v15, v0, s[8:9]
	s_barrier
	s_cbranch_scc1 .LBB8_127
.LBB8_123:                              ; =>This Inner Loop Header: Depth=1
	s_and_saveexec_b64 s[18:19], s[2:3]
	s_cbranch_execz .LBB8_125
; %bb.124:                              ;   in Loop: Header=BB8_123 Depth=1
	s_mul_i32 s8, s20, s37
	s_mul_hi_u32 s9, s20, s36
	s_add_i32 s9, s9, s8
	s_mul_i32 s8, s20, s36
	s_lshl_b64 s[8:9], s[8:9], 3
	v_mov_b32_e32 v1, s9
	v_add_co_u32_e64 v0, s[8:9], s8, v74
	v_addc_co_u32_e64 v1, s[8:9], v75, v1, s[8:9]
	global_load_dwordx2 v[0:1], v[0:1], off
	s_waitcnt vmcnt(0)
	ds_write_b64 v76, v[0:1]
.LBB8_125:                              ;   in Loop: Header=BB8_123 Depth=1
	s_or_b64 exec, exec, s[18:19]
	v_add_co_u32_e64 v0, s[8:9], s10, v14
	v_addc_co_u32_e64 v1, s[8:9], v15, v85, s[8:9]
	v_add_co_u32_e64 v2, s[8:9], s14, v14
	s_waitcnt lgkmcnt(0)
	s_barrier
	global_load_dwordx2 v[20:21], v[14:15], off
	v_addc_co_u32_e64 v3, s[8:9], v15, v86, s[8:9]
	global_load_dwordx2 v[22:23], v[0:1], off
	global_load_dwordx2 v[24:25], v[2:3], off
	v_add_co_u32_e64 v0, s[8:9], s24, v14
	v_addc_co_u32_e64 v1, s[8:9], v15, v87, s[8:9]
	global_load_dwordx2 v[26:27], v[0:1], off
	ds_read_b64 v[0:1], v77
	ds_read_b64 v[28:29], v81
	v_add_co_u32_e64 v8, s[8:9], s16, v14
	v_addc_co_u32_e64 v9, s[8:9], v15, v88, s[8:9]
	v_add_co_u32_e64 v10, s[8:9], s38, v14
	v_addc_co_u32_e64 v11, s[8:9], v15, v89, s[8:9]
	;; [unrolled: 2-line block ×3, first 2 shown]
	s_waitcnt vmcnt(3) lgkmcnt(1)
	v_mul_f32_e32 v2, v21, v1
	v_mul_f32_e32 v3, v21, v0
	v_fmac_f32_e32 v2, v20, v0
	v_fma_f32 v3, v20, v1, -v3
	s_waitcnt vmcnt(2)
	v_mul_f32_e32 v4, v23, v1
	v_mul_f32_e32 v5, v23, v0
	s_waitcnt vmcnt(1)
	v_mul_f32_e32 v6, v25, v1
	v_mul_f32_e32 v7, v25, v0
	ds_write_b64 v82, v[2:3]
	v_fmac_f32_e32 v4, v22, v0
	v_fma_f32 v5, v22, v1, -v5
	s_waitcnt vmcnt(0)
	v_mul_f32_e32 v30, v27, v1
	v_mul_f32_e32 v12, v27, v0
	v_fmac_f32_e32 v6, v24, v0
	v_fma_f32 v7, v24, v1, -v7
	ds_read_b64 v[42:43], v81 offset:8
	ds_write_b64 v82, v[4:5] offset:536
	v_fmac_f32_e32 v30, v26, v0
	v_fma_f32 v31, v26, v1, -v12
	ds_read_b64 v[38:39], v81 offset:16
	ds_write_b64 v82, v[6:7] offset:1072
	ds_read_b64 v[34:35], v81 offset:24
	ds_write_b64 v82, v[30:31] offset:1608
	s_waitcnt lgkmcnt(0)
	s_barrier
	ds_read2_b64 v[4:7], v80 offset1:1
	ds_read2_b64 v[0:3], v80 offset0:2 offset1:3
	s_waitcnt lgkmcnt(0)
	s_barrier
	global_load_dwordx2 v[40:41], v[8:9], off
	global_load_dwordx2 v[32:33], v[10:11], off
	global_load_dwordx2 v[30:31], v[36:37], off
	v_add_co_u32_e64 v8, s[8:9], s26, v14
	v_addc_co_u32_e64 v9, s[8:9], v15, v91, s[8:9]
	global_load_dwordx2 v[36:37], v[8:9], off
	ds_read_b64 v[44:45], v77
	ds_read_b64 v[52:53], v81 offset:128
	v_add_co_u32_e64 v8, s[8:9], s22, v14
	v_addc_co_u32_e64 v9, s[8:9], v15, v92, s[8:9]
	v_add_co_u32_e64 v10, s[8:9], s35, v14
	v_addc_co_u32_e64 v11, s[8:9], v15, v93, s[8:9]
	;; [unrolled: 2-line block ×3, first 2 shown]
	v_pk_add_f32 v[4:5], v[4:5], 0 op_sel_hi:[1,0]
	v_pk_add_f32 v[4:5], v[4:5], v[6:7]
	v_pk_add_f32 v[0:1], v[4:5], v[0:1]
	s_waitcnt vmcnt(3) lgkmcnt(1)
	v_mul_f32_e32 v48, v41, v45
	v_mul_f32_e32 v12, v41, v44
	s_waitcnt vmcnt(2)
	v_mul_f32_e32 v50, v33, v45
	v_mul_f32_e32 v51, v33, v44
	v_fmac_f32_e32 v48, v40, v44
	v_fma_f32 v49, v40, v45, -v12
	s_waitcnt vmcnt(1)
	v_mul_f32_e32 v54, v31, v45
	v_mul_f32_e32 v55, v31, v44
	v_fmac_f32_e32 v50, v32, v44
	v_fma_f32 v51, v32, v45, -v51
	ds_write_b64 v82, v[48:49]
	s_waitcnt vmcnt(0)
	v_mul_f32_e32 v60, v37, v45
	v_mul_f32_e32 v56, v37, v44
	v_fmac_f32_e32 v54, v30, v44
	v_fma_f32 v55, v30, v45, -v55
	ds_read_b64 v[58:59], v81 offset:136
	ds_write_b64 v82, v[50:51] offset:536
	v_fmac_f32_e32 v60, v36, v44
	v_fma_f32 v61, v36, v45, -v56
	ds_read_b64 v[56:57], v81 offset:144
	ds_write_b64 v82, v[54:55] offset:1072
	ds_read_b64 v[54:55], v81 offset:152
	ds_write_b64 v82, v[60:61] offset:1608
	s_waitcnt lgkmcnt(0)
	s_barrier
	ds_read2_b64 v[100:103], v80 offset1:1
	ds_read2_b64 v[104:107], v80 offset0:2 offset1:3
	s_waitcnt lgkmcnt(0)
	s_barrier
	global_load_dwordx2 v[50:51], v[8:9], off
	global_load_dwordx2 v[48:49], v[10:11], off
	;; [unrolled: 1-line block ×3, first 2 shown]
	v_add_co_u32_e64 v8, s[8:9], s29, v14
	v_addc_co_u32_e64 v9, s[8:9], v15, v95, s[8:9]
	global_load_dwordx2 v[46:47], v[8:9], off
	ds_read_b64 v[8:9], v77
	ds_read_b64 v[64:65], v81 offset:256
	v_add_co_u32_e64 v62, s[8:9], s34, v14
	v_addc_co_u32_e64 v63, s[8:9], v15, v96, s[8:9]
	v_add_co_u32_e64 v116, s[8:9], s33, v14
	v_addc_co_u32_e64 v117, s[8:9], v15, v97, s[8:9]
	;; [unrolled: 2-line block ×3, first 2 shown]
	s_waitcnt vmcnt(3) lgkmcnt(1)
	v_mul_f32_e32 v10, v51, v9
	v_mul_f32_e32 v11, v51, v8
	s_waitcnt vmcnt(2)
	v_mul_f32_e32 v60, v49, v9
	v_mul_f32_e32 v12, v49, v8
	s_waitcnt vmcnt(1)
	v_mul_f32_e32 v66, v45, v8
	v_mul_f32_e32 v68, v45, v9
	v_fma_f32 v11, v50, v9, -v11
	s_waitcnt vmcnt(0)
	v_mul_f32_e32 v67, v47, v8
	v_mul_f32_e32 v70, v47, v9
	v_fmac_f32_e32 v10, v50, v8
	v_fma_f32 v61, v48, v9, -v12
	v_fma_f32 v69, v44, v9, -v66
	v_fmac_f32_e32 v60, v48, v8
	v_fmac_f32_e32 v68, v44, v8
	v_fma_f32 v71, v46, v9, -v67
	v_fmac_f32_e32 v70, v46, v8
	ds_write_b64 v82, v[10:11]
	ds_read_b64 v[66:67], v81 offset:280
	ds_read2_b64 v[8:11], v81 offset0:33 offset1:34
	ds_write2_b64 v82, v[60:61], v[68:69] offset0:67 offset1:134
	ds_write_b64 v82, v[70:71] offset:1608
	s_waitcnt lgkmcnt(0)
	s_barrier
	ds_read2_b64 v[108:111], v80 offset1:1
	ds_read2_b64 v[112:115], v80 offset0:2 offset1:3
	s_waitcnt lgkmcnt(0)
	s_barrier
	global_load_dwordx2 v[70:71], v[62:63], off
	global_load_dwordx2 v[68:69], v[116:117], off
	;; [unrolled: 1-line block ×3, first 2 shown]
	v_add_co_u32_e64 v62, s[8:9], s31, v14
	v_addc_co_u32_e64 v63, s[8:9], v15, v99, s[8:9]
	global_load_dwordx2 v[62:63], v[62:63], off
	v_pk_add_f32 v[116:117], v[0:1], v[2:3]
	v_pk_add_f32 v[0:1], v[100:101], 0 op_sel_hi:[1,0]
	v_pk_add_f32 v[0:1], v[0:1], v[102:103]
	v_pk_add_f32 v[0:1], v[0:1], v[104:105]
	;; [unrolled: 1-line block ×3, first 2 shown]
	ds_read_b64 v[2:3], v77
	ds_read_b64 v[0:1], v81 offset:384
	v_pk_add_f32 v[4:5], v[108:109], 0 op_sel_hi:[1,0]
	v_pk_add_f32 v[4:5], v[4:5], v[110:111]
	v_pk_add_f32 v[4:5], v[4:5], v[112:113]
	;; [unrolled: 1-line block ×3, first 2 shown]
	s_waitcnt vmcnt(3) lgkmcnt(1)
	v_mul_f32_e32 v5, v71, v2
	v_mul_f32_e32 v4, v71, v3
	s_waitcnt vmcnt(2)
	v_mul_f32_e32 v6, v69, v2
	v_mul_f32_e32 v100, v69, v3
	v_fma_f32 v5, v70, v3, -v5
	v_fmac_f32_e32 v4, v70, v2
	s_waitcnt vmcnt(1)
	v_mul_f32_e32 v7, v61, v2
	v_mul_f32_e32 v102, v61, v3
	v_fma_f32 v101, v68, v3, -v6
	v_fmac_f32_e32 v100, v68, v2
	ds_write_b64 v82, v[4:5]
	s_waitcnt vmcnt(0)
	v_mul_f32_e32 v12, v63, v2
	v_mul_f32_e32 v104, v63, v3
	v_fma_f32 v103, v60, v3, -v7
	v_fmac_f32_e32 v102, v60, v2
	ds_read_b64 v[6:7], v81 offset:392
	ds_write_b64 v82, v[100:101] offset:536
	v_fma_f32 v105, v62, v3, -v12
	v_fmac_f32_e32 v104, v62, v2
	ds_read_b64 v[4:5], v81 offset:400
	ds_write_b64 v82, v[102:103] offset:1072
	ds_read_b64 v[2:3], v81 offset:408
	ds_write_b64 v82, v[104:105] offset:1608
	s_waitcnt lgkmcnt(0)
	s_barrier
	ds_read2_b64 v[100:103], v80 offset1:1
	ds_read2_b64 v[104:107], v80 offset0:2 offset1:3
	s_waitcnt lgkmcnt(0)
	s_barrier
	v_pk_add_f32 v[100:101], v[100:101], 0 op_sel_hi:[1,0]
	v_pk_add_f32 v[100:101], v[100:101], v[102:103]
	v_pk_add_f32 v[100:101], v[100:101], v[104:105]
	;; [unrolled: 1-line block ×3, first 2 shown]
	ds_write2_b64 v83, v[116:117], v[118:119] offset1:16
	ds_write2_b64 v83, v[108:109], v[100:101] offset0:32 offset1:48
	s_waitcnt lgkmcnt(0)
	s_barrier
	s_and_saveexec_b64 s[18:19], s[4:5]
	s_cbranch_execz .LBB8_122
; %bb.126:                              ;   in Loop: Header=BB8_123 Depth=1
	ds_read_b64 v[108:109], v78
	ds_read2_b64 v[100:103], v78 offset0:1 offset1:2
	ds_read2_b64 v[104:107], v78 offset0:3 offset1:4
	s_waitcnt lgkmcnt(1)
	v_add_f32_e32 v12, v100, v108
	v_add_f32_e32 v100, v101, v109
	;; [unrolled: 1-line block ×4, first 2 shown]
	ds_read2_b64 v[100:103], v78 offset0:5 offset1:6
	s_waitcnt lgkmcnt(1)
	v_add_f32_e32 v12, v12, v104
	v_add_f32_e32 v104, v108, v105
	;; [unrolled: 1-line block ×4, first 2 shown]
	v_add_u32_e32 v12, s20, v84
	ds_read2_b64 v[104:107], v78 offset0:7 offset1:8
	v_lshlrev_b64 v[110:111], 3, v[12:13]
	v_mov_b32_e32 v12, s28
	v_add_co_u32_e64 v112, s[8:9], s7, v110
	v_addc_co_u32_e64 v113, s[8:9], v12, v111, s[8:9]
	s_waitcnt lgkmcnt(1)
	v_pk_add_f32 v[100:101], v[108:109], v[100:101]
	ds_read2_b64 v[108:111], v78 offset0:9 offset1:10
	v_pk_add_f32 v[100:101], v[100:101], v[102:103]
	s_waitcnt lgkmcnt(1)
	v_pk_add_f32 v[100:101], v[100:101], v[104:105]
	v_pk_add_f32 v[104:105], v[100:101], v[106:107]
	ds_read2_b64 v[100:103], v78 offset0:11 offset1:12
	s_waitcnt lgkmcnt(1)
	v_pk_add_f32 v[108:109], v[104:105], v[108:109]
	ds_read2_b64 v[104:107], v78 offset0:13 offset1:14
	v_pk_add_f32 v[108:109], v[108:109], v[110:111]
	ds_read_b64 v[110:111], v79
	s_waitcnt lgkmcnt(2)
	v_pk_add_f32 v[100:101], v[108:109], v[100:101]
	v_pk_add_f32 v[100:101], v[100:101], v[102:103]
	s_waitcnt lgkmcnt(1)
	v_pk_add_f32 v[100:101], v[100:101], v[104:105]
	v_pk_add_f32 v[100:101], v[100:101], v[106:107]
	s_waitcnt lgkmcnt(0)
	v_pk_add_f32 v[100:101], v[100:101], v[110:111]
	global_store_dwordx2 v[112:113], v[100:101], off
	s_branch .LBB8_122
.LBB8_127:
	s_movk_i32 s2, 0x218
	s_or_b64 s[0:1], s[0:1], vcc
	v_mad_u32_u24 v0, v72, s2, v73
	s_xor_b64 s[0:1], s[0:1], -1
	ds_write_b64 v0, v[18:19]
	s_waitcnt lgkmcnt(0)
	s_barrier
	s_and_saveexec_b64 s[2:3], s[0:1]
	s_cbranch_execz .LBB8_129
; %bb.128:
	ds_read2_b64 v[0:3], v73 offset1:67
	ds_read2_b64 v[4:7], v73 offset0:134 offset1:201
	v_lshlrev_b64 v[8:9], 3, v[16:17]
	v_mov_b32_e32 v10, s28
	v_add_co_u32_e32 v8, vcc, s7, v8
	s_waitcnt lgkmcnt(1)
	v_pk_add_f32 v[0:1], v[2:3], v[0:1]
	s_waitcnt lgkmcnt(0)
	v_pk_add_f32 v[0:1], v[0:1], v[4:5]
	v_addc_co_u32_e32 v9, vcc, v10, v9, vcc
	v_pk_add_f32 v[0:1], v[0:1], v[6:7]
	global_store_dwordx2 v[8:9], v[0:1], off
.LBB8_129:
	s_endpgm
	.section	.rodata,"a",@progbits
	.p2align	6, 0x0
	.amdhsa_kernel _ZL26rocblas_hemvn_kernel_lowerILb1ELi64ELi4ELi33ELi32ELi16ElPK19rocblas_complex_numIfES3_PS1_EviT6_lT7_lT5_lS6_lS7_lS5_lT8_i
		.amdhsa_group_segment_fixed_size 9600
		.amdhsa_private_segment_fixed_size 0
		.amdhsa_kernarg_size 376
		.amdhsa_user_sgpr_count 6
		.amdhsa_user_sgpr_private_segment_buffer 1
		.amdhsa_user_sgpr_dispatch_ptr 0
		.amdhsa_user_sgpr_queue_ptr 0
		.amdhsa_user_sgpr_kernarg_segment_ptr 1
		.amdhsa_user_sgpr_dispatch_id 0
		.amdhsa_user_sgpr_flat_scratch_init 0
		.amdhsa_user_sgpr_kernarg_preload_length 0
		.amdhsa_user_sgpr_kernarg_preload_offset 0
		.amdhsa_user_sgpr_private_segment_size 0
		.amdhsa_uses_dynamic_stack 0
		.amdhsa_system_sgpr_private_segment_wavefront_offset 0
		.amdhsa_system_sgpr_workgroup_id_x 1
		.amdhsa_system_sgpr_workgroup_id_y 0
		.amdhsa_system_sgpr_workgroup_id_z 1
		.amdhsa_system_sgpr_workgroup_info 0
		.amdhsa_system_vgpr_workitem_id 1
		.amdhsa_next_free_vgpr 120
		.amdhsa_next_free_sgpr 46
		.amdhsa_accum_offset 120
		.amdhsa_reserve_vcc 1
		.amdhsa_reserve_flat_scratch 0
		.amdhsa_float_round_mode_32 0
		.amdhsa_float_round_mode_16_64 0
		.amdhsa_float_denorm_mode_32 3
		.amdhsa_float_denorm_mode_16_64 3
		.amdhsa_dx10_clamp 1
		.amdhsa_ieee_mode 1
		.amdhsa_fp16_overflow 0
		.amdhsa_tg_split 0
		.amdhsa_exception_fp_ieee_invalid_op 0
		.amdhsa_exception_fp_denorm_src 0
		.amdhsa_exception_fp_ieee_div_zero 0
		.amdhsa_exception_fp_ieee_overflow 0
		.amdhsa_exception_fp_ieee_underflow 0
		.amdhsa_exception_fp_ieee_inexact 0
		.amdhsa_exception_int_div_zero 0
	.end_amdhsa_kernel
	.section	.text._ZL26rocblas_hemvn_kernel_lowerILb1ELi64ELi4ELi33ELi32ELi16ElPK19rocblas_complex_numIfES3_PS1_EviT6_lT7_lT5_lS6_lS7_lS5_lT8_i,"axG",@progbits,_ZL26rocblas_hemvn_kernel_lowerILb1ELi64ELi4ELi33ELi32ELi16ElPK19rocblas_complex_numIfES3_PS1_EviT6_lT7_lT5_lS6_lS7_lS5_lT8_i,comdat
.Lfunc_end8:
	.size	_ZL26rocblas_hemvn_kernel_lowerILb1ELi64ELi4ELi33ELi32ELi16ElPK19rocblas_complex_numIfES3_PS1_EviT6_lT7_lT5_lS6_lS7_lS5_lT8_i, .Lfunc_end8-_ZL26rocblas_hemvn_kernel_lowerILb1ELi64ELi4ELi33ELi32ELi16ElPK19rocblas_complex_numIfES3_PS1_EviT6_lT7_lT5_lS6_lS7_lS5_lT8_i
                                        ; -- End function
	.section	.AMDGPU.csdata,"",@progbits
; Kernel info:
; codeLenInByte = 8376
; NumSgprs: 50
; NumVgprs: 120
; NumAgprs: 0
; TotalNumVgprs: 120
; ScratchSize: 0
; MemoryBound: 1
; FloatMode: 240
; IeeeMode: 1
; LDSByteSize: 9600 bytes/workgroup (compile time only)
; SGPRBlocks: 6
; VGPRBlocks: 14
; NumSGPRsForWavesPerEU: 50
; NumVGPRsForWavesPerEU: 120
; AccumOffset: 120
; Occupancy: 4
; WaveLimiterHint : 0
; COMPUTE_PGM_RSRC2:SCRATCH_EN: 0
; COMPUTE_PGM_RSRC2:USER_SGPR: 6
; COMPUTE_PGM_RSRC2:TRAP_HANDLER: 0
; COMPUTE_PGM_RSRC2:TGID_X_EN: 1
; COMPUTE_PGM_RSRC2:TGID_Y_EN: 0
; COMPUTE_PGM_RSRC2:TGID_Z_EN: 1
; COMPUTE_PGM_RSRC2:TIDIG_COMP_CNT: 1
; COMPUTE_PGM_RSRC3_GFX90A:ACCUM_OFFSET: 29
; COMPUTE_PGM_RSRC3_GFX90A:TG_SPLIT: 0
	.section	.text._ZL36rocblas_hemvn_kernel_lower_block_sumILi64ElPK19rocblas_complex_numIfEPS1_S1_EviT1_lS5_lT2_lT0_lPT3_i,"axG",@progbits,_ZL36rocblas_hemvn_kernel_lower_block_sumILi64ElPK19rocblas_complex_numIfEPS1_S1_EviT1_lS5_lT2_lT0_lPT3_i,comdat
	.globl	_ZL36rocblas_hemvn_kernel_lower_block_sumILi64ElPK19rocblas_complex_numIfEPS1_S1_EviT1_lS5_lT2_lT0_lPT3_i ; -- Begin function _ZL36rocblas_hemvn_kernel_lower_block_sumILi64ElPK19rocblas_complex_numIfEPS1_S1_EviT1_lS5_lT2_lT0_lPT3_i
	.p2align	8
	.type	_ZL36rocblas_hemvn_kernel_lower_block_sumILi64ElPK19rocblas_complex_numIfEPS1_S1_EviT1_lS5_lT2_lT0_lPT3_i,@function
_ZL36rocblas_hemvn_kernel_lower_block_sumILi64ElPK19rocblas_complex_numIfEPS1_S1_EviT1_lS5_lT2_lT0_lPT3_i: ; @_ZL36rocblas_hemvn_kernel_lower_block_sumILi64ElPK19rocblas_complex_numIfEPS1_S1_EviT1_lS5_lT2_lT0_lPT3_i
; %bb.0:
	s_load_dwordx8 s[8:15], s[4:5], 0x8
	s_waitcnt lgkmcnt(0)
	s_mul_i32 s0, s7, s11
	s_mul_hi_u32 s1, s7, s10
	s_add_i32 s1, s1, s0
	s_mul_i32 s0, s7, s10
	s_lshl_b64 s[0:1], s[0:1], 3
	s_add_u32 s0, s8, s0
	s_mul_i32 s2, s7, s15
	s_mul_hi_u32 s3, s7, s14
	s_addc_u32 s1, s9, s1
	s_add_i32 s3, s3, s2
	s_mul_i32 s2, s7, s14
	s_load_dwordx2 s[8:9], s[0:1], 0x0
	s_lshl_b64 s[0:1], s[2:3], 3
	s_add_u32 s0, s12, s0
	s_addc_u32 s1, s13, s1
	s_load_dwordx2 s[10:11], s[0:1], 0x0
	s_waitcnt lgkmcnt(0)
	s_or_b32 s0, s8, s9
	s_bitset0_b32 s0, 31
	s_cmp_eq_u32 s0, 0
	s_cselect_b64 s[14:15], -1, 0
	v_cmp_eq_f32_e64 s[0:1], s10, 1.0
	v_cmp_eq_f32_e64 s[2:3], s11, 0
	s_and_b64 s[0:1], s[0:1], s[2:3]
	s_and_b64 s[0:1], s[14:15], s[0:1]
	s_and_b64 vcc, exec, s[0:1]
	s_cbranch_vccnz .LBB9_17
; %bb.1:
	s_load_dwordx2 s[16:17], s[4:5], 0x40
	s_load_dwordx4 s[0:3], s[4:5], 0x30
	s_load_dwordx2 s[18:19], s[4:5], 0x28
	s_load_dword s12, s[4:5], 0x0
	v_lshl_or_b32 v8, s6, 6, v0
	s_waitcnt lgkmcnt(0)
	s_mul_i32 s13, s7, s17
	s_mul_hi_u32 s17, s7, s16
	s_add_i32 s17, s17, s13
	s_mul_i32 s16, s7, s16
	s_lshl_b64 s[16:17], s[16:17], 3
	s_add_u32 s13, s18, s16
	s_addc_u32 s16, s19, s17
	s_lshl_b64 s[0:1], s[0:1], 3
	s_add_u32 s18, s13, s0
	s_addc_u32 s19, s16, s1
	s_mov_b64 s[16:17], -1
	s_andn2_b64 vcc, exec, s[14:15]
	v_cmp_gt_i32_e64 s[0:1], s12, v8
	s_cbranch_vccnz .LBB9_7
; %bb.2:
	s_and_saveexec_b64 s[14:15], s[0:1]
	s_cbranch_execz .LBB9_6
; %bb.3:
	v_ashrrev_i32_e32 v0, 31, v8
	v_cmp_neq_f32_e64 s[0:1], s10, 0
	v_cmp_neq_f32_e64 s[16:17], s11, 0
	v_mul_lo_u32 v2, v8, s3
	v_mul_lo_u32 v3, v0, s2
	v_mad_u64_u32 v[0:1], s[20:21], v8, s2, 0
	v_add3_u32 v1, v1, v2, v3
	s_or_b64 s[0:1], s[0:1], s[16:17]
	s_andn2_b64 vcc, exec, s[0:1]
	v_mov_b32_e32 v2, 0
	v_lshlrev_b64 v[0:1], 3, v[0:1]
	v_mov_b32_e32 v3, 0
	s_cbranch_vccnz .LBB9_5
; %bb.4:
	v_mov_b32_e32 v3, s19
	v_add_co_u32_e32 v2, vcc, s18, v0
	v_addc_co_u32_e32 v3, vcc, v3, v1, vcc
	global_load_dwordx2 v[4:5], v[2:3], off
	s_waitcnt vmcnt(0)
	v_pk_mul_f32 v[6:7], v[4:5], s[10:11] op_sel:[1,0]
	v_pk_fma_f32 v[2:3], v[4:5], s[10:11], v[6:7] op_sel:[0,0,1] op_sel_hi:[1,1,0] neg_lo:[0,0,1] neg_hi:[0,0,1]
	v_pk_fma_f32 v[4:5], v[4:5], s[10:11], v[6:7] op_sel:[0,0,1] op_sel_hi:[0,1,0]
	v_mov_b32_e32 v3, v5
.LBB9_5:
	v_mov_b32_e32 v4, s19
	v_add_co_u32_e32 v0, vcc, s18, v0
	v_addc_co_u32_e32 v1, vcc, v4, v1, vcc
	global_store_dwordx2 v[0:1], v[2:3], off
.LBB9_6:
	s_or_b64 exec, exec, s[14:15]
	s_mov_b64 s[16:17], 0
.LBB9_7:
	s_andn2_b64 vcc, exec, s[16:17]
	s_cbranch_vccnz .LBB9_17
; %bb.8:
	v_cmp_gt_i32_e32 vcc, s12, v8
	s_and_saveexec_b64 s[0:1], vcc
	s_cbranch_execz .LBB9_17
; %bb.9:
	s_load_dword s14, s[4:5], 0x58
	v_mov_b32_e32 v1, 0
	v_mov_b32_e32 v0, v1
	s_waitcnt lgkmcnt(0)
	s_cmp_ge_i32 s6, s14
	s_cbranch_scc1 .LBB9_12
; %bb.10:
	s_load_dwordx2 s[0:1], s[4:5], 0x48
	s_ashr_i32 s13, s12, 31
	s_mul_i32 s4, s6, s12
	v_add_u32_e32 v0, s4, v8
	s_mul_hi_u32 s4, s12, s7
	s_mul_i32 s5, s13, s7
	s_add_i32 s4, s4, s5
	s_mul_i32 s7, s12, s7
	s_mul_i32 s4, s4, s14
	s_mul_hi_u32 s5, s7, s14
	s_add_i32 s5, s5, s4
	s_mul_i32 s4, s7, s14
	s_lshl_b64 s[4:5], s[4:5], 3
	v_ashrrev_i32_e32 v1, 31, v0
	s_waitcnt lgkmcnt(0)
	s_add_u32 s0, s0, s4
	v_lshlrev_b64 v[0:1], 3, v[0:1]
	s_addc_u32 s1, s1, s5
	v_mov_b32_e32 v3, s1
	v_add_co_u32_e32 v2, vcc, s0, v0
	s_lshl_b64 s[0:1], s[12:13], 3
	v_mov_b32_e32 v0, 0
	v_addc_co_u32_e32 v3, vcc, v3, v1, vcc
	v_mov_b32_e32 v4, s1
	v_mov_b32_e32 v1, v0
.LBB9_11:                               ; =>This Inner Loop Header: Depth=1
	global_load_dwordx2 v[6:7], v[2:3], off
	s_add_i32 s6, s6, 1
	v_add_co_u32_e32 v2, vcc, s0, v2
	v_addc_co_u32_e32 v3, vcc, v3, v4, vcc
	s_cmp_ge_i32 s6, s14
	s_waitcnt vmcnt(0)
	v_pk_add_f32 v[0:1], v[0:1], v[6:7]
	s_cbranch_scc0 .LBB9_11
.LBB9_12:
	v_cmp_neq_f32_e64 s[0:1], s10, 0
	v_cmp_neq_f32_e64 s[4:5], s11, 0
	s_or_b64 s[0:1], s[0:1], s[4:5]
	v_pk_mul_f32 v[6:7], v[0:1], s[8:9] op_sel:[1,0]
	v_ashrrev_i32_e32 v4, 31, v8
	s_andn2_b64 vcc, exec, s[0:1]
	v_pk_fma_f32 v[2:3], v[0:1], s[8:9], v[6:7] op_sel:[0,0,1] op_sel_hi:[0,1,0]
	v_mul_lo_u32 v9, v8, s3
	v_mul_lo_u32 v10, v4, s2
	s_cbranch_vccz .LBB9_14
; %bb.13:
	v_pk_mul_f32 v[12:13], v[0:1], s[8:9] op_sel_hi:[0,1]
	v_mad_u64_u32 v[4:5], s[0:1], v8, s2, 0
	v_add3_u32 v5, v5, v9, v10
	v_sub_f32_e32 v2, v12, v7
	s_cbranch_execz .LBB9_15
	s_branch .LBB9_16
.LBB9_14:
                                        ; implicit-def: $vgpr4_vgpr5
.LBB9_15:
	v_mad_u64_u32 v[4:5], s[0:1], v8, s2, 0
	v_add3_u32 v5, v5, v9, v10
	v_lshlrev_b64 v[8:9], 3, v[4:5]
	v_mov_b32_e32 v2, s19
	v_add_co_u32_e32 v8, vcc, s18, v8
	v_addc_co_u32_e32 v9, vcc, v2, v9, vcc
	global_load_dwordx2 v[8:9], v[8:9], off
	v_pk_fma_f32 v[0:1], v[0:1], s[8:9], v[6:7] op_sel:[0,0,1] op_sel_hi:[1,1,0] neg_lo:[0,0,1] neg_hi:[0,0,1]
	v_mov_b32_e32 v1, v3
	s_waitcnt vmcnt(0)
	v_pk_mul_f32 v[6:7], v[8:9], s[10:11] op_sel:[1,0]
	v_pk_fma_f32 v[10:11], v[8:9], s[10:11], v[6:7] op_sel:[0,0,1] op_sel_hi:[1,1,0] neg_lo:[0,0,1] neg_hi:[0,0,1]
	v_pk_fma_f32 v[6:7], v[8:9], s[10:11], v[6:7] op_sel:[0,0,1] op_sel_hi:[0,1,0]
	v_mov_b32_e32 v11, v7
	v_pk_add_f32 v[2:3], v[0:1], v[10:11]
.LBB9_16:
	v_lshlrev_b64 v[0:1], 3, v[4:5]
	v_mov_b32_e32 v4, s19
	v_add_co_u32_e32 v0, vcc, s18, v0
	v_addc_co_u32_e32 v1, vcc, v4, v1, vcc
	global_store_dwordx2 v[0:1], v[2:3], off
.LBB9_17:
	s_endpgm
	.section	.rodata,"a",@progbits
	.p2align	6, 0x0
	.amdhsa_kernel _ZL36rocblas_hemvn_kernel_lower_block_sumILi64ElPK19rocblas_complex_numIfEPS1_S1_EviT1_lS5_lT2_lT0_lPT3_i
		.amdhsa_group_segment_fixed_size 0
		.amdhsa_private_segment_fixed_size 0
		.amdhsa_kernarg_size 344
		.amdhsa_user_sgpr_count 6
		.amdhsa_user_sgpr_private_segment_buffer 1
		.amdhsa_user_sgpr_dispatch_ptr 0
		.amdhsa_user_sgpr_queue_ptr 0
		.amdhsa_user_sgpr_kernarg_segment_ptr 1
		.amdhsa_user_sgpr_dispatch_id 0
		.amdhsa_user_sgpr_flat_scratch_init 0
		.amdhsa_user_sgpr_kernarg_preload_length 0
		.amdhsa_user_sgpr_kernarg_preload_offset 0
		.amdhsa_user_sgpr_private_segment_size 0
		.amdhsa_uses_dynamic_stack 0
		.amdhsa_system_sgpr_private_segment_wavefront_offset 0
		.amdhsa_system_sgpr_workgroup_id_x 1
		.amdhsa_system_sgpr_workgroup_id_y 0
		.amdhsa_system_sgpr_workgroup_id_z 1
		.amdhsa_system_sgpr_workgroup_info 0
		.amdhsa_system_vgpr_workitem_id 0
		.amdhsa_next_free_vgpr 14
		.amdhsa_next_free_sgpr 22
		.amdhsa_accum_offset 16
		.amdhsa_reserve_vcc 1
		.amdhsa_reserve_flat_scratch 0
		.amdhsa_float_round_mode_32 0
		.amdhsa_float_round_mode_16_64 0
		.amdhsa_float_denorm_mode_32 3
		.amdhsa_float_denorm_mode_16_64 3
		.amdhsa_dx10_clamp 1
		.amdhsa_ieee_mode 1
		.amdhsa_fp16_overflow 0
		.amdhsa_tg_split 0
		.amdhsa_exception_fp_ieee_invalid_op 0
		.amdhsa_exception_fp_denorm_src 0
		.amdhsa_exception_fp_ieee_div_zero 0
		.amdhsa_exception_fp_ieee_overflow 0
		.amdhsa_exception_fp_ieee_underflow 0
		.amdhsa_exception_fp_ieee_inexact 0
		.amdhsa_exception_int_div_zero 0
	.end_amdhsa_kernel
	.section	.text._ZL36rocblas_hemvn_kernel_lower_block_sumILi64ElPK19rocblas_complex_numIfEPS1_S1_EviT1_lS5_lT2_lT0_lPT3_i,"axG",@progbits,_ZL36rocblas_hemvn_kernel_lower_block_sumILi64ElPK19rocblas_complex_numIfEPS1_S1_EviT1_lS5_lT2_lT0_lPT3_i,comdat
.Lfunc_end9:
	.size	_ZL36rocblas_hemvn_kernel_lower_block_sumILi64ElPK19rocblas_complex_numIfEPS1_S1_EviT1_lS5_lT2_lT0_lPT3_i, .Lfunc_end9-_ZL36rocblas_hemvn_kernel_lower_block_sumILi64ElPK19rocblas_complex_numIfEPS1_S1_EviT1_lS5_lT2_lT0_lPT3_i
                                        ; -- End function
	.section	.AMDGPU.csdata,"",@progbits
; Kernel info:
; codeLenInByte = 832
; NumSgprs: 26
; NumVgprs: 14
; NumAgprs: 0
; TotalNumVgprs: 14
; ScratchSize: 0
; MemoryBound: 0
; FloatMode: 240
; IeeeMode: 1
; LDSByteSize: 0 bytes/workgroup (compile time only)
; SGPRBlocks: 3
; VGPRBlocks: 1
; NumSGPRsForWavesPerEU: 26
; NumVGPRsForWavesPerEU: 14
; AccumOffset: 16
; Occupancy: 8
; WaveLimiterHint : 0
; COMPUTE_PGM_RSRC2:SCRATCH_EN: 0
; COMPUTE_PGM_RSRC2:USER_SGPR: 6
; COMPUTE_PGM_RSRC2:TRAP_HANDLER: 0
; COMPUTE_PGM_RSRC2:TGID_X_EN: 1
; COMPUTE_PGM_RSRC2:TGID_Y_EN: 0
; COMPUTE_PGM_RSRC2:TGID_Z_EN: 1
; COMPUTE_PGM_RSRC2:TIDIG_COMP_CNT: 0
; COMPUTE_PGM_RSRC3_GFX90A:ACCUM_OFFSET: 3
; COMPUTE_PGM_RSRC3_GFX90A:TG_SPLIT: 0
	.section	.text._ZL26rocblas_hemvn_kernel_lowerILb1ELi64ELi4ELi33ELi32ELi16EiPK19rocblas_complex_numIfES3_PS1_EviT6_lT7_lT5_lS6_lS7_lS5_lT8_i,"axG",@progbits,_ZL26rocblas_hemvn_kernel_lowerILb1ELi64ELi4ELi33ELi32ELi16EiPK19rocblas_complex_numIfES3_PS1_EviT6_lT7_lT5_lS6_lS7_lS5_lT8_i,comdat
	.globl	_ZL26rocblas_hemvn_kernel_lowerILb1ELi64ELi4ELi33ELi32ELi16EiPK19rocblas_complex_numIfES3_PS1_EviT6_lT7_lT5_lS6_lS7_lS5_lT8_i ; -- Begin function _ZL26rocblas_hemvn_kernel_lowerILb1ELi64ELi4ELi33ELi32ELi16EiPK19rocblas_complex_numIfES3_PS1_EviT6_lT7_lT5_lS6_lS7_lS5_lT8_i
	.p2align	8
	.type	_ZL26rocblas_hemvn_kernel_lowerILb1ELi64ELi4ELi33ELi32ELi16EiPK19rocblas_complex_numIfES3_PS1_EviT6_lT7_lT5_lS6_lS7_lS5_lT8_i,@function
_ZL26rocblas_hemvn_kernel_lowerILb1ELi64ELi4ELi33ELi32ELi16EiPK19rocblas_complex_numIfES3_PS1_EviT6_lT7_lT5_lS6_lS7_lS5_lT8_i: ; @_ZL26rocblas_hemvn_kernel_lowerILb1ELi64ELi4ELi33ELi32ELi16EiPK19rocblas_complex_numIfES3_PS1_EviT6_lT7_lT5_lS6_lS7_lS5_lT8_i
; %bb.0:
	s_load_dwordx2 s[2:3], s[4:5], 0x84
	s_add_u32 s0, s4, 0x78
	s_addc_u32 s1, s5, 0
	s_waitcnt lgkmcnt(0)
	s_lshr_b32 s8, s2, 16
	s_and_b32 s2, s2, 0xffff
	s_and_b32 s3, s3, 0xffff
	s_mul_i32 s2, s8, s2
	s_mul_i32 s2, s2, s3
	s_cmpk_lg_i32 s2, 0x100
	s_cbranch_scc1 .LBB10_129
; %bb.1:
	s_load_dwordx8 s[8:15], s[4:5], 0x8
	s_waitcnt lgkmcnt(0)
	s_mul_i32 s3, s7, s11
	s_mul_hi_u32 s11, s7, s10
	s_mul_i32 s2, s7, s10
	s_add_i32 s3, s11, s3
	s_lshl_b64 s[2:3], s[2:3], 3
	s_add_u32 s2, s8, s2
	s_addc_u32 s3, s9, s3
	s_load_dwordx2 s[8:9], s[2:3], 0x0
	s_load_dwordx8 s[16:23], s[4:5], 0x50
	s_waitcnt lgkmcnt(0)
	s_or_b32 s2, s8, s9
	s_bitset0_b32 s2, 31
	s_cmp_lg_u32 s2, 0
	s_cselect_b64 s[2:3], -1, 0
	s_mov_b64 s[8:9], -1
	s_and_b64 vcc, exec, s[2:3]
	s_cbranch_vccnz .LBB10_3
; %bb.2:
	s_mul_i32 s8, s7, s21
	s_mul_hi_u32 s9, s7, s20
	s_add_i32 s9, s9, s8
	s_mul_i32 s8, s7, s20
	s_lshl_b64 s[8:9], s[8:9], 3
	s_add_u32 s8, s18, s8
	s_addc_u32 s9, s19, s9
	s_load_dwordx2 s[8:9], s[8:9], 0x0
	s_waitcnt lgkmcnt(0)
	v_cmp_neq_f32_e64 s[10:11], s8, 1.0
	v_cmp_neq_f32_e64 s[8:9], s9, 0
	s_or_b64 s[8:9], s[10:11], s[8:9]
.LBB10_3:
	s_andn2_b64 vcc, exec, s[8:9]
	s_cbranch_vccnz .LBB10_129
; %bb.4:
	s_andn2_b64 vcc, exec, s[2:3]
	s_cbranch_vccnz .LBB10_129
; %bb.5:
	s_load_dword s41, s[0:1], 0x0
	s_load_dword s40, s[4:5], 0x0
	s_load_dwordx4 s[8:11], s[4:5], 0x30
	s_load_dwordx2 s[2:3], s[4:5], 0x40
	s_load_dword s33, s[4:5], 0x48
	s_mul_i32 s0, s7, s17
	s_mul_hi_u32 s1, s7, s16
	s_add_i32 s1, s1, s0
	s_mul_i32 s0, s7, s16
	s_lshl_b64 s[0:1], s[0:1], 3
	s_waitcnt lgkmcnt(0)
	s_add_u32 s10, s10, s0
	s_addc_u32 s11, s11, s1
	s_lshl_b64 s[0:1], s[2:3], 3
	s_add_u32 s0, s10, s0
	s_addc_u32 s1, s11, s1
	v_and_b32_e32 v26, 0x3ff, v0
	s_lshl_b32 s26, s6, 6
	s_ashr_i32 s42, s40, 31
	s_lshr_b32 s3, s42, 26
	v_add_u32_e32 v16, s26, v26
	v_bfe_u32 v17, v0, 10, 10
	s_add_i32 s3, s40, s3
	v_mul_lo_u32 v0, v16, s33
	s_andn2_b32 s3, s3, 63
	v_ashrrev_i32_e32 v1, 31, v0
	s_add_i32 s2, s41, -1
	s_sub_i32 s3, s40, s3
	v_lshlrev_b64 v[0:1], 3, v[0:1]
	s_cmp_eq_u32 s6, s2
	v_mov_b32_e32 v2, s1
	v_add_co_u32_e32 v20, vcc, s0, v0
	s_cselect_b32 s24, s3, 0
	v_addc_co_u32_e32 v21, vcc, v2, v1, vcc
	v_cmp_ne_u32_e64 s[0:1], 0, v17
	v_cmp_eq_u32_e64 s[2:3], 0, v17
	s_and_saveexec_b64 s[10:11], s[2:3]
	s_cbranch_execz .LBB10_10
; %bb.6:
	s_cmp_lg_u32 s24, 0
	s_cselect_b64 s[16:17], -1, 0
	v_cmp_le_i32_e32 vcc, s24, v26
	v_mov_b32_e32 v0, 0x2380
	s_and_b64 s[16:17], s[16:17], vcc
	v_lshl_add_u32 v0, v26, 3, v0
	s_and_saveexec_b64 s[18:19], s[16:17]
	s_xor_b64 s[16:17], exec, s[18:19]
	s_cbranch_execz .LBB10_8
; %bb.7:
	v_mov_b32_e32 v2, 0
	v_mov_b32_e32 v3, v2
	ds_write_b64 v0, v[2:3]
                                        ; implicit-def: $vgpr0
.LBB10_8:
	s_andn2_saveexec_b64 s[16:17], s[16:17]
	s_cbranch_execz .LBB10_10
; %bb.9:
	global_load_dwordx2 v[2:3], v[20:21], off
	s_waitcnt vmcnt(0)
	ds_write_b64 v0, v[2:3]
.LBB10_10:
	s_or_b64 exec, exec, s[10:11]
	s_mul_i32 s9, s7, s9
	s_mul_hi_u32 s10, s7, s8
	s_add_i32 s9, s10, s9
	s_mul_i32 s8, s7, s8
	s_lshl_b64 s[8:9], s[8:9], 3
	s_add_u32 s10, s12, s8
	s_addc_u32 s11, s13, s9
	s_lshl_b64 s[8:9], s[14:15], 3
	s_load_dword s20, s[4:5], 0x28
	s_add_u32 s8, s10, s8
	s_addc_u32 s9, s11, s9
	s_ashr_i32 s27, s26, 31
	v_lshl_add_u32 v27, v17, 6, v26
	s_lshl_b64 s[4:5], s[26:27], 3
	v_and_b32_e32 v0, 31, v26
	v_lshrrev_b32_e32 v8, 5, v27
	s_add_u32 s8, s8, s4
	s_addc_u32 s9, s9, s5
	s_waitcnt lgkmcnt(0)
	v_mad_u64_u32 v[2:3], s[4:5], v8, s20, v[0:1]
	s_mul_i32 s4, s26, s20
	s_ashr_i32 s5, s4, 31
	s_lshl_b64 s[28:29], s[4:5], 3
	v_ashrrev_i32_e32 v3, 31, v2
	s_add_u32 s4, s28, s8
	v_lshlrev_b64 v[22:23], 3, v[2:3]
	s_addc_u32 s5, s29, s9
	v_mov_b32_e32 v1, s5
	v_add_co_u32_e32 v2, vcc, s4, v22
	s_cmp_lg_u32 s24, 0
	v_addc_co_u32_e32 v3, vcc, v1, v23, vcc
	s_cselect_b64 s[30:31], -1, 0
	s_cmp_eq_u32 s24, 0
	s_cselect_b64 s[34:35], -1, 0
	s_and_b64 vcc, exec, s[30:31]
	s_cbranch_vccnz .LBB10_12
; %bb.11:
	s_lshl_b32 s4, s20, 3
	s_ashr_i32 s5, s4, 31
	s_lshl_b64 s[4:5], s[4:5], 3
	v_mov_b32_e32 v1, s5
	v_add_co_u32_e32 v6, vcc, s4, v2
	s_ashr_i32 s21, s20, 31
	v_addc_co_u32_e32 v7, vcc, v3, v1, vcc
	s_lshl_b64 s[4:5], s[20:21], 6
	global_load_dwordx2 v[4:5], v[2:3], off
	global_load_dwordx2 v[10:11], v[6:7], off
	v_mov_b32_e32 v1, s5
	v_add_co_u32_e32 v6, vcc, s4, v6
	v_addc_co_u32_e32 v7, vcc, v7, v1, vcc
	global_load_dwordx2 v[12:13], v[6:7], off
	v_add_co_u32_e32 v6, vcc, s4, v6
	v_addc_co_u32_e32 v7, vcc, v7, v1, vcc
	global_load_dwordx2 v[6:7], v[6:7], off
	v_mul_u32_u24_e32 v1, 33, v8
	v_add_lshl_u32 v1, v1, v0, 3
	s_waitcnt vmcnt(3)
	ds_write_b64 v1, v[4:5]
	s_waitcnt vmcnt(2)
	ds_write_b64 v1, v[10:11] offset:2112
	s_waitcnt vmcnt(1)
	ds_write_b64 v1, v[12:13] offset:4224
	;; [unrolled: 2-line block ×3, first 2 shown]
	s_cbranch_execz .LBB10_13
	s_branch .LBB10_28
.LBB10_12:
.LBB10_13:
	v_lshlrev_b32_e32 v1, 3, v0
	v_sub_co_u32_e32 v4, vcc, v2, v1
	s_ashr_i32 s25, s24, 31
	v_subbrev_co_u32_e32 v5, vcc, 0, v3, vcc
	s_lshl_b64 s[8:9], s[24:25], 3
	v_mov_b32_e32 v6, s9
	v_add_co_u32_e32 v4, vcc, s8, v4
	v_addc_co_u32_e32 v5, vcc, v5, v6, vcc
	v_add_co_u32_e32 v4, vcc, -8, v4
	v_addc_co_u32_e32 v5, vcc, -1, v5, vcc
	v_cmp_gt_i32_e32 vcc, s24, v0
	v_mov_b32_e32 v6, 0
	v_cndmask_b32_e32 v5, v5, v3, vcc
	v_cndmask_b32_e32 v4, v4, v2, vcc
	v_cmp_gt_i32_e64 s[4:5], s24, v8
	v_mov_b32_e32 v7, v6
	s_and_saveexec_b64 s[10:11], s[4:5]
	s_cbranch_execz .LBB10_15
; %bb.14:
	global_load_dwordx2 v[6:7], v[4:5], off
.LBB10_15:
	s_or_b64 exec, exec, s[10:11]
	v_mul_u32_u24_e32 v9, 33, v8
	v_add_lshl_u32 v9, v9, v0, 3
	s_waitcnt vmcnt(0)
	ds_write_b64 v9, v[6:7]
	v_add_u32_e32 v6, 8, v8
	v_cmp_le_i32_e64 s[4:5], s24, v6
	s_and_saveexec_b64 s[10:11], s[4:5]
	s_xor_b64 s[4:5], exec, s[10:11]
	s_cbranch_execz .LBB10_17
; %bb.16:
	v_mul_u32_u24_e32 v6, 33, v6
	v_add_lshl_u32 v10, v6, v0, 3
	v_mov_b32_e32 v6, 0
	v_mov_b32_e32 v7, v6
	ds_write_b64 v10, v[6:7]
.LBB10_17:
	s_andn2_saveexec_b64 s[10:11], s[4:5]
	s_cbranch_execz .LBB10_19
; %bb.18:
	s_lshl_b32 s4, s20, 3
	s_ashr_i32 s5, s4, 31
	s_lshl_b64 s[4:5], s[4:5], 3
	v_mov_b32_e32 v7, s5
	v_add_co_u32_e64 v6, s[4:5], s4, v4
	v_addc_co_u32_e64 v7, s[4:5], v5, v7, s[4:5]
	global_load_dwordx2 v[6:7], v[6:7], off
	s_waitcnt vmcnt(0)
	ds_write_b64 v9, v[6:7] offset:2112
.LBB10_19:
	s_or_b64 exec, exec, s[10:11]
	v_add_u32_e32 v6, 16, v8
	v_cmp_le_i32_e64 s[4:5], s24, v6
	s_and_saveexec_b64 s[10:11], s[4:5]
	s_xor_b64 s[4:5], exec, s[10:11]
	s_cbranch_execz .LBB10_21
; %bb.20:
	v_mov_b32_e32 v6, 0
	v_mov_b32_e32 v7, v6
	ds_write_b64 v9, v[6:7] offset:4224
.LBB10_21:
	s_andn2_saveexec_b64 s[10:11], s[4:5]
	s_cbranch_execz .LBB10_23
; %bb.22:
	s_lshl_b32 s4, s20, 4
	s_ashr_i32 s5, s4, 31
	s_lshl_b64 s[4:5], s[4:5], 3
	v_mov_b32_e32 v7, s5
	v_add_co_u32_e64 v6, s[4:5], s4, v4
	v_addc_co_u32_e64 v7, s[4:5], v5, v7, s[4:5]
	global_load_dwordx2 v[6:7], v[6:7], off
	s_waitcnt vmcnt(0)
	ds_write_b64 v9, v[6:7] offset:4224
.LBB10_23:
	s_or_b64 exec, exec, s[10:11]
	v_add_u32_e32 v6, 24, v8
	v_cmp_le_i32_e64 s[4:5], s24, v6
	s_and_saveexec_b64 s[10:11], s[4:5]
	s_xor_b64 s[4:5], exec, s[10:11]
	s_cbranch_execz .LBB10_25
; %bb.24:
	v_mov_b32_e32 v6, 0
	v_mov_b32_e32 v7, v6
	ds_write_b64 v9, v[6:7] offset:6336
                                        ; implicit-def: $vgpr9
.LBB10_25:
	s_andn2_saveexec_b64 s[10:11], s[4:5]
	s_cbranch_execz .LBB10_27
; %bb.26:
	s_mul_i32 s4, s20, 24
	s_ashr_i32 s5, s4, 31
	s_lshl_b64 s[4:5], s[4:5], 3
	v_mov_b32_e32 v7, s5
	v_add_co_u32_e64 v6, s[4:5], s4, v4
	v_addc_co_u32_e64 v7, s[4:5], v5, v7, s[4:5]
	global_load_dwordx2 v[6:7], v[6:7], off
	s_waitcnt vmcnt(0)
	ds_write_b64 v9, v[6:7] offset:6336
.LBB10_27:
	s_or_b64 exec, exec, s[10:11]
	v_add_co_u32_e64 v1, s[4:5], v4, v1
	v_addc_co_u32_e64 v4, s[4:5], 0, v5, s[4:5]
	v_mov_b32_e32 v5, s9
	v_subrev_co_u32_e64 v1, s[4:5], s8, v1
	v_subb_co_u32_e64 v4, s[4:5], v4, v5, s[4:5]
	v_add_co_u32_e64 v1, s[4:5], 8, v1
	v_addc_co_u32_e64 v4, s[4:5], 0, v4, s[4:5]
	v_cndmask_b32_e32 v3, v4, v3, vcc
	v_cndmask_b32_e32 v2, v1, v2, vcc
.LBB10_28:
	v_lshlrev_b32_e32 v9, 2, v8
	v_cmp_ge_u32_e64 s[18:19], v9, v0
	s_waitcnt lgkmcnt(0)
	s_barrier
	s_and_saveexec_b64 s[4:5], s[18:19]
	s_xor_b64 s[4:5], exec, s[4:5]
	s_cbranch_execz .LBB10_32
; %bb.29:
	v_cmp_eq_u32_e32 vcc, v9, v0
	s_and_saveexec_b64 s[8:9], vcc
	s_cbranch_execz .LBB10_31
; %bb.30:
	v_mul_u32_u24_e32 v1, 34, v0
	v_lshlrev_b32_e32 v1, 3, v1
	v_mov_b32_e32 v4, 0
	ds_write_b32 v1, v4 offset:4
.LBB10_31:
	s_or_b64 exec, exec, s[8:9]
.LBB10_32:
	s_or_saveexec_b64 s[4:5], s[4:5]
	v_mul_u32_u24_e32 v28, 33, v0
	v_add_lshl_u32 v12, v9, v28, 3
	s_xor_b64 exec, exec, s[4:5]
	s_cbranch_execz .LBB10_34
; %bb.33:
	v_mul_u32_u24_e32 v1, 0x84, v8
	v_add_lshl_u32 v1, v1, v0, 3
	ds_read_b64 v[4:5], v1
	s_waitcnt lgkmcnt(0)
	v_xor_b32_e32 v5, 0x80000000, v5
	ds_write_b64 v12, v[4:5]
.LBB10_34:
	s_or_b64 exec, exec, s[4:5]
	v_or_b32_e32 v10, 1, v9
	v_cmp_ge_u32_e64 s[8:9], v10, v0
	s_and_saveexec_b64 s[4:5], s[8:9]
	s_xor_b64 s[4:5], exec, s[4:5]
	s_cbranch_execz .LBB10_38
; %bb.35:
	v_cmp_eq_u32_e32 vcc, v10, v0
	s_and_saveexec_b64 s[10:11], vcc
	s_cbranch_execz .LBB10_37
; %bb.36:
	v_mul_u32_u24_e32 v1, 34, v0
	v_lshlrev_b32_e32 v1, 3, v1
	v_mov_b32_e32 v4, 0
	ds_write_b32 v1, v4 offset:4
.LBB10_37:
	s_or_b64 exec, exec, s[10:11]
.LBB10_38:
	s_or_saveexec_b64 s[4:5], s[4:5]
	v_mul_u32_u24_e32 v1, 33, v10
	s_xor_b64 exec, exec, s[4:5]
	s_cbranch_execz .LBB10_40
; %bb.39:
	v_add_lshl_u32 v4, v1, v0, 3
	ds_read_b64 v[4:5], v4
	s_waitcnt lgkmcnt(0)
	v_xor_b32_e32 v5, 0x80000000, v5
	ds_write_b64 v12, v[4:5] offset:8
.LBB10_40:
	s_or_b64 exec, exec, s[4:5]
	v_or_b32_e32 v11, 2, v9
	v_cmp_ge_u32_e64 s[10:11], v11, v0
	s_and_saveexec_b64 s[4:5], s[10:11]
	s_xor_b64 s[4:5], exec, s[4:5]
	s_cbranch_execz .LBB10_44
; %bb.41:
	v_cmp_eq_u32_e32 vcc, v11, v0
	s_and_saveexec_b64 s[12:13], vcc
	s_cbranch_execz .LBB10_43
; %bb.42:
	v_mul_u32_u24_e32 v4, 34, v0
	v_lshlrev_b32_e32 v4, 3, v4
	v_mov_b32_e32 v5, 0
	ds_write_b32 v4, v5 offset:4
.LBB10_43:
	s_or_b64 exec, exec, s[12:13]
.LBB10_44:
	s_andn2_saveexec_b64 s[4:5], s[4:5]
	s_cbranch_execz .LBB10_46
; %bb.45:
	v_mul_u32_u24_e32 v4, 33, v11
	v_add_lshl_u32 v4, v4, v0, 3
	ds_read_b64 v[4:5], v4
	s_waitcnt lgkmcnt(0)
	v_xor_b32_e32 v5, 0x80000000, v5
	ds_write_b64 v12, v[4:5] offset:16
.LBB10_46:
	s_or_b64 exec, exec, s[4:5]
	v_or_b32_e32 v13, 3, v9
	v_cmp_ge_u32_e64 s[12:13], v13, v0
	s_and_saveexec_b64 s[4:5], s[12:13]
	s_xor_b64 s[4:5], exec, s[4:5]
	s_cbranch_execz .LBB10_50
; %bb.47:
	v_cmp_eq_u32_e32 vcc, v13, v0
	s_and_saveexec_b64 s[14:15], vcc
	s_cbranch_execz .LBB10_49
; %bb.48:
	v_mul_u32_u24_e32 v4, 34, v0
	v_lshlrev_b32_e32 v4, 3, v4
	v_mov_b32_e32 v5, 0
	ds_write_b32 v4, v5 offset:4
.LBB10_49:
	s_or_b64 exec, exec, s[14:15]
.LBB10_50:
	s_andn2_saveexec_b64 s[4:5], s[4:5]
	s_cbranch_execz .LBB10_52
; %bb.51:
	v_mul_u32_u24_e32 v4, 33, v13
	v_add_lshl_u32 v4, v4, v0, 3
	ds_read_b64 v[4:5], v4
	s_waitcnt lgkmcnt(0)
	v_xor_b32_e32 v5, 0x80000000, v5
	ds_write_b64 v12, v[4:5] offset:24
.LBB10_52:
	s_or_b64 exec, exec, s[4:5]
	v_mul_u32_u24_e32 v4, 0x84, v8
	v_lshlrev_b32_e32 v24, 3, v9
	s_waitcnt lgkmcnt(0)
	s_barrier
	v_add_lshl_u32 v15, v4, v0, 3
	v_add_lshl_u32 v14, v1, v0, 3
	ds_read_b128 v[4:7], v24 offset:9088
	ds_read_b64 v[18:19], v15
	ds_read2_b64 v[30:33], v14 offset1:33
	ds_read_b64 v[38:39], v14 offset:528
	ds_read_b128 v[34:37], v24 offset:9104
	s_mov_b32 s14, 0
	s_waitcnt lgkmcnt(3)
	v_pk_mul_f32 v[40:41], v[4:5], v[18:19] op_sel:[0,1]
	v_pk_fma_f32 v[42:43], v[4:5], v[18:19], v[40:41] op_sel:[0,0,1] op_sel_hi:[1,1,0] neg_lo:[0,0,1] neg_hi:[0,0,1]
	v_pk_fma_f32 v[4:5], v[4:5], v[18:19], v[40:41] op_sel:[0,0,1] op_sel_hi:[1,0,0]
	s_waitcnt lgkmcnt(2)
	v_pk_mul_f32 v[18:19], v[6:7], v[30:31] op_sel:[0,1]
	v_pk_fma_f32 v[40:41], v[6:7], v[30:31], v[18:19] op_sel:[0,0,1] op_sel_hi:[1,1,0] neg_lo:[0,0,1] neg_hi:[0,0,1]
	v_pk_fma_f32 v[6:7], v[6:7], v[30:31], v[18:19] op_sel:[0,0,1] op_sel_hi:[1,0,0]
	v_mov_b32_e32 v43, v5
	v_mov_b32_e32 v41, v7
	s_waitcnt lgkmcnt(0)
	v_pk_mul_f32 v[6:7], v[34:35], v[32:33] op_sel:[0,1]
	v_pk_add_f32 v[4:5], v[42:43], 0 op_sel_hi:[1,0]
	v_pk_fma_f32 v[18:19], v[34:35], v[32:33], v[6:7] op_sel:[0,0,1] op_sel_hi:[1,1,0] neg_lo:[0,0,1] neg_hi:[0,0,1]
	v_pk_fma_f32 v[6:7], v[34:35], v[32:33], v[6:7] op_sel:[0,0,1] op_sel_hi:[1,0,0]
	v_pk_add_f32 v[4:5], v[4:5], v[40:41]
	v_mov_b32_e32 v19, v7
	v_pk_mul_f32 v[6:7], v[36:37], v[38:39] op_sel:[0,1]
	v_pk_add_f32 v[4:5], v[4:5], v[18:19]
	v_pk_fma_f32 v[18:19], v[36:37], v[38:39], v[6:7] op_sel:[0,0,1] op_sel_hi:[1,1,0] neg_lo:[0,0,1] neg_hi:[0,0,1]
	v_pk_fma_f32 v[6:7], v[36:37], v[38:39], v[6:7] op_sel:[0,0,1] op_sel_hi:[1,0,0]
	s_mov_b32 s15, s14
	v_mov_b32_e32 v19, v7
	v_add_lshl_u32 v29, v8, v28, 3
	v_pk_add_f32 v[4:5], v[4:5], v[18:19]
	v_cmp_gt_u32_e64 s[4:5], 32, v27
	v_pk_mov_b32 v[18:19], s[14:15], s[14:15] op_sel:[0,1]
	s_barrier
	ds_write_b64 v29, v[4:5]
	s_waitcnt lgkmcnt(0)
	s_barrier
	s_and_saveexec_b64 s[14:15], s[4:5]
	s_cbranch_execz .LBB10_54
; %bb.53:
	v_lshlrev_b32_e32 v1, 3, v28
	ds_read2_b64 v[4:7], v1 offset1:7
	ds_read2_b64 v[30:33], v1 offset0:1 offset1:2
	ds_read2_b64 v[34:37], v1 offset0:3 offset1:4
	s_waitcnt lgkmcnt(1)
	v_add_f32_e32 v4, v30, v4
	v_add_f32_e32 v5, v31, v5
	;; [unrolled: 1-line block ×4, first 2 shown]
	ds_read2_b64 v[30:33], v1 offset0:5 offset1:6
	s_waitcnt lgkmcnt(1)
	v_add_f32_e32 v1, v4, v34
	v_add_f32_e32 v4, v5, v35
	;; [unrolled: 1-line block ×4, first 2 shown]
	s_waitcnt lgkmcnt(0)
	v_add_f32_e32 v1, v1, v30
	v_add_f32_e32 v5, v4, v31
	;; [unrolled: 1-line block ×4, first 2 shown]
	v_pk_add_f32 v[18:19], v[4:5], v[6:7]
.LBB10_54:
	s_or_b64 exec, exec, s[14:15]
	s_lshl_b32 s14, s20, 5
	s_ashr_i32 s15, s14, 31
	s_lshl_b64 s[36:37], s[14:15], 3
	v_mov_b32_e32 v1, s37
	v_add_co_u32_e32 v4, vcc, s36, v2
	v_addc_co_u32_e32 v5, vcc, v3, v1, vcc
	v_add_co_u32_e32 v2, vcc, 0x100, v4
	v_cndmask_b32_e64 v1, 0, 1, s[34:35]
	s_mov_b64 s[16:17], vcc
	v_cmp_ne_u32_e64 s[14:15], 1, v1
	s_andn2_b64 vcc, exec, s[34:35]
	v_addc_co_u32_e64 v1, s[16:17], 0, v5, s[16:17]
	s_barrier
	s_cbranch_vccnz .LBB10_56
; %bb.55:
	s_lshl_b32 s16, s20, 3
	s_ashr_i32 s17, s16, 31
	s_lshl_b64 s[16:17], s[16:17], 3
	v_mov_b32_e32 v3, s17
	v_add_co_u32_e32 v6, vcc, s16, v4
	s_ashr_i32 s21, s20, 31
	v_addc_co_u32_e32 v7, vcc, v5, v3, vcc
	s_lshl_b64 s[16:17], s[20:21], 6
	v_mov_b32_e32 v3, s17
	v_add_co_u32_e32 v30, vcc, s16, v6
	v_addc_co_u32_e32 v31, vcc, v7, v3, vcc
	v_add_co_u32_e32 v32, vcc, s16, v30
	v_addc_co_u32_e32 v33, vcc, v31, v3, vcc
	global_load_dwordx2 v[34:35], v[4:5], off offset:256
	global_load_dwordx2 v[36:37], v[6:7], off offset:256
	;; [unrolled: 1-line block ×4, first 2 shown]
	v_mul_u32_u24_e32 v3, 33, v8
	v_add_lshl_u32 v3, v3, v0, 3
	s_waitcnt vmcnt(3)
	ds_write_b64 v3, v[34:35]
	s_waitcnt vmcnt(2)
	ds_write_b64 v3, v[36:37] offset:2112
	s_waitcnt vmcnt(1)
	ds_write_b64 v3, v[38:39] offset:4224
	;; [unrolled: 2-line block ×3, first 2 shown]
	s_cbranch_execz .LBB10_57
	s_branch .LBB10_72
.LBB10_56:
.LBB10_57:
	v_lshlrev_b32_e32 v3, 3, v0
	v_sub_co_u32_e32 v5, vcc, v2, v3
	s_ashr_i32 s25, s24, 31
	v_subbrev_co_u32_e32 v6, vcc, 0, v1, vcc
	s_lshl_b64 s[34:35], s[24:25], 3
	v_mov_b32_e32 v7, s35
	v_add_co_u32_e32 v5, vcc, s34, v5
	v_addc_co_u32_e32 v6, vcc, v6, v7, vcc
	v_or_b32_e32 v4, 32, v0
	v_add_co_u32_e32 v7, vcc, 0xfffffef8, v5
	v_addc_co_u32_e32 v5, vcc, -1, v6, vcc
	v_cmp_gt_i32_e64 s[16:17], s24, v4
	s_sub_i32 s21, s24, 32
	v_mov_b32_e32 v6, 0
	v_cndmask_b32_e64 v5, v5, v1, s[16:17]
	v_cndmask_b32_e64 v4, v7, v2, s[16:17]
	v_cmp_gt_i32_e32 vcc, s21, v8
	v_mov_b32_e32 v7, v6
	s_and_saveexec_b64 s[38:39], vcc
	s_cbranch_execz .LBB10_59
; %bb.58:
	global_load_dwordx2 v[6:7], v[4:5], off
.LBB10_59:
	s_or_b64 exec, exec, s[38:39]
	v_mul_u32_u24_e32 v25, 33, v8
	v_add_lshl_u32 v25, v25, v0, 3
	s_waitcnt vmcnt(0)
	ds_write_b64 v25, v[6:7]
	v_add_u32_e32 v6, 8, v8
	v_cmp_le_i32_e32 vcc, s21, v6
	s_and_saveexec_b64 s[38:39], vcc
	s_xor_b64 s[38:39], exec, s[38:39]
	s_cbranch_execz .LBB10_61
; %bb.60:
	v_mul_u32_u24_e32 v6, 33, v6
	v_add_lshl_u32 v30, v6, v0, 3
	v_mov_b32_e32 v6, 0
	v_mov_b32_e32 v7, v6
	ds_write_b64 v30, v[6:7]
.LBB10_61:
	s_andn2_saveexec_b64 s[38:39], s[38:39]
	s_cbranch_execz .LBB10_63
; %bb.62:
	s_lshl_b32 s44, s20, 3
	s_ashr_i32 s45, s44, 31
	s_lshl_b64 s[44:45], s[44:45], 3
	v_mov_b32_e32 v7, s45
	v_add_co_u32_e32 v6, vcc, s44, v4
	v_addc_co_u32_e32 v7, vcc, v5, v7, vcc
	global_load_dwordx2 v[6:7], v[6:7], off
	s_waitcnt vmcnt(0)
	ds_write_b64 v25, v[6:7] offset:2112
.LBB10_63:
	s_or_b64 exec, exec, s[38:39]
	v_add_u32_e32 v6, 16, v8
	v_cmp_le_i32_e32 vcc, s21, v6
	s_and_saveexec_b64 s[38:39], vcc
	s_xor_b64 s[38:39], exec, s[38:39]
	s_cbranch_execz .LBB10_65
; %bb.64:
	v_mul_u32_u24_e32 v6, 33, v6
	v_add_lshl_u32 v30, v6, v0, 3
	v_mov_b32_e32 v6, 0
	v_mov_b32_e32 v7, v6
	ds_write_b64 v30, v[6:7]
.LBB10_65:
	s_andn2_saveexec_b64 s[38:39], s[38:39]
	s_cbranch_execz .LBB10_67
; %bb.66:
	s_lshl_b32 s44, s20, 4
	s_ashr_i32 s45, s44, 31
	s_lshl_b64 s[44:45], s[44:45], 3
	v_mov_b32_e32 v7, s45
	v_add_co_u32_e32 v6, vcc, s44, v4
	v_addc_co_u32_e32 v7, vcc, v5, v7, vcc
	global_load_dwordx2 v[6:7], v[6:7], off
	s_waitcnt vmcnt(0)
	ds_write_b64 v25, v[6:7] offset:4224
.LBB10_67:
	s_or_b64 exec, exec, s[38:39]
	v_add_u32_e32 v6, 24, v8
	v_cmp_le_i32_e32 vcc, s21, v6
	s_and_saveexec_b64 s[38:39], vcc
	s_xor_b64 s[38:39], exec, s[38:39]
	s_cbranch_execz .LBB10_69
; %bb.68:
	v_mov_b32_e32 v6, 0
	v_mov_b32_e32 v7, v6
	ds_write_b64 v25, v[6:7] offset:6336
                                        ; implicit-def: $vgpr25
.LBB10_69:
	s_andn2_saveexec_b64 s[38:39], s[38:39]
	s_cbranch_execz .LBB10_71
; %bb.70:
	s_mul_i32 s44, s20, 24
	s_ashr_i32 s45, s44, 31
	s_lshl_b64 s[44:45], s[44:45], 3
	v_mov_b32_e32 v7, s45
	v_add_co_u32_e32 v6, vcc, s44, v4
	v_addc_co_u32_e32 v7, vcc, v5, v7, vcc
	global_load_dwordx2 v[6:7], v[6:7], off
	s_waitcnt vmcnt(0)
	ds_write_b64 v25, v[6:7] offset:6336
.LBB10_71:
	s_or_b64 exec, exec, s[38:39]
	v_add_co_u32_e32 v3, vcc, v4, v3
	v_addc_co_u32_e32 v4, vcc, 0, v5, vcc
	v_mov_b32_e32 v5, s35
	v_subrev_co_u32_e32 v3, vcc, s34, v3
	v_subb_co_u32_e32 v4, vcc, v4, v5, vcc
	v_add_co_u32_e32 v3, vcc, 0x108, v3
	v_addc_co_u32_e32 v4, vcc, 0, v4, vcc
	v_cndmask_b32_e64 v1, v4, v1, s[16:17]
	v_cndmask_b32_e64 v2, v3, v2, s[16:17]
.LBB10_72:
	v_add_u32_e32 v6, 0x2380, v24
	s_waitcnt lgkmcnt(0)
	s_barrier
	s_and_saveexec_b64 s[16:17], s[18:19]
	s_xor_b64 s[16:17], exec, s[16:17]
	s_cbranch_execnz .LBB10_85
; %bb.73:
	s_andn2_saveexec_b64 s[16:17], s[16:17]
	s_cbranch_execnz .LBB10_88
.LBB10_74:
	s_or_b64 exec, exec, s[16:17]
	s_and_saveexec_b64 s[16:17], s[8:9]
	s_xor_b64 s[8:9], exec, s[16:17]
	s_cbranch_execnz .LBB10_89
.LBB10_75:
	s_andn2_saveexec_b64 s[8:9], s[8:9]
	s_cbranch_execnz .LBB10_92
.LBB10_76:
	s_or_b64 exec, exec, s[8:9]
	s_and_saveexec_b64 s[8:9], s[10:11]
	s_xor_b64 s[8:9], exec, s[8:9]
	s_cbranch_execnz .LBB10_93
.LBB10_77:
	s_andn2_saveexec_b64 s[8:9], s[8:9]
	s_cbranch_execnz .LBB10_96
.LBB10_78:
	s_or_b64 exec, exec, s[8:9]
	s_and_saveexec_b64 s[8:9], s[12:13]
	s_xor_b64 s[8:9], exec, s[8:9]
	s_cbranch_execnz .LBB10_97
.LBB10_79:
	s_andn2_saveexec_b64 s[8:9], s[8:9]
	s_cbranch_execz .LBB10_81
.LBB10_80:
	ds_read_b64 v[4:5], v14 offset:528
	s_waitcnt lgkmcnt(0)
	v_xor_b32_e32 v5, 0x80000000, v5
	ds_write_b64 v12, v[4:5] offset:24
.LBB10_81:
	s_or_b64 exec, exec, s[8:9]
	s_waitcnt lgkmcnt(0)
	s_barrier
	ds_read_b64 v[4:5], v15
	ds_read_b128 v[30:33], v6 offset:256
	ds_read2_b64 v[34:37], v14 offset1:33
	ds_read_b64 v[10:11], v14 offset:528
	ds_read_b128 v[38:41], v6 offset:272
	v_cmp_eq_u32_e64 s[10:11], 1, v8
	s_waitcnt lgkmcnt(3)
	v_pk_mul_f32 v[14:15], v[30:31], v[4:5] op_sel:[0,1]
	v_pk_fma_f32 v[24:25], v[30:31], v[4:5], v[14:15] op_sel:[0,0,1] op_sel_hi:[1,1,0] neg_lo:[0,0,1] neg_hi:[0,0,1]
	v_pk_fma_f32 v[4:5], v[30:31], v[4:5], v[14:15] op_sel:[0,0,1] op_sel_hi:[1,0,0]
	v_mov_b32_e32 v25, v5
	s_waitcnt lgkmcnt(2)
	v_pk_mul_f32 v[14:15], v[32:33], v[34:35] op_sel:[0,1]
	v_pk_add_f32 v[4:5], v[24:25], 0 op_sel_hi:[1,0]
	v_pk_fma_f32 v[24:25], v[32:33], v[34:35], v[14:15] op_sel:[0,0,1] op_sel_hi:[1,1,0] neg_lo:[0,0,1] neg_hi:[0,0,1]
	v_pk_fma_f32 v[14:15], v[32:33], v[34:35], v[14:15] op_sel:[0,0,1] op_sel_hi:[1,0,0]
	v_mov_b32_e32 v25, v15
	s_waitcnt lgkmcnt(0)
	v_pk_mul_f32 v[14:15], v[38:39], v[36:37] op_sel:[0,1]
	v_pk_add_f32 v[4:5], v[4:5], v[24:25]
	v_pk_fma_f32 v[24:25], v[38:39], v[36:37], v[14:15] op_sel:[0,0,1] op_sel_hi:[1,1,0] neg_lo:[0,0,1] neg_hi:[0,0,1]
	v_pk_fma_f32 v[14:15], v[38:39], v[36:37], v[14:15] op_sel:[0,0,1] op_sel_hi:[1,0,0]
	v_mov_b32_e32 v25, v15
	v_pk_mul_f32 v[14:15], v[40:41], v[10:11] op_sel:[0,1]
	v_pk_add_f32 v[4:5], v[4:5], v[24:25]
	v_pk_fma_f32 v[24:25], v[40:41], v[10:11], v[14:15] op_sel:[0,0,1] op_sel_hi:[1,1,0] neg_lo:[0,0,1] neg_hi:[0,0,1]
	v_pk_fma_f32 v[10:11], v[40:41], v[10:11], v[14:15] op_sel:[0,0,1] op_sel_hi:[1,0,0]
	v_mov_b32_e32 v25, v11
	v_pk_add_f32 v[4:5], v[4:5], v[24:25]
	s_barrier
	ds_write_b64 v29, v[4:5]
	s_waitcnt lgkmcnt(0)
	s_barrier
	s_and_saveexec_b64 s[8:9], s[10:11]
	s_cbranch_execz .LBB10_83
; %bb.82:
	v_lshlrev_b32_e32 v3, 3, v28
	ds_read2_b64 v[30:33], v3 offset1:7
	ds_read2_b64 v[34:37], v3 offset0:1 offset1:2
	ds_read2_b64 v[38:41], v3 offset0:3 offset1:4
	s_waitcnt lgkmcnt(1)
	v_add_f32_e32 v4, v34, v30
	v_add_f32_e32 v5, v35, v31
	;; [unrolled: 1-line block ×4, first 2 shown]
	ds_read2_b64 v[34:37], v3 offset0:5 offset1:6
	s_waitcnt lgkmcnt(1)
	v_add_f32_e32 v3, v4, v38
	v_add_f32_e32 v4, v5, v39
	;; [unrolled: 1-line block ×4, first 2 shown]
	s_waitcnt lgkmcnt(0)
	v_add_f32_e32 v4, v3, v34
	v_add_f32_e32 v5, v5, v35
	v_pk_add_f32 v[4:5], v[4:5], v[36:37]
	v_pk_add_f32 v[18:19], v[4:5], v[32:33]
.LBB10_83:
	s_or_b64 exec, exec, s[8:9]
	v_mov_b32_e32 v3, s37
	v_subrev_co_u32_e64 v24, s[8:9], s36, v2
	s_and_b64 vcc, exec, s[14:15]
	v_subb_co_u32_e64 v25, s[8:9], v1, v3, s[8:9]
	s_barrier
	s_cbranch_vccnz .LBB10_100
; %bb.84:
	s_lshl_b32 s8, s20, 3
	s_ashr_i32 s9, s8, 31
	s_lshl_b64 s[8:9], s[8:9], 3
	v_mov_b32_e32 v1, s9
	v_add_co_u32_e32 v2, vcc, s8, v24
	s_ashr_i32 s21, s20, 31
	v_addc_co_u32_e32 v3, vcc, v25, v1, vcc
	s_lshl_b64 s[8:9], s[20:21], 6
	v_mov_b32_e32 v1, s9
	v_add_co_u32_e32 v4, vcc, s8, v2
	v_addc_co_u32_e32 v5, vcc, v3, v1, vcc
	v_add_co_u32_e32 v10, vcc, s8, v4
	v_addc_co_u32_e32 v11, vcc, v5, v1, vcc
	global_load_dwordx2 v[14:15], v[24:25], off
	global_load_dwordx2 v[30:31], v[2:3], off
	;; [unrolled: 1-line block ×4, first 2 shown]
	v_mad_u32_u24 v1, v8, 33, v0
	v_add_u32_e32 v4, 8, v8
	v_add_u32_e32 v5, 16, v8
	;; [unrolled: 1-line block ×3, first 2 shown]
	v_lshlrev_b32_e32 v7, 3, v1
	v_add_u32_e32 v2, 0x108, v1
	v_add_u32_e32 v3, 0x210, v1
	;; [unrolled: 1-line block ×3, first 2 shown]
	s_waitcnt vmcnt(3)
	ds_write_b64 v7, v[14:15]
	s_waitcnt vmcnt(2)
	ds_write_b64 v7, v[30:31] offset:2112
	s_waitcnt vmcnt(1)
	ds_write_b64 v7, v[32:33] offset:4224
	s_waitcnt vmcnt(0)
	ds_write_b64 v7, v[34:35] offset:6336
	s_cbranch_execz .LBB10_101
	s_branch .LBB10_116
.LBB10_85:
	v_cmp_eq_u32_e32 vcc, v9, v0
	s_and_saveexec_b64 s[18:19], vcc
	s_cbranch_execz .LBB10_87
; %bb.86:
	v_mul_u32_u24_e32 v3, 34, v0
	v_lshlrev_b32_e32 v3, 3, v3
	v_mov_b32_e32 v4, 0
	ds_write_b32 v3, v4 offset:4
.LBB10_87:
	s_or_b64 exec, exec, s[18:19]
	s_andn2_saveexec_b64 s[16:17], s[16:17]
	s_cbranch_execz .LBB10_74
.LBB10_88:
	ds_read_b64 v[4:5], v15
	s_waitcnt lgkmcnt(0)
	v_xor_b32_e32 v5, 0x80000000, v5
	ds_write_b64 v12, v[4:5]
	s_or_b64 exec, exec, s[16:17]
	s_and_saveexec_b64 s[16:17], s[8:9]
	s_xor_b64 s[8:9], exec, s[16:17]
	s_cbranch_execz .LBB10_75
.LBB10_89:
	v_cmp_eq_u32_e32 vcc, v10, v0
	s_and_saveexec_b64 s[16:17], vcc
	s_cbranch_execz .LBB10_91
; %bb.90:
	v_mul_u32_u24_e32 v3, 34, v0
	v_lshlrev_b32_e32 v3, 3, v3
	v_mov_b32_e32 v4, 0
	ds_write_b32 v3, v4 offset:4
.LBB10_91:
	s_or_b64 exec, exec, s[16:17]
	s_andn2_saveexec_b64 s[8:9], s[8:9]
	s_cbranch_execz .LBB10_76
.LBB10_92:
	ds_read_b64 v[4:5], v14
	s_waitcnt lgkmcnt(0)
	v_xor_b32_e32 v5, 0x80000000, v5
	ds_write_b64 v12, v[4:5] offset:8
	s_or_b64 exec, exec, s[8:9]
	s_and_saveexec_b64 s[8:9], s[10:11]
	s_xor_b64 s[8:9], exec, s[8:9]
	s_cbranch_execz .LBB10_77
.LBB10_93:
	v_cmp_eq_u32_e32 vcc, v11, v0
	s_and_saveexec_b64 s[10:11], vcc
	s_cbranch_execz .LBB10_95
; %bb.94:
	v_mul_u32_u24_e32 v3, 34, v0
	v_lshlrev_b32_e32 v3, 3, v3
	v_mov_b32_e32 v4, 0
	ds_write_b32 v3, v4 offset:4
.LBB10_95:
	s_or_b64 exec, exec, s[10:11]
	s_andn2_saveexec_b64 s[8:9], s[8:9]
	s_cbranch_execz .LBB10_78
.LBB10_96:
	ds_read_b64 v[4:5], v14 offset:264
	s_waitcnt lgkmcnt(0)
	v_xor_b32_e32 v5, 0x80000000, v5
	ds_write_b64 v12, v[4:5] offset:16
	s_or_b64 exec, exec, s[8:9]
	s_and_saveexec_b64 s[8:9], s[12:13]
	s_xor_b64 s[8:9], exec, s[8:9]
	s_cbranch_execz .LBB10_79
.LBB10_97:
	v_cmp_eq_u32_e32 vcc, v13, v0
	s_and_saveexec_b64 s[10:11], vcc
	s_cbranch_execz .LBB10_99
; %bb.98:
	v_mul_u32_u24_e32 v3, 34, v0
	v_lshlrev_b32_e32 v3, 3, v3
	v_mov_b32_e32 v4, 0
	ds_write_b32 v3, v4 offset:4
.LBB10_99:
	s_or_b64 exec, exec, s[10:11]
	s_andn2_saveexec_b64 s[8:9], s[8:9]
	s_cbranch_execnz .LBB10_80
	s_branch .LBB10_81
.LBB10_100:
                                        ; implicit-def: $vgpr1
                                        ; implicit-def: $vgpr4
                                        ; implicit-def: $vgpr2
                                        ; implicit-def: $vgpr5
                                        ; implicit-def: $vgpr3
                                        ; implicit-def: $vgpr9
                                        ; implicit-def: $vgpr10
.LBB10_101:
	v_lshlrev_b32_e32 v7, 3, v0
	v_sub_co_u32_e32 v2, vcc, v24, v7
	s_ashr_i32 s25, s24, 31
	v_subbrev_co_u32_e32 v3, vcc, 0, v25, vcc
	s_lshl_b64 s[12:13], s[24:25], 3
	v_mov_b32_e32 v4, s13
	v_add_co_u32_e32 v2, vcc, s12, v2
	v_addc_co_u32_e32 v3, vcc, v3, v4, vcc
	v_or_b32_e32 v1, 32, v0
	v_add_co_u32_e32 v2, vcc, 0xfffffef8, v2
	v_addc_co_u32_e32 v3, vcc, -1, v3, vcc
	v_cmp_gt_i32_e64 s[8:9], s24, v1
	v_mov_b32_e32 v4, 0
	v_cndmask_b32_e64 v3, v3, v25, s[8:9]
	v_cndmask_b32_e64 v2, v2, v24, s[8:9]
	v_cmp_gt_i32_e32 vcc, s24, v8
	v_mov_b32_e32 v5, v4
	s_and_saveexec_b64 s[14:15], vcc
	s_cbranch_execz .LBB10_103
; %bb.102:
	global_load_dwordx2 v[4:5], v[2:3], off
.LBB10_103:
	s_or_b64 exec, exec, s[14:15]
	v_mad_u32_u24 v1, v8, 33, v0
	v_lshlrev_b32_e32 v11, 3, v1
	s_waitcnt vmcnt(0)
	ds_write_b64 v11, v[4:5]
	v_add_u32_e32 v4, 8, v8
	v_cmp_le_i32_e32 vcc, s24, v4
	s_and_saveexec_b64 s[14:15], vcc
	s_xor_b64 s[14:15], exec, s[14:15]
	s_cbranch_execz .LBB10_105
; %bb.104:
	v_mul_u32_u24_e32 v5, 33, v4
	v_mov_b32_e32 v14, 0
	v_add_lshl_u32 v5, v5, v0, 3
	v_mov_b32_e32 v15, v14
	ds_write_b64 v5, v[14:15]
.LBB10_105:
	s_andn2_saveexec_b64 s[14:15], s[14:15]
	s_cbranch_execz .LBB10_107
; %bb.106:
	s_lshl_b32 s16, s20, 3
	s_ashr_i32 s17, s16, 31
	s_lshl_b64 s[16:17], s[16:17], 3
	v_mov_b32_e32 v5, s17
	v_add_co_u32_e32 v14, vcc, s16, v2
	v_addc_co_u32_e32 v15, vcc, v3, v5, vcc
	global_load_dwordx2 v[14:15], v[14:15], off
	s_waitcnt vmcnt(0)
	ds_write_b64 v11, v[14:15] offset:2112
.LBB10_107:
	s_or_b64 exec, exec, s[14:15]
	v_add_u32_e32 v5, 16, v8
	v_cmp_le_i32_e32 vcc, s24, v5
	s_and_saveexec_b64 s[14:15], vcc
	s_xor_b64 s[14:15], exec, s[14:15]
	s_cbranch_execz .LBB10_109
; %bb.108:
	v_mul_u32_u24_e32 v9, 33, v5
	v_mov_b32_e32 v14, 0
	v_add_lshl_u32 v9, v9, v0, 3
	v_mov_b32_e32 v15, v14
	ds_write_b64 v9, v[14:15]
.LBB10_109:
	s_andn2_saveexec_b64 s[14:15], s[14:15]
	s_cbranch_execz .LBB10_111
; %bb.110:
	s_lshl_b32 s16, s20, 4
	s_ashr_i32 s17, s16, 31
	s_lshl_b64 s[16:17], s[16:17], 3
	v_mov_b32_e32 v9, s17
	v_add_co_u32_e32 v14, vcc, s16, v2
	v_addc_co_u32_e32 v15, vcc, v3, v9, vcc
	global_load_dwordx2 v[14:15], v[14:15], off
	s_waitcnt vmcnt(0)
	ds_write_b64 v11, v[14:15] offset:4224
.LBB10_111:
	s_or_b64 exec, exec, s[14:15]
	v_add_u32_e32 v9, 24, v8
	v_cmp_le_i32_e32 vcc, s24, v9
                                        ; implicit-def: $vgpr10
	s_and_saveexec_b64 s[14:15], vcc
	s_xor_b64 s[14:15], exec, s[14:15]
	s_cbranch_execz .LBB10_113
; %bb.112:
	v_mad_u32_u24 v10, v9, 33, v0
	v_mov_b32_e32 v14, 0
	v_lshlrev_b32_e32 v0, 3, v10
	v_mov_b32_e32 v15, v14
	ds_write_b64 v0, v[14:15]
                                        ; implicit-def: $vgpr11
.LBB10_113:
	s_andn2_saveexec_b64 s[14:15], s[14:15]
	s_cbranch_execz .LBB10_115
; %bb.114:
	s_mul_i32 s16, s20, 24
	s_ashr_i32 s17, s16, 31
	s_lshl_b64 s[16:17], s[16:17], 3
	v_mov_b32_e32 v0, s17
	v_add_co_u32_e32 v14, vcc, s16, v2
	v_addc_co_u32_e32 v15, vcc, v3, v0, vcc
	global_load_dwordx2 v[14:15], v[14:15], off
	v_add_u32_e32 v10, 0x318, v1
	s_waitcnt vmcnt(0)
	ds_write_b64 v11, v[14:15] offset:6336
.LBB10_115:
	s_or_b64 exec, exec, s[14:15]
	v_add_co_u32_e32 v0, vcc, v2, v7
	v_addc_co_u32_e32 v2, vcc, 0, v3, vcc
	v_mov_b32_e32 v3, s13
	v_subrev_co_u32_e32 v0, vcc, s12, v0
	v_subb_co_u32_e32 v2, vcc, v2, v3, vcc
	v_add_co_u32_e32 v0, vcc, 0x108, v0
	v_addc_co_u32_e32 v2, vcc, 0, v2, vcc
	v_cndmask_b32_e64 v25, v2, v25, s[8:9]
	v_cndmask_b32_e64 v24, v0, v24, s[8:9]
	v_add_u32_e32 v2, 0x108, v1
	v_add_u32_e32 v3, 0x210, v1
.LBB10_116:
	v_lshlrev_b32_e32 v0, 3, v1
	s_waitcnt lgkmcnt(0)
	s_barrier
	ds_read_b64 v[30:31], v0
	v_lshlrev_b32_e32 v7, 3, v8
	v_lshlrev_b32_e32 v13, 3, v2
	;; [unrolled: 1-line block ×7, first 2 shown]
	ds_read_b64 v[32:33], v0
	ds_read2_b64 v[8:11], v12 offset1:1
	ds_read2_b64 v[0:3], v12 offset0:2 offset1:3
	ds_read_b64 v[34:35], v4 offset:9088
	ds_read_b64 v[36:37], v13
	ds_read_b64 v[38:39], v7 offset:9088
	ds_read_b128 v[12:15], v6 offset:256
	ds_read_b128 v[4:7], v6 offset:272
	ds_read_b64 v[40:41], v40 offset:9088
	ds_read_b64 v[42:43], v42
	ds_read_b64 v[44:45], v44 offset:9088
	s_waitcnt lgkmcnt(5)
	v_pk_mul_f32 v[46:47], v[38:39], v[30:31] op_sel:[0,1]
	v_pk_fma_f32 v[48:49], v[38:39], v[30:31], v[46:47] op_sel:[0,0,1] op_sel_hi:[1,1,0] neg_lo:[0,0,1] neg_hi:[0,0,1]
	v_pk_fma_f32 v[30:31], v[38:39], v[30:31], v[46:47] op_sel:[0,0,1] op_sel_hi:[1,0,0]
	v_pk_mul_f32 v[38:39], v[34:35], v[36:37] op_sel:[0,1]
	v_pk_fma_f32 v[46:47], v[34:35], v[36:37], v[38:39] op_sel:[0,0,1] op_sel_hi:[1,1,0] neg_lo:[0,0,1] neg_hi:[0,0,1]
	v_pk_fma_f32 v[34:35], v[34:35], v[36:37], v[38:39] op_sel:[0,0,1] op_sel_hi:[1,0,0]
	v_mov_b32_e32 v47, v35
	s_waitcnt lgkmcnt(0)
	v_pk_mul_f32 v[34:35], v[44:45], v[32:33] op_sel:[0,1]
	v_mov_b32_e32 v49, v31
	v_pk_fma_f32 v[36:37], v[44:45], v[32:33], v[34:35] op_sel:[0,0,1] op_sel_hi:[1,1,0] neg_lo:[0,0,1] neg_hi:[0,0,1]
	v_pk_fma_f32 v[32:33], v[44:45], v[32:33], v[34:35] op_sel:[0,0,1] op_sel_hi:[1,0,0]
	v_pk_add_f32 v[30:31], v[48:49], 0 op_sel_hi:[1,0]
	v_mov_b32_e32 v37, v33
	v_pk_mul_f32 v[32:33], v[40:41], v[42:43] op_sel:[0,1]
	v_pk_add_f32 v[30:31], v[30:31], v[46:47]
	v_pk_fma_f32 v[34:35], v[40:41], v[42:43], v[32:33] op_sel:[0,0,1] op_sel_hi:[1,1,0] neg_lo:[0,0,1] neg_hi:[0,0,1]
	v_pk_fma_f32 v[32:33], v[40:41], v[42:43], v[32:33] op_sel:[0,0,1] op_sel_hi:[1,0,0]
	v_pk_add_f32 v[30:31], v[30:31], v[36:37]
	v_mov_b32_e32 v35, v33
	v_pk_add_f32 v[30:31], v[30:31], v[34:35]
	s_barrier
	ds_write_b64 v29, v[30:31]
	s_waitcnt lgkmcnt(0)
	s_barrier
	s_and_saveexec_b64 s[8:9], s[10:11]
	s_cbranch_execz .LBB10_118
; %bb.117:
	v_lshlrev_b32_e32 v42, 3, v28
	ds_read2_b64 v[30:33], v42 offset1:1
	ds_read2_b64 v[34:37], v42 offset0:2 offset1:3
	ds_read2_b64 v[38:41], v42 offset0:4 offset1:5
	s_waitcnt lgkmcnt(2)
	v_pk_add_f32 v[18:19], v[18:19], v[30:31]
	v_pk_add_f32 v[18:19], v[18:19], v[32:33]
	ds_read2_b64 v[30:33], v42 offset0:6 offset1:7
	s_waitcnt lgkmcnt(2)
	v_pk_add_f32 v[18:19], v[18:19], v[34:35]
	v_pk_add_f32 v[18:19], v[18:19], v[36:37]
	s_waitcnt lgkmcnt(1)
	v_pk_add_f32 v[18:19], v[18:19], v[38:39]
	v_pk_add_f32 v[18:19], v[18:19], v[40:41]
	;; [unrolled: 3-line block ×3, first 2 shown]
.LBB10_118:
	s_or_b64 exec, exec, s[8:9]
	v_pk_mul_f32 v[30:31], v[8:9], v[12:13] op_sel:[1,0]
	v_pk_fma_f32 v[32:33], v[8:9], v[12:13], v[30:31] op_sel:[0,0,1] op_sel_hi:[1,1,0]
	v_pk_fma_f32 v[8:9], v[8:9], v[12:13], v[30:31] op_sel:[0,0,1] op_sel_hi:[0,1,0] neg_lo:[0,0,1] neg_hi:[0,0,1]
	v_mov_b32_e32 v12, v11
	v_pk_mul_f32 v[12:13], v[12:13], v[14:15] op_sel_hi:[0,1]
	v_pk_fma_f32 v[30:31], v[10:11], v[14:15], v[12:13] op_sel:[0,0,1] op_sel_hi:[1,1,0]
	v_pk_fma_f32 v[10:11], v[10:11], v[14:15], v[12:13] op_sel:[0,0,1] op_sel_hi:[0,1,0] neg_lo:[0,0,1] neg_hi:[0,0,1]
	v_mov_b32_e32 v33, v9
	v_mov_b32_e32 v31, v11
	v_pk_mul_f32 v[10:11], v[0:1], v[4:5] op_sel:[1,0]
	v_pk_add_f32 v[8:9], v[32:33], 0 op_sel_hi:[1,0]
	v_pk_fma_f32 v[12:13], v[0:1], v[4:5], v[10:11] op_sel:[0,0,1] op_sel_hi:[1,1,0]
	v_pk_fma_f32 v[0:1], v[0:1], v[4:5], v[10:11] op_sel:[0,0,1] op_sel_hi:[0,1,0] neg_lo:[0,0,1] neg_hi:[0,0,1]
	v_mov_b32_e32 v4, v3
	v_pk_add_f32 v[8:9], v[8:9], v[30:31]
	v_mov_b32_e32 v13, v1
	v_pk_mul_f32 v[4:5], v[4:5], v[6:7] op_sel_hi:[0,1]
	v_pk_add_f32 v[0:1], v[8:9], v[12:13]
	v_pk_fma_f32 v[8:9], v[2:3], v[6:7], v[4:5] op_sel:[0,0,1] op_sel_hi:[1,1,0]
	v_pk_fma_f32 v[2:3], v[2:3], v[6:7], v[4:5] op_sel:[0,0,1] op_sel_hi:[0,1,0] neg_lo:[0,0,1] neg_hi:[0,0,1]
	v_mov_b32_e32 v9, v3
	v_pk_add_f32 v[0:1], v[0:1], v[8:9]
	s_barrier
	ds_write_b64 v29, v[0:1]
	s_waitcnt lgkmcnt(0)
	s_barrier
	s_and_saveexec_b64 s[8:9], s[4:5]
	s_cbranch_execz .LBB10_120
; %bb.119:
	v_lshlrev_b32_e32 v14, 3, v28
	ds_read2_b64 v[0:3], v14 offset1:1
	ds_read2_b64 v[4:7], v14 offset0:2 offset1:3
	ds_read2_b64 v[8:11], v14 offset0:4 offset1:5
	s_waitcnt lgkmcnt(2)
	v_pk_add_f32 v[0:1], v[18:19], v[0:1]
	v_pk_add_f32 v[12:13], v[0:1], v[2:3]
	ds_read2_b64 v[0:3], v14 offset0:6 offset1:7
	s_waitcnt lgkmcnt(2)
	v_pk_add_f32 v[4:5], v[12:13], v[4:5]
	v_pk_add_f32 v[4:5], v[4:5], v[6:7]
	s_waitcnt lgkmcnt(1)
	v_pk_add_f32 v[4:5], v[4:5], v[8:9]
	v_pk_add_f32 v[4:5], v[4:5], v[10:11]
	;; [unrolled: 3-line block ×3, first 2 shown]
.LBB10_120:
	s_or_b64 exec, exec, s[8:9]
	s_mul_hi_u32 s4, s40, s7
	s_mul_i32 s42, s42, s7
	s_add_i32 s4, s4, s42
	s_mul_i32 s7, s40, s7
	s_mul_i32 s4, s4, s41
	s_mul_hi_u32 s5, s7, s41
	s_add_i32 s5, s5, s4
	s_mul_i32 s4, s7, s41
	s_lshl_b64 s[4:5], s[4:5], 3
	s_add_u32 s7, s22, s4
	s_mul_i32 s4, s6, s40
	s_addc_u32 s8, s23, s5
	s_ashr_i32 s5, s4, 31
	s_lshl_b64 s[4:5], s[4:5], 3
	s_add_u32 s7, s7, s4
	v_cmp_le_i32_e32 vcc, s24, v26
	s_addc_u32 s27, s8, s5
	s_and_b64 vcc, s[30:31], vcc
	s_cmp_lt_i32 s6, 1
	v_lshlrev_b32_e32 v72, 3, v26
	s_barrier
	s_cbranch_scc1 .LBB10_127
; %bb.121:
	s_mul_i32 s4, s26, s33
	s_ashr_i32 s5, s4, 31
	s_lshl_b64 s[4:5], s[4:5], 3
	v_mov_b32_e32 v0, s5
	v_subrev_co_u32_e64 v73, s[4:5], s4, v20
	v_subb_co_u32_e64 v74, s[4:5], v21, v0, s[4:5]
	v_mov_b32_e32 v0, s29
	v_subrev_co_u32_e64 v1, s[4:5], s28, v24
	v_subb_co_u32_e64 v0, s[4:5], v25, v0, s[4:5]
	v_sub_co_u32_e64 v4, s[4:5], v1, v22
	v_subb_co_u32_e64 v5, s[4:5], v0, v23, s[4:5]
	v_mul_lo_u32 v0, v17, s20
	v_lshl_add_u32 v0, v0, 2, v26
	v_ashrrev_i32_e32 v1, 31, v0
	v_lshlrev_b64 v[0:1], 3, v[0:1]
	v_add_co_u32_e64 v0, s[4:5], v4, v0
	v_addc_co_u32_e64 v1, s[4:5], v5, v1, s[4:5]
	s_movk_i32 s4, 0xff00
	v_add_co_u32_e64 v4, s[4:5], s4, v0
	v_addc_co_u32_e64 v5, s[4:5], -1, v1, s[4:5]
	v_sub_co_u32_e64 v0, s[4:5], v0, v72
	v_subbrev_co_u32_e64 v1, s[4:5], 0, v1, s[4:5]
	s_ashr_i32 s25, s24, 31
	s_lshl_b64 s[4:5], s[24:25], 3
	v_mov_b32_e32 v6, s5
	v_add_co_u32_e64 v0, s[4:5], s4, v0
	v_addc_co_u32_e64 v1, s[4:5], v1, v6, s[4:5]
	s_movk_i32 s4, 0xfef8
	v_add_co_u32_e64 v0, s[4:5], s4, v0
	v_addc_co_u32_e64 v1, s[4:5], -1, v1, s[4:5]
	v_cndmask_b32_e32 v14, v4, v0, vcc
	v_and_b32_e32 v0, 48, v26
	v_and_b32_e32 v2, 15, v26
	v_cndmask_b32_e32 v15, v5, v1, vcc
	v_lshlrev_b32_e32 v1, 3, v0
	s_movk_i32 s8, 0x218
	v_lshrrev_b32_e32 v3, 4, v27
	v_mad_u32_u24 v77, v2, s8, v1
	v_or_b32_e32 v1, 0x78, v72
	v_mad_u32_u24 v78, v2, s8, v1
	v_lshlrev_b32_e32 v1, 5, v3
	v_mad_u32_u24 v79, v2, s8, v1
	v_mov_b32_e32 v1, 0x2180
	s_ashr_i32 s21, s20, 31
	v_lshl_add_u32 v80, v17, 5, v1
	s_movk_i32 s9, 0x860
	v_lshlrev_b32_e32 v1, 3, v3
	v_mad_u32_u24 v81, v17, s9, v72
	v_mad_u32_u24 v82, v2, s8, v1
	s_lshl_b64 s[10:11], s[20:21], 3
	s_lshl_b64 s[14:15], s[20:21], 4
	s_mul_hi_i32 s8, s20, 24
	s_mul_hi_i32 s9, s20, 0x90
	;; [unrolled: 1-line block ×10, first 2 shown]
	s_lshl_b64 s[16:17], s[20:21], 8
	s_mul_hi_i32 s44, s20, 0x88
	s_lshl_b64 s[18:19], s[20:21], 7
	v_mov_b32_e32 v13, 0
	s_lshl_b32 s24, s33, 6
	v_add_u32_e32 v75, 0x2180, v72
	v_add_u32_e32 v76, 0x2380, v72
	v_cmp_gt_u32_e64 s[4:5], 64, v27
	s_lshl_b64 s[12:13], s[20:21], 9
	s_mul_i32 s25, s20, 24
	s_mul_i32 s26, s20, 0x90
	;; [unrolled: 1-line block ×11, first 2 shown]
	v_or_b32_e32 v12, v0, v2
	s_mov_b32 s20, 0
	v_mov_b32_e32 v83, s11
	v_mov_b32_e32 v84, s15
	;; [unrolled: 1-line block ×15, first 2 shown]
	s_branch .LBB10_123
.LBB10_122:                             ;   in Loop: Header=BB10_123 Depth=1
	s_or_b64 exec, exec, s[22:23]
	v_mul_f32_e32 v98, v20, v28
	v_fma_f32 v98, -v21, v29, v98
	v_pk_mul_f32 v[20:21], v[20:21], v[28:29] op_sel:[1,0] op_sel_hi:[0,1]
	v_add_f32_e32 v20, v20, v21
	v_add_f32_e32 v20, v19, v20
	v_mul_f32_e32 v19, v22, v42
	v_add_f32_e32 v18, v18, v98
	v_fma_f32 v19, -v23, v43, v19
	v_add_f32_e32 v21, v18, v19
	v_pk_mul_f32 v[18:19], v[22:23], v[42:43] op_sel:[1,0] op_sel_hi:[0,1]
	v_add_f32_e32 v18, v18, v19
	v_add_f32_e32 v20, v20, v18
	v_mul_f32_e32 v18, v24, v38
	v_fma_f32 v18, -v25, v39, v18
	v_add_f32_e32 v21, v21, v18
	v_pk_mul_f32 v[18:19], v[24:25], v[38:39] op_sel:[1,0] op_sel_hi:[0,1]
	v_add_f32_e32 v18, v18, v19
	v_add_f32_e32 v20, v20, v18
	v_mul_f32_e32 v18, v26, v34
	;; [unrolled: 6-line block ×4, first 2 shown]
	v_fma_f32 v18, -v33, v59, v18
	v_add_f32_e32 v18, v21, v18
	v_pk_mul_f32 v[20:21], v[32:33], v[58:59] op_sel:[1,0] op_sel_hi:[0,1]
	v_add_f32_e32 v20, v20, v21
	v_add_f32_e32 v19, v19, v20
	v_mov_b32_e32 v20, v57
	v_pk_mul_f32 v[20:21], v[30:31], v[20:21] op_sel:[1,0] op_sel_hi:[0,1]
	v_pk_fma_f32 v[20:21], v[30:31], v[56:57], v[20:21] neg_lo:[0,0,1] neg_hi:[0,0,1]
	v_pk_mul_f32 v[22:23], v[30:31], v[56:57] op_sel:[1,0] op_sel_hi:[0,1]
	v_mov_b32_e32 v21, v22
	v_pk_fma_f32 v[22:23], v[30:31], v[56:57], v[20:21] op_sel:[1,0,0] op_sel_hi:[0,1,1]
	v_pk_mul_f32 v[26:27], v[36:37], v[54:55] op_sel:[1,0] op_sel_hi:[0,1]
	v_mov_b32_e32 v22, v55
	v_mov_b32_e32 v21, v26
	v_pk_mul_f32 v[24:25], v[36:37], v[22:23] op_sel:[1,0] op_sel_hi:[0,1]
	v_pk_fma_f32 v[26:27], v[36:37], v[54:55], v[20:21] op_sel:[1,0,0] op_sel_hi:[0,1,1]
	v_mov_b32_e32 v21, v23
	v_pk_fma_f32 v[24:25], v[36:37], v[54:55], v[24:25] neg_lo:[0,0,1] neg_hi:[0,0,1]
	v_pk_add_f32 v[18:19], v[18:19], v[20:21]
	v_pk_mul_f32 v[20:21], v[50:51], v[64:65] op_sel:[1,1] op_sel_hi:[0,1]
	v_mov_b32_e32 v25, v27
	v_pk_mul_f32 v[22:23], v[48:49], v[8:9] op_sel:[0,1]
	v_pk_fma_f32 v[28:29], v[50:51], v[64:65], v[20:21] neg_lo:[0,0,1] neg_hi:[0,0,1]
	v_pk_fma_f32 v[20:21], v[50:51], v[64:65], v[20:21] op_sel_hi:[1,0,1]
	v_pk_add_f32 v[18:19], v[18:19], v[24:25]
	v_mov_b32_e32 v24, v11
	v_mov_b32_e32 v29, v21
	v_pk_fma_f32 v[20:21], v[48:49], v[8:9], v[22:23] op_sel:[0,0,1] op_sel_hi:[1,1,0] neg_lo:[0,0,1] neg_hi:[0,0,1]
	v_pk_fma_f32 v[8:9], v[48:49], v[8:9], v[22:23] op_sel:[0,0,1] op_sel_hi:[1,0,0]
	v_pk_mul_f32 v[24:25], v[44:45], v[24:25] op_sel_hi:[1,0]
	v_pk_add_f32 v[18:19], v[18:19], v[28:29]
	v_mov_b32_e32 v21, v9
	v_pk_add_f32 v[8:9], v[18:19], v[20:21]
	v_pk_fma_f32 v[18:19], v[44:45], v[10:11], v[24:25] op_sel:[0,0,1] op_sel_hi:[1,1,0] neg_lo:[0,0,1] neg_hi:[0,0,1]
	v_pk_fma_f32 v[10:11], v[44:45], v[10:11], v[24:25] op_sel:[0,0,1] op_sel_hi:[1,0,0]
	v_pk_mul_f32 v[26:27], v[46:47], v[66:67] op_sel:[0,1]
	v_mov_b32_e32 v19, v11
	v_pk_add_f32 v[8:9], v[8:9], v[18:19]
	v_pk_fma_f32 v[10:11], v[46:47], v[66:67], v[26:27] op_sel:[0,0,1] op_sel_hi:[1,1,0] neg_lo:[0,0,1] neg_hi:[0,0,1]
	v_pk_fma_f32 v[18:19], v[46:47], v[66:67], v[26:27] op_sel:[0,0,1] op_sel_hi:[1,0,0]
	v_mov_b32_e32 v11, v19
	v_pk_add_f32 v[8:9], v[8:9], v[10:11]
	v_pk_mul_f32 v[10:11], v[70:71], v[0:1] op_sel:[0,1]
	v_pk_mul_f32 v[18:19], v[68:69], v[6:7] op_sel:[0,1]
	v_pk_fma_f32 v[24:25], v[70:71], v[0:1], v[10:11] op_sel:[0,0,1] op_sel_hi:[1,1,0] neg_lo:[0,0,1] neg_hi:[0,0,1]
	v_pk_fma_f32 v[0:1], v[70:71], v[0:1], v[10:11] op_sel:[0,0,1] op_sel_hi:[1,0,0]
	v_pk_mul_f32 v[20:21], v[60:61], v[4:5] op_sel:[0,1]
	v_mov_b32_e32 v25, v1
	v_pk_fma_f32 v[0:1], v[68:69], v[6:7], v[18:19] op_sel:[0,0,1] op_sel_hi:[1,1,0] neg_lo:[0,0,1] neg_hi:[0,0,1]
	v_pk_fma_f32 v[6:7], v[68:69], v[6:7], v[18:19] op_sel:[0,0,1] op_sel_hi:[1,0,0]
	v_pk_mul_f32 v[22:23], v[62:63], v[2:3] op_sel:[0,1]
	v_mov_b32_e32 v1, v7
	v_pk_fma_f32 v[6:7], v[60:61], v[4:5], v[20:21] op_sel:[0,0,1] op_sel_hi:[1,1,0] neg_lo:[0,0,1] neg_hi:[0,0,1]
	v_pk_fma_f32 v[4:5], v[60:61], v[4:5], v[20:21] op_sel:[0,0,1] op_sel_hi:[1,0,0]
	v_mov_b32_e32 v7, v5
	v_pk_fma_f32 v[4:5], v[62:63], v[2:3], v[22:23] op_sel:[0,0,1] op_sel_hi:[1,1,0] neg_lo:[0,0,1] neg_hi:[0,0,1]
	v_pk_fma_f32 v[2:3], v[62:63], v[2:3], v[22:23] op_sel:[0,0,1] op_sel_hi:[1,0,0]
	v_mov_b32_e32 v5, v3
	v_pk_add_f32 v[2:3], v[8:9], v[24:25]
	v_pk_add_f32 v[0:1], v[2:3], v[0:1]
	;; [unrolled: 1-line block ×4, first 2 shown]
	v_mov_b32_e32 v0, s13
	v_add_co_u32_e64 v14, s[8:9], s12, v14
	s_add_i32 s6, s6, -1
	s_add_i32 s20, s20, s24
	v_addc_co_u32_e64 v15, s[8:9], v15, v0, s[8:9]
	s_cmp_eq_u32 s6, 0
	v_add_u32_e32 v12, 64, v12
	s_barrier
	s_cbranch_scc1 .LBB10_127
.LBB10_123:                             ; =>This Inner Loop Header: Depth=1
	s_and_saveexec_b64 s[22:23], s[2:3]
	s_cbranch_execz .LBB10_125
; %bb.124:                              ;   in Loop: Header=BB10_123 Depth=1
	s_ashr_i32 s21, s20, 31
	s_lshl_b64 s[8:9], s[20:21], 3
	v_mov_b32_e32 v1, s9
	v_add_co_u32_e64 v0, s[8:9], s8, v73
	v_addc_co_u32_e64 v1, s[8:9], v74, v1, s[8:9]
	global_load_dwordx2 v[0:1], v[0:1], off
	s_waitcnt vmcnt(0)
	ds_write_b64 v75, v[0:1]
.LBB10_125:                             ;   in Loop: Header=BB10_123 Depth=1
	s_or_b64 exec, exec, s[22:23]
	v_add_co_u32_e64 v0, s[8:9], s10, v14
	v_addc_co_u32_e64 v1, s[8:9], v15, v83, s[8:9]
	v_add_co_u32_e64 v2, s[8:9], s14, v14
	s_waitcnt lgkmcnt(0)
	s_barrier
	global_load_dwordx2 v[20:21], v[14:15], off
	v_addc_co_u32_e64 v3, s[8:9], v15, v84, s[8:9]
	global_load_dwordx2 v[22:23], v[0:1], off
	global_load_dwordx2 v[24:25], v[2:3], off
	v_add_co_u32_e64 v0, s[8:9], s25, v14
	v_addc_co_u32_e64 v1, s[8:9], v15, v85, s[8:9]
	global_load_dwordx2 v[26:27], v[0:1], off
	ds_read_b64 v[0:1], v76
	ds_read_b64 v[28:29], v80
	v_add_co_u32_e64 v8, s[8:9], s18, v14
	v_addc_co_u32_e64 v9, s[8:9], v15, v86, s[8:9]
	v_add_co_u32_e64 v10, s[8:9], s37, v14
	v_addc_co_u32_e64 v11, s[8:9], v15, v87, s[8:9]
	;; [unrolled: 2-line block ×3, first 2 shown]
	s_waitcnt vmcnt(3) lgkmcnt(1)
	v_mul_f32_e32 v2, v21, v1
	v_mul_f32_e32 v3, v21, v0
	v_fmac_f32_e32 v2, v20, v0
	v_fma_f32 v3, v20, v1, -v3
	s_waitcnt vmcnt(2)
	v_mul_f32_e32 v4, v23, v1
	v_mul_f32_e32 v5, v23, v0
	s_waitcnt vmcnt(1)
	v_mul_f32_e32 v6, v25, v1
	v_mul_f32_e32 v7, v25, v0
	ds_write_b64 v81, v[2:3]
	v_fmac_f32_e32 v4, v22, v0
	v_fma_f32 v5, v22, v1, -v5
	s_waitcnt vmcnt(0)
	v_mul_f32_e32 v30, v27, v1
	v_mul_f32_e32 v31, v27, v0
	v_fmac_f32_e32 v6, v24, v0
	v_fma_f32 v7, v24, v1, -v7
	ds_read_b64 v[42:43], v80 offset:8
	ds_write_b64 v81, v[4:5] offset:536
	v_fmac_f32_e32 v30, v26, v0
	v_fma_f32 v31, v26, v1, -v31
	ds_read_b64 v[38:39], v80 offset:16
	ds_write_b64 v81, v[6:7] offset:1072
	ds_read_b64 v[34:35], v80 offset:24
	ds_write_b64 v81, v[30:31] offset:1608
	s_waitcnt lgkmcnt(0)
	s_barrier
	ds_read2_b64 v[4:7], v79 offset1:1
	ds_read2_b64 v[0:3], v79 offset0:2 offset1:3
	s_waitcnt lgkmcnt(0)
	s_barrier
	global_load_dwordx2 v[40:41], v[8:9], off
	global_load_dwordx2 v[32:33], v[10:11], off
	;; [unrolled: 1-line block ×3, first 2 shown]
	v_add_co_u32_e64 v8, s[8:9], s28, v14
	v_addc_co_u32_e64 v9, s[8:9], v15, v89, s[8:9]
	global_load_dwordx2 v[36:37], v[8:9], off
	ds_read_b64 v[44:45], v76
	ds_read_b64 v[52:53], v80 offset:128
	v_add_co_u32_e64 v8, s[8:9], s16, v14
	v_addc_co_u32_e64 v9, s[8:9], v15, v90, s[8:9]
	v_add_co_u32_e64 v10, s[8:9], s36, v14
	v_addc_co_u32_e64 v11, s[8:9], v15, v91, s[8:9]
	;; [unrolled: 2-line block ×3, first 2 shown]
	v_pk_add_f32 v[4:5], v[4:5], 0 op_sel_hi:[1,0]
	v_pk_add_f32 v[4:5], v[4:5], v[6:7]
	v_pk_add_f32 v[0:1], v[4:5], v[0:1]
	s_waitcnt vmcnt(3) lgkmcnt(1)
	v_mul_f32_e32 v48, v41, v45
	v_mul_f32_e32 v49, v41, v44
	s_waitcnt vmcnt(2)
	v_mul_f32_e32 v50, v33, v45
	v_mul_f32_e32 v51, v33, v44
	v_fmac_f32_e32 v48, v40, v44
	v_fma_f32 v49, v40, v45, -v49
	s_waitcnt vmcnt(1)
	v_mul_f32_e32 v54, v31, v45
	v_mul_f32_e32 v55, v31, v44
	v_fmac_f32_e32 v50, v32, v44
	v_fma_f32 v51, v32, v45, -v51
	ds_write_b64 v81, v[48:49]
	s_waitcnt vmcnt(0)
	v_mul_f32_e32 v60, v37, v45
	v_mul_f32_e32 v56, v37, v44
	v_fmac_f32_e32 v54, v30, v44
	v_fma_f32 v55, v30, v45, -v55
	ds_read_b64 v[58:59], v80 offset:136
	ds_write_b64 v81, v[50:51] offset:536
	v_fmac_f32_e32 v60, v36, v44
	v_fma_f32 v61, v36, v45, -v56
	ds_read_b64 v[56:57], v80 offset:144
	ds_write_b64 v81, v[54:55] offset:1072
	ds_read_b64 v[54:55], v80 offset:152
	ds_write_b64 v81, v[60:61] offset:1608
	s_waitcnt lgkmcnt(0)
	s_barrier
	ds_read2_b64 v[98:101], v79 offset1:1
	ds_read2_b64 v[102:105], v79 offset0:2 offset1:3
	s_waitcnt lgkmcnt(0)
	s_barrier
	global_load_dwordx2 v[50:51], v[8:9], off
	global_load_dwordx2 v[48:49], v[10:11], off
	;; [unrolled: 1-line block ×3, first 2 shown]
	v_add_co_u32_e64 v8, s[8:9], s30, v14
	v_addc_co_u32_e64 v9, s[8:9], v15, v93, s[8:9]
	global_load_dwordx2 v[46:47], v[8:9], off
	ds_read_b64 v[8:9], v76
	ds_read_b64 v[64:65], v80 offset:256
	v_add_co_u32_e64 v62, s[8:9], s35, v14
	v_addc_co_u32_e64 v63, s[8:9], v15, v94, s[8:9]
	v_add_co_u32_e64 v114, s[8:9], s34, v14
	v_addc_co_u32_e64 v115, s[8:9], v15, v95, s[8:9]
	v_add_co_u32_e64 v116, s[8:9], s31, v14
	v_addc_co_u32_e64 v117, s[8:9], v15, v96, s[8:9]
	s_waitcnt vmcnt(3) lgkmcnt(1)
	v_mul_f32_e32 v10, v51, v9
	v_mul_f32_e32 v11, v51, v8
	s_waitcnt vmcnt(2)
	v_mul_f32_e32 v60, v49, v9
	v_mul_f32_e32 v61, v49, v8
	s_waitcnt vmcnt(1)
	v_mul_f32_e32 v66, v45, v8
	v_mul_f32_e32 v68, v45, v9
	v_fma_f32 v11, v50, v9, -v11
	s_waitcnt vmcnt(0)
	v_mul_f32_e32 v67, v47, v8
	v_mul_f32_e32 v70, v47, v9
	v_fmac_f32_e32 v10, v50, v8
	v_fma_f32 v61, v48, v9, -v61
	v_fma_f32 v69, v44, v9, -v66
	v_fmac_f32_e32 v60, v48, v8
	v_fmac_f32_e32 v68, v44, v8
	v_fma_f32 v71, v46, v9, -v67
	v_fmac_f32_e32 v70, v46, v8
	ds_write_b64 v81, v[10:11]
	ds_read_b64 v[66:67], v80 offset:280
	ds_read2_b64 v[8:11], v80 offset0:33 offset1:34
	ds_write2_b64 v81, v[60:61], v[68:69] offset0:67 offset1:134
	ds_write_b64 v81, v[70:71] offset:1608
	s_waitcnt lgkmcnt(0)
	s_barrier
	ds_read2_b64 v[106:109], v79 offset1:1
	ds_read2_b64 v[110:113], v79 offset0:2 offset1:3
	s_waitcnt lgkmcnt(0)
	s_barrier
	global_load_dwordx2 v[70:71], v[62:63], off
	global_load_dwordx2 v[68:69], v[114:115], off
	;; [unrolled: 1-line block ×3, first 2 shown]
	v_add_co_u32_e64 v62, s[8:9], s33, v14
	v_addc_co_u32_e64 v63, s[8:9], v15, v97, s[8:9]
	global_load_dwordx2 v[62:63], v[62:63], off
	v_pk_add_f32 v[114:115], v[0:1], v[2:3]
	v_pk_add_f32 v[0:1], v[98:99], 0 op_sel_hi:[1,0]
	v_pk_add_f32 v[0:1], v[0:1], v[100:101]
	v_pk_add_f32 v[0:1], v[0:1], v[102:103]
	;; [unrolled: 1-line block ×3, first 2 shown]
	ds_read_b64 v[2:3], v76
	ds_read_b64 v[0:1], v80 offset:384
	v_pk_add_f32 v[4:5], v[106:107], 0 op_sel_hi:[1,0]
	v_pk_add_f32 v[4:5], v[4:5], v[108:109]
	v_pk_add_f32 v[4:5], v[4:5], v[110:111]
	;; [unrolled: 1-line block ×3, first 2 shown]
	s_waitcnt vmcnt(3) lgkmcnt(1)
	v_mul_f32_e32 v5, v71, v2
	v_mul_f32_e32 v4, v71, v3
	s_waitcnt vmcnt(2)
	v_mul_f32_e32 v6, v69, v2
	v_mul_f32_e32 v98, v69, v3
	v_fma_f32 v5, v70, v3, -v5
	v_fmac_f32_e32 v4, v70, v2
	s_waitcnt vmcnt(1)
	v_mul_f32_e32 v7, v61, v2
	v_mul_f32_e32 v100, v61, v3
	v_fma_f32 v99, v68, v3, -v6
	v_fmac_f32_e32 v98, v68, v2
	ds_write_b64 v81, v[4:5]
	s_waitcnt vmcnt(0)
	v_mul_f32_e32 v103, v63, v2
	v_mul_f32_e32 v102, v63, v3
	v_fma_f32 v101, v60, v3, -v7
	v_fmac_f32_e32 v100, v60, v2
	ds_read_b64 v[6:7], v80 offset:392
	ds_write_b64 v81, v[98:99] offset:536
	v_fma_f32 v103, v62, v3, -v103
	v_fmac_f32_e32 v102, v62, v2
	ds_read_b64 v[4:5], v80 offset:400
	ds_write_b64 v81, v[100:101] offset:1072
	ds_read_b64 v[2:3], v80 offset:408
	ds_write_b64 v81, v[102:103] offset:1608
	s_waitcnt lgkmcnt(0)
	s_barrier
	ds_read2_b64 v[98:101], v79 offset1:1
	ds_read2_b64 v[102:105], v79 offset0:2 offset1:3
	s_waitcnt lgkmcnt(0)
	s_barrier
	v_pk_add_f32 v[98:99], v[98:99], 0 op_sel_hi:[1,0]
	v_pk_add_f32 v[98:99], v[98:99], v[100:101]
	v_pk_add_f32 v[98:99], v[98:99], v[102:103]
	;; [unrolled: 1-line block ×3, first 2 shown]
	ds_write2_b64 v82, v[114:115], v[116:117] offset1:16
	ds_write2_b64 v82, v[106:107], v[98:99] offset0:32 offset1:48
	s_waitcnt lgkmcnt(0)
	s_barrier
	s_and_saveexec_b64 s[22:23], s[4:5]
	s_cbranch_execz .LBB10_122
; %bb.126:                              ;   in Loop: Header=BB10_123 Depth=1
	ds_read_b64 v[106:107], v77
	ds_read2_b64 v[98:101], v77 offset0:1 offset1:2
	ds_read2_b64 v[102:105], v77 offset0:3 offset1:4
	v_lshlrev_b64 v[108:109], 3, v[12:13]
	v_mov_b32_e32 v111, s27
	v_add_co_u32_e64 v110, s[8:9], s7, v108
	s_waitcnt lgkmcnt(1)
	v_add_f32_e32 v98, v98, v106
	v_add_f32_e32 v99, v99, v107
	;; [unrolled: 1-line block ×4, first 2 shown]
	ds_read2_b64 v[98:101], v77 offset0:5 offset1:6
	s_waitcnt lgkmcnt(1)
	v_add_f32_e32 v102, v106, v102
	v_add_f32_e32 v103, v107, v103
	;; [unrolled: 1-line block ×4, first 2 shown]
	ds_read2_b64 v[102:105], v77 offset0:7 offset1:8
	v_addc_co_u32_e64 v111, s[8:9], v111, v109, s[8:9]
	s_waitcnt lgkmcnt(1)
	v_pk_add_f32 v[98:99], v[106:107], v[98:99]
	ds_read2_b64 v[106:109], v77 offset0:9 offset1:10
	v_pk_add_f32 v[98:99], v[98:99], v[100:101]
	s_waitcnt lgkmcnt(1)
	v_pk_add_f32 v[98:99], v[98:99], v[102:103]
	v_pk_add_f32 v[102:103], v[98:99], v[104:105]
	ds_read2_b64 v[98:101], v77 offset0:11 offset1:12
	s_waitcnt lgkmcnt(1)
	v_pk_add_f32 v[106:107], v[102:103], v[106:107]
	ds_read2_b64 v[102:105], v77 offset0:13 offset1:14
	v_pk_add_f32 v[106:107], v[106:107], v[108:109]
	ds_read_b64 v[108:109], v78
	s_waitcnt lgkmcnt(2)
	v_pk_add_f32 v[98:99], v[106:107], v[98:99]
	v_pk_add_f32 v[98:99], v[98:99], v[100:101]
	s_waitcnt lgkmcnt(1)
	v_pk_add_f32 v[98:99], v[98:99], v[102:103]
	v_pk_add_f32 v[98:99], v[98:99], v[104:105]
	s_waitcnt lgkmcnt(0)
	v_pk_add_f32 v[98:99], v[98:99], v[108:109]
	global_store_dwordx2 v[110:111], v[98:99], off
	s_branch .LBB10_122
.LBB10_127:
	s_movk_i32 s2, 0x218
	s_or_b64 s[0:1], s[0:1], vcc
	v_mad_u32_u24 v0, v17, s2, v72
	s_xor_b64 s[0:1], s[0:1], -1
	ds_write_b64 v0, v[18:19]
	s_waitcnt lgkmcnt(0)
	s_barrier
	s_and_saveexec_b64 s[2:3], s[0:1]
	s_cbranch_execz .LBB10_129
; %bb.128:
	ds_read2_b64 v[0:3], v72 offset1:67
	ds_read2_b64 v[4:7], v72 offset0:134 offset1:201
	v_ashrrev_i32_e32 v17, 31, v16
	v_lshlrev_b64 v[8:9], 3, v[16:17]
	v_mov_b32_e32 v10, s27
	s_waitcnt lgkmcnt(1)
	v_pk_add_f32 v[0:1], v[2:3], v[0:1]
	v_add_co_u32_e32 v8, vcc, s7, v8
	s_waitcnt lgkmcnt(0)
	v_pk_add_f32 v[0:1], v[0:1], v[4:5]
	v_addc_co_u32_e32 v9, vcc, v10, v9, vcc
	v_pk_add_f32 v[0:1], v[0:1], v[6:7]
	global_store_dwordx2 v[8:9], v[0:1], off
.LBB10_129:
	s_endpgm
	.section	.rodata,"a",@progbits
	.p2align	6, 0x0
	.amdhsa_kernel _ZL26rocblas_hemvn_kernel_lowerILb1ELi64ELi4ELi33ELi32ELi16EiPK19rocblas_complex_numIfES3_PS1_EviT6_lT7_lT5_lS6_lS7_lS5_lT8_i
		.amdhsa_group_segment_fixed_size 9600
		.amdhsa_private_segment_fixed_size 0
		.amdhsa_kernarg_size 376
		.amdhsa_user_sgpr_count 6
		.amdhsa_user_sgpr_private_segment_buffer 1
		.amdhsa_user_sgpr_dispatch_ptr 0
		.amdhsa_user_sgpr_queue_ptr 0
		.amdhsa_user_sgpr_kernarg_segment_ptr 1
		.amdhsa_user_sgpr_dispatch_id 0
		.amdhsa_user_sgpr_flat_scratch_init 0
		.amdhsa_user_sgpr_kernarg_preload_length 0
		.amdhsa_user_sgpr_kernarg_preload_offset 0
		.amdhsa_user_sgpr_private_segment_size 0
		.amdhsa_uses_dynamic_stack 0
		.amdhsa_system_sgpr_private_segment_wavefront_offset 0
		.amdhsa_system_sgpr_workgroup_id_x 1
		.amdhsa_system_sgpr_workgroup_id_y 0
		.amdhsa_system_sgpr_workgroup_id_z 1
		.amdhsa_system_sgpr_workgroup_info 0
		.amdhsa_system_vgpr_workitem_id 1
		.amdhsa_next_free_vgpr 118
		.amdhsa_next_free_sgpr 46
		.amdhsa_accum_offset 120
		.amdhsa_reserve_vcc 1
		.amdhsa_reserve_flat_scratch 0
		.amdhsa_float_round_mode_32 0
		.amdhsa_float_round_mode_16_64 0
		.amdhsa_float_denorm_mode_32 3
		.amdhsa_float_denorm_mode_16_64 3
		.amdhsa_dx10_clamp 1
		.amdhsa_ieee_mode 1
		.amdhsa_fp16_overflow 0
		.amdhsa_tg_split 0
		.amdhsa_exception_fp_ieee_invalid_op 0
		.amdhsa_exception_fp_denorm_src 0
		.amdhsa_exception_fp_ieee_div_zero 0
		.amdhsa_exception_fp_ieee_overflow 0
		.amdhsa_exception_fp_ieee_underflow 0
		.amdhsa_exception_fp_ieee_inexact 0
		.amdhsa_exception_int_div_zero 0
	.end_amdhsa_kernel
	.section	.text._ZL26rocblas_hemvn_kernel_lowerILb1ELi64ELi4ELi33ELi32ELi16EiPK19rocblas_complex_numIfES3_PS1_EviT6_lT7_lT5_lS6_lS7_lS5_lT8_i,"axG",@progbits,_ZL26rocblas_hemvn_kernel_lowerILb1ELi64ELi4ELi33ELi32ELi16EiPK19rocblas_complex_numIfES3_PS1_EviT6_lT7_lT5_lS6_lS7_lS5_lT8_i,comdat
.Lfunc_end10:
	.size	_ZL26rocblas_hemvn_kernel_lowerILb1ELi64ELi4ELi33ELi32ELi16EiPK19rocblas_complex_numIfES3_PS1_EviT6_lT7_lT5_lS6_lS7_lS5_lT8_i, .Lfunc_end10-_ZL26rocblas_hemvn_kernel_lowerILb1ELi64ELi4ELi33ELi32ELi16EiPK19rocblas_complex_numIfES3_PS1_EviT6_lT7_lT5_lS6_lS7_lS5_lT8_i
                                        ; -- End function
	.section	.AMDGPU.csdata,"",@progbits
; Kernel info:
; codeLenInByte = 8264
; NumSgprs: 50
; NumVgprs: 118
; NumAgprs: 0
; TotalNumVgprs: 118
; ScratchSize: 0
; MemoryBound: 1
; FloatMode: 240
; IeeeMode: 1
; LDSByteSize: 9600 bytes/workgroup (compile time only)
; SGPRBlocks: 6
; VGPRBlocks: 14
; NumSGPRsForWavesPerEU: 50
; NumVGPRsForWavesPerEU: 118
; AccumOffset: 120
; Occupancy: 4
; WaveLimiterHint : 1
; COMPUTE_PGM_RSRC2:SCRATCH_EN: 0
; COMPUTE_PGM_RSRC2:USER_SGPR: 6
; COMPUTE_PGM_RSRC2:TRAP_HANDLER: 0
; COMPUTE_PGM_RSRC2:TGID_X_EN: 1
; COMPUTE_PGM_RSRC2:TGID_Y_EN: 0
; COMPUTE_PGM_RSRC2:TGID_Z_EN: 1
; COMPUTE_PGM_RSRC2:TIDIG_COMP_CNT: 1
; COMPUTE_PGM_RSRC3_GFX90A:ACCUM_OFFSET: 29
; COMPUTE_PGM_RSRC3_GFX90A:TG_SPLIT: 0
	.section	.text._ZL36rocblas_hemvn_kernel_lower_block_sumILi64EiPK19rocblas_complex_numIfEPS1_S1_EviT1_lS5_lT2_lT0_lPT3_i,"axG",@progbits,_ZL36rocblas_hemvn_kernel_lower_block_sumILi64EiPK19rocblas_complex_numIfEPS1_S1_EviT1_lS5_lT2_lT0_lPT3_i,comdat
	.globl	_ZL36rocblas_hemvn_kernel_lower_block_sumILi64EiPK19rocblas_complex_numIfEPS1_S1_EviT1_lS5_lT2_lT0_lPT3_i ; -- Begin function _ZL36rocblas_hemvn_kernel_lower_block_sumILi64EiPK19rocblas_complex_numIfEPS1_S1_EviT1_lS5_lT2_lT0_lPT3_i
	.p2align	8
	.type	_ZL36rocblas_hemvn_kernel_lower_block_sumILi64EiPK19rocblas_complex_numIfEPS1_S1_EviT1_lS5_lT2_lT0_lPT3_i,@function
_ZL36rocblas_hemvn_kernel_lower_block_sumILi64EiPK19rocblas_complex_numIfEPS1_S1_EviT1_lS5_lT2_lT0_lPT3_i: ; @_ZL36rocblas_hemvn_kernel_lower_block_sumILi64EiPK19rocblas_complex_numIfEPS1_S1_EviT1_lS5_lT2_lT0_lPT3_i
; %bb.0:
	s_load_dwordx8 s[8:15], s[4:5], 0x8
	s_waitcnt lgkmcnt(0)
	s_mul_i32 s0, s7, s11
	s_mul_hi_u32 s1, s7, s10
	s_add_i32 s1, s1, s0
	s_mul_i32 s0, s7, s10
	s_lshl_b64 s[0:1], s[0:1], 3
	s_add_u32 s0, s8, s0
	s_mul_i32 s2, s7, s15
	s_mul_hi_u32 s3, s7, s14
	s_addc_u32 s1, s9, s1
	s_add_i32 s9, s3, s2
	s_mul_i32 s8, s7, s14
	s_load_dwordx2 s[2:3], s[0:1], 0x0
	s_lshl_b64 s[0:1], s[8:9], 3
	s_add_u32 s0, s12, s0
	s_addc_u32 s1, s13, s1
	s_load_dwordx2 s[8:9], s[0:1], 0x0
	s_waitcnt lgkmcnt(0)
	s_or_b32 s0, s2, s3
	s_bitset0_b32 s0, 31
	s_cmp_eq_u32 s0, 0
	s_cselect_b64 s[0:1], -1, 0
	v_cmp_eq_f32_e64 s[10:11], s8, 1.0
	v_cmp_eq_f32_e64 s[12:13], s9, 0
	s_and_b64 s[10:11], s[10:11], s[12:13]
	s_and_b64 s[10:11], s[0:1], s[10:11]
	s_and_b64 vcc, exec, s[10:11]
	s_cbranch_vccnz .LBB11_17
; %bb.1:
	s_load_dwordx2 s[18:19], s[4:5], 0x40
	s_load_dword s16, s[4:5], 0x38
	s_load_dwordx4 s[12:15], s[4:5], 0x28
	s_load_dword s10, s[4:5], 0x0
	v_lshl_or_b32 v4, s6, 6, v0
	s_waitcnt lgkmcnt(0)
	s_mul_i32 s11, s7, s19
	s_mul_hi_u32 s17, s7, s18
	s_add_i32 s19, s17, s11
	s_mul_i32 s18, s7, s18
	s_lshl_b64 s[18:19], s[18:19], 3
	s_add_u32 s11, s12, s18
	s_addc_u32 s17, s13, s19
	s_lshl_b64 s[12:13], s[14:15], 3
	s_add_u32 s14, s11, s12
	s_addc_u32 s15, s17, s13
	s_mov_b64 s[12:13], -1
	s_andn2_b64 vcc, exec, s[0:1]
	v_cmp_gt_i32_e64 s[0:1], s10, v4
	s_cbranch_vccnz .LBB11_7
; %bb.2:
	s_and_saveexec_b64 s[12:13], s[0:1]
	s_cbranch_execz .LBB11_6
; %bb.3:
	v_cmp_neq_f32_e64 s[0:1], s8, 0
	v_cmp_neq_f32_e64 s[18:19], s9, 0
	v_mul_lo_u32 v0, v4, s16
	v_ashrrev_i32_e32 v1, 31, v0
	s_or_b64 s[0:1], s[0:1], s[18:19]
	s_andn2_b64 vcc, exec, s[0:1]
	v_mov_b32_e32 v2, 0
	v_lshlrev_b64 v[0:1], 3, v[0:1]
	v_mov_b32_e32 v3, 0
	s_cbranch_vccnz .LBB11_5
; %bb.4:
	v_mov_b32_e32 v3, s15
	v_add_co_u32_e32 v2, vcc, s14, v0
	v_addc_co_u32_e32 v3, vcc, v3, v1, vcc
	global_load_dwordx2 v[6:7], v[2:3], off
	s_waitcnt vmcnt(0)
	v_pk_mul_f32 v[8:9], v[6:7], s[8:9] op_sel:[1,0]
	v_pk_fma_f32 v[2:3], v[6:7], s[8:9], v[8:9] op_sel:[0,0,1] op_sel_hi:[1,1,0] neg_lo:[0,0,1] neg_hi:[0,0,1]
	v_pk_fma_f32 v[6:7], v[6:7], s[8:9], v[8:9] op_sel:[0,0,1] op_sel_hi:[0,1,0]
	v_mov_b32_e32 v3, v7
.LBB11_5:
	v_mov_b32_e32 v5, s15
	v_add_co_u32_e32 v0, vcc, s14, v0
	v_addc_co_u32_e32 v1, vcc, v5, v1, vcc
	global_store_dwordx2 v[0:1], v[2:3], off
.LBB11_6:
	s_or_b64 exec, exec, s[12:13]
	s_mov_b64 s[12:13], 0
.LBB11_7:
	s_andn2_b64 vcc, exec, s[12:13]
	s_cbranch_vccnz .LBB11_17
; %bb.8:
	v_cmp_gt_i32_e32 vcc, s10, v4
	s_and_saveexec_b64 s[0:1], vcc
	s_cbranch_execz .LBB11_17
; %bb.9:
	s_load_dword s12, s[4:5], 0x58
	v_mov_b32_e32 v1, 0
	v_mov_b32_e32 v0, v1
	s_waitcnt lgkmcnt(0)
	s_cmp_ge_i32 s6, s12
	s_cbranch_scc1 .LBB11_12
; %bb.10:
	s_load_dwordx2 s[0:1], s[4:5], 0x48
	s_ashr_i32 s11, s10, 31
	s_mul_i32 s4, s6, s10
	v_add_u32_e32 v0, s4, v4
	s_mul_hi_u32 s4, s10, s7
	s_mul_i32 s5, s11, s7
	s_add_i32 s4, s4, s5
	s_mul_i32 s7, s10, s7
	s_mul_i32 s4, s4, s12
	s_mul_hi_u32 s5, s7, s12
	s_add_i32 s5, s5, s4
	s_mul_i32 s4, s7, s12
	s_lshl_b64 s[4:5], s[4:5], 3
	v_ashrrev_i32_e32 v1, 31, v0
	s_waitcnt lgkmcnt(0)
	s_add_u32 s0, s0, s4
	v_lshlrev_b64 v[0:1], 3, v[0:1]
	s_addc_u32 s1, s1, s5
	v_mov_b32_e32 v3, s1
	v_add_co_u32_e32 v2, vcc, s0, v0
	s_lshl_b64 s[0:1], s[10:11], 3
	v_mov_b32_e32 v0, 0
	v_addc_co_u32_e32 v3, vcc, v3, v1, vcc
	v_mov_b32_e32 v5, s1
	v_mov_b32_e32 v1, v0
.LBB11_11:                              ; =>This Inner Loop Header: Depth=1
	global_load_dwordx2 v[6:7], v[2:3], off
	s_add_i32 s6, s6, 1
	v_add_co_u32_e32 v2, vcc, s0, v2
	v_addc_co_u32_e32 v3, vcc, v3, v5, vcc
	s_cmp_ge_i32 s6, s12
	s_waitcnt vmcnt(0)
	v_pk_add_f32 v[0:1], v[0:1], v[6:7]
	s_cbranch_scc0 .LBB11_11
.LBB11_12:
	v_cmp_neq_f32_e64 s[0:1], s8, 0
	v_cmp_neq_f32_e64 s[4:5], s9, 0
	s_or_b64 s[0:1], s[0:1], s[4:5]
	v_pk_mul_f32 v[6:7], v[0:1], s[2:3] op_sel:[1,0]
	v_mul_lo_u32 v4, v4, s16
	s_andn2_b64 vcc, exec, s[0:1]
	v_pk_fma_f32 v[2:3], v[0:1], s[2:3], v[6:7] op_sel:[0,0,1] op_sel_hi:[0,1,0]
	v_ashrrev_i32_e32 v5, 31, v4
	s_cbranch_vccz .LBB11_14
; %bb.13:
	v_pk_mul_f32 v[8:9], v[0:1], s[2:3] op_sel_hi:[0,1]
	v_sub_f32_e32 v2, v8, v7
	s_cbranch_execz .LBB11_15
	s_branch .LBB11_16
.LBB11_14:
.LBB11_15:
	v_lshlrev_b64 v[8:9], 3, v[4:5]
	v_mov_b32_e32 v2, s15
	v_add_co_u32_e32 v8, vcc, s14, v8
	v_addc_co_u32_e32 v9, vcc, v2, v9, vcc
	global_load_dwordx2 v[8:9], v[8:9], off
	v_pk_fma_f32 v[0:1], v[0:1], s[2:3], v[6:7] op_sel:[0,0,1] op_sel_hi:[1,1,0] neg_lo:[0,0,1] neg_hi:[0,0,1]
	v_mov_b32_e32 v1, v3
	s_waitcnt vmcnt(0)
	v_pk_mul_f32 v[6:7], v[8:9], s[8:9] op_sel:[1,0]
	v_pk_fma_f32 v[10:11], v[8:9], s[8:9], v[6:7] op_sel:[0,0,1] op_sel_hi:[1,1,0] neg_lo:[0,0,1] neg_hi:[0,0,1]
	v_pk_fma_f32 v[6:7], v[8:9], s[8:9], v[6:7] op_sel:[0,0,1] op_sel_hi:[0,1,0]
	v_mov_b32_e32 v11, v7
	v_pk_add_f32 v[2:3], v[0:1], v[10:11]
.LBB11_16:
	v_lshlrev_b64 v[0:1], 3, v[4:5]
	v_mov_b32_e32 v4, s15
	v_add_co_u32_e32 v0, vcc, s14, v0
	v_addc_co_u32_e32 v1, vcc, v4, v1, vcc
	global_store_dwordx2 v[0:1], v[2:3], off
.LBB11_17:
	s_endpgm
	.section	.rodata,"a",@progbits
	.p2align	6, 0x0
	.amdhsa_kernel _ZL36rocblas_hemvn_kernel_lower_block_sumILi64EiPK19rocblas_complex_numIfEPS1_S1_EviT1_lS5_lT2_lT0_lPT3_i
		.amdhsa_group_segment_fixed_size 0
		.amdhsa_private_segment_fixed_size 0
		.amdhsa_kernarg_size 344
		.amdhsa_user_sgpr_count 6
		.amdhsa_user_sgpr_private_segment_buffer 1
		.amdhsa_user_sgpr_dispatch_ptr 0
		.amdhsa_user_sgpr_queue_ptr 0
		.amdhsa_user_sgpr_kernarg_segment_ptr 1
		.amdhsa_user_sgpr_dispatch_id 0
		.amdhsa_user_sgpr_flat_scratch_init 0
		.amdhsa_user_sgpr_kernarg_preload_length 0
		.amdhsa_user_sgpr_kernarg_preload_offset 0
		.amdhsa_user_sgpr_private_segment_size 0
		.amdhsa_uses_dynamic_stack 0
		.amdhsa_system_sgpr_private_segment_wavefront_offset 0
		.amdhsa_system_sgpr_workgroup_id_x 1
		.amdhsa_system_sgpr_workgroup_id_y 0
		.amdhsa_system_sgpr_workgroup_id_z 1
		.amdhsa_system_sgpr_workgroup_info 0
		.amdhsa_system_vgpr_workitem_id 0
		.amdhsa_next_free_vgpr 12
		.amdhsa_next_free_sgpr 20
		.amdhsa_accum_offset 12
		.amdhsa_reserve_vcc 1
		.amdhsa_reserve_flat_scratch 0
		.amdhsa_float_round_mode_32 0
		.amdhsa_float_round_mode_16_64 0
		.amdhsa_float_denorm_mode_32 3
		.amdhsa_float_denorm_mode_16_64 3
		.amdhsa_dx10_clamp 1
		.amdhsa_ieee_mode 1
		.amdhsa_fp16_overflow 0
		.amdhsa_tg_split 0
		.amdhsa_exception_fp_ieee_invalid_op 0
		.amdhsa_exception_fp_denorm_src 0
		.amdhsa_exception_fp_ieee_div_zero 0
		.amdhsa_exception_fp_ieee_overflow 0
		.amdhsa_exception_fp_ieee_underflow 0
		.amdhsa_exception_fp_ieee_inexact 0
		.amdhsa_exception_int_div_zero 0
	.end_amdhsa_kernel
	.section	.text._ZL36rocblas_hemvn_kernel_lower_block_sumILi64EiPK19rocblas_complex_numIfEPS1_S1_EviT1_lS5_lT2_lT0_lPT3_i,"axG",@progbits,_ZL36rocblas_hemvn_kernel_lower_block_sumILi64EiPK19rocblas_complex_numIfEPS1_S1_EviT1_lS5_lT2_lT0_lPT3_i,comdat
.Lfunc_end11:
	.size	_ZL36rocblas_hemvn_kernel_lower_block_sumILi64EiPK19rocblas_complex_numIfEPS1_S1_EviT1_lS5_lT2_lT0_lPT3_i, .Lfunc_end11-_ZL36rocblas_hemvn_kernel_lower_block_sumILi64EiPK19rocblas_complex_numIfEPS1_S1_EviT1_lS5_lT2_lT0_lPT3_i
                                        ; -- End function
	.section	.AMDGPU.csdata,"",@progbits
; Kernel info:
; codeLenInByte = 768
; NumSgprs: 24
; NumVgprs: 12
; NumAgprs: 0
; TotalNumVgprs: 12
; ScratchSize: 0
; MemoryBound: 0
; FloatMode: 240
; IeeeMode: 1
; LDSByteSize: 0 bytes/workgroup (compile time only)
; SGPRBlocks: 2
; VGPRBlocks: 1
; NumSGPRsForWavesPerEU: 24
; NumVGPRsForWavesPerEU: 12
; AccumOffset: 12
; Occupancy: 8
; WaveLimiterHint : 0
; COMPUTE_PGM_RSRC2:SCRATCH_EN: 0
; COMPUTE_PGM_RSRC2:USER_SGPR: 6
; COMPUTE_PGM_RSRC2:TRAP_HANDLER: 0
; COMPUTE_PGM_RSRC2:TGID_X_EN: 1
; COMPUTE_PGM_RSRC2:TGID_Y_EN: 0
; COMPUTE_PGM_RSRC2:TGID_Z_EN: 1
; COMPUTE_PGM_RSRC2:TIDIG_COMP_CNT: 0
; COMPUTE_PGM_RSRC3_GFX90A:ACCUM_OFFSET: 2
; COMPUTE_PGM_RSRC3_GFX90A:TG_SPLIT: 0
	.section	.text._ZL26rocblas_hemvn_kernel_lowerILb1ELi64ELi4ELi33ELi32ELi16El19rocblas_complex_numIfEPKS1_PS1_EviT6_lT7_lT5_lS6_lS7_lS5_lT8_i,"axG",@progbits,_ZL26rocblas_hemvn_kernel_lowerILb1ELi64ELi4ELi33ELi32ELi16El19rocblas_complex_numIfEPKS1_PS1_EviT6_lT7_lT5_lS6_lS7_lS5_lT8_i,comdat
	.globl	_ZL26rocblas_hemvn_kernel_lowerILb1ELi64ELi4ELi33ELi32ELi16El19rocblas_complex_numIfEPKS1_PS1_EviT6_lT7_lT5_lS6_lS7_lS5_lT8_i ; -- Begin function _ZL26rocblas_hemvn_kernel_lowerILb1ELi64ELi4ELi33ELi32ELi16El19rocblas_complex_numIfEPKS1_PS1_EviT6_lT7_lT5_lS6_lS7_lS5_lT8_i
	.p2align	8
	.type	_ZL26rocblas_hemvn_kernel_lowerILb1ELi64ELi4ELi33ELi32ELi16El19rocblas_complex_numIfEPKS1_PS1_EviT6_lT7_lT5_lS6_lS7_lS5_lT8_i,@function
_ZL26rocblas_hemvn_kernel_lowerILb1ELi64ELi4ELi33ELi32ELi16El19rocblas_complex_numIfEPKS1_PS1_EviT6_lT7_lT5_lS6_lS7_lS5_lT8_i: ; @_ZL26rocblas_hemvn_kernel_lowerILb1ELi64ELi4ELi33ELi32ELi16El19rocblas_complex_numIfEPKS1_PS1_EviT6_lT7_lT5_lS6_lS7_lS5_lT8_i
; %bb.0:
	s_load_dwordx2 s[2:3], s[4:5], 0x84
	s_add_u32 s0, s4, 0x78
	s_addc_u32 s1, s5, 0
	s_waitcnt lgkmcnt(0)
	s_lshr_b32 s8, s2, 16
	s_and_b32 s2, s2, 0xffff
	s_and_b32 s3, s3, 0xffff
	s_mul_i32 s2, s8, s2
	s_mul_i32 s2, s2, s3
	s_cmpk_lg_i32 s2, 0x100
	s_cbranch_scc1 .LBB12_129
; %bb.1:
	s_load_dwordx2 s[2:3], s[4:5], 0x4
	s_mov_b64 s[8:9], -1
	s_waitcnt lgkmcnt(0)
	s_or_b32 s2, s2, s3
	s_bitset0_b32 s2, 31
	s_cmp_lg_u32 s2, 0
	s_cselect_b64 s[2:3], -1, 0
	s_and_b64 vcc, exec, s[2:3]
	s_cbranch_vccnz .LBB12_3
; %bb.2:
	s_load_dwordx2 s[8:9], s[4:5], 0x58
	s_waitcnt lgkmcnt(0)
	v_cmp_neq_f32_e64 s[10:11], s8, 1.0
	v_cmp_neq_f32_e64 s[8:9], s9, 0
	s_or_b64 s[8:9], s[10:11], s[8:9]
.LBB12_3:
	s_andn2_b64 vcc, exec, s[8:9]
	s_cbranch_vccnz .LBB12_129
; %bb.4:
	s_andn2_b64 vcc, exec, s[2:3]
	s_cbranch_vccnz .LBB12_129
; %bb.5:
	s_load_dwordx16 s[36:51], s[4:5], 0x18
	s_load_dword s52, s[0:1], 0x0
	s_load_dword s33, s[4:5], 0x0
	v_and_b32_e32 v26, 0x3ff, v0
	v_bfe_u32 v72, v0, 10, 10
	s_waitcnt lgkmcnt(0)
	s_mul_i32 s1, s7, s51
	s_mul_hi_u32 s2, s7, s50
	s_mul_i32 s0, s7, s50
	s_add_i32 s1, s2, s1
	s_lshl_b64 s[0:1], s[0:1], 3
	s_add_u32 s2, s44, s0
	s_addc_u32 s3, s45, s1
	s_lshl_b64 s[0:1], s[46:47], 3
	s_add_u32 s2, s2, s0
	s_addc_u32 s3, s3, s1
	s_ashr_i32 s44, s33, 31
	s_lshr_b32 s1, s44, 26
	s_add_i32 s1, s33, s1
	s_lshl_b32 s26, s6, 6
	s_andn2_b32 s1, s1, 63
	s_add_i32 s0, s52, -1
	s_sub_i32 s1, s33, s1
	v_add_u32_e32 v16, s26, v26
	s_cmp_eq_u32 s6, s0
	v_ashrrev_i32_e32 v17, 31, v16
	s_cselect_b32 s24, s1, 0
	v_mul_lo_u32 v2, v17, s48
	v_mul_lo_u32 v3, v16, s49
	v_mad_u64_u32 v[0:1], s[0:1], v16, s48, 0
	v_add3_u32 v1, v1, v3, v2
	v_lshlrev_b64 v[0:1], 3, v[0:1]
	v_mov_b32_e32 v2, s3
	v_add_co_u32_e32 v20, vcc, s2, v0
	v_addc_co_u32_e32 v21, vcc, v2, v1, vcc
	v_cmp_ne_u32_e64 s[0:1], 0, v72
	v_cmp_eq_u32_e64 s[2:3], 0, v72
	s_and_saveexec_b64 s[8:9], s[2:3]
	s_cbranch_execz .LBB12_10
; %bb.6:
	s_cmp_lg_u32 s24, 0
	s_cselect_b64 s[10:11], -1, 0
	v_cmp_le_i32_e32 vcc, s24, v26
	v_mov_b32_e32 v0, 0x2380
	s_and_b64 s[10:11], s[10:11], vcc
	v_lshl_add_u32 v0, v26, 3, v0
	s_and_saveexec_b64 s[12:13], s[10:11]
	s_xor_b64 s[10:11], exec, s[12:13]
	s_cbranch_execz .LBB12_8
; %bb.7:
	v_mov_b32_e32 v2, 0
	v_mov_b32_e32 v3, v2
	ds_write_b64 v0, v[2:3]
                                        ; implicit-def: $vgpr0
.LBB12_8:
	s_andn2_saveexec_b64 s[10:11], s[10:11]
	s_cbranch_execz .LBB12_10
; %bb.9:
	global_load_dwordx2 v[2:3], v[20:21], off
	s_waitcnt vmcnt(0)
	ds_write_b64 v0, v[2:3]
.LBB12_10:
	s_or_b64 exec, exec, s[8:9]
	s_mul_i32 s8, s7, s43
	s_mul_hi_u32 s9, s7, s42
	s_add_i32 s9, s9, s8
	s_mul_i32 s8, s7, s42
	s_lshl_b64 s[8:9], s[8:9], 3
	s_add_u32 s10, s36, s8
	s_addc_u32 s11, s37, s9
	s_lshl_b64 s[8:9], s[38:39], 3
	s_add_u32 s10, s10, s8
	s_addc_u32 s11, s11, s9
	s_ashr_i32 s27, s26, 31
	v_lshl_add_u32 v27, v72, 6, v26
	s_lshl_b64 s[8:9], s[26:27], 3
	v_and_b32_e32 v0, 31, v26
	v_lshrrev_b32_e32 v8, 5, v27
	s_add_u32 s10, s10, s8
	v_mov_b32_e32 v1, 0
	s_addc_u32 s11, s11, s9
	v_mad_u64_u32 v[2:3], s[8:9], v8, s40, v[0:1]
	v_mov_b32_e32 v4, v3
	v_mad_u64_u32 v[4:5], s[8:9], v8, s41, v[4:5]
	s_mul_i32 s8, s26, s41
	s_mul_hi_u32 s9, s26, s40
	s_add_i32 s8, s9, s8
	s_mul_i32 s9, s27, s40
	s_add_i32 s9, s8, s9
	s_mul_i32 s8, s26, s40
	s_lshl_b64 s[28:29], s[8:9], 3
	v_mov_b32_e32 v3, v4
	s_add_u32 s8, s28, s10
	v_lshlrev_b64 v[22:23], 3, v[2:3]
	s_addc_u32 s9, s29, s11
	v_mov_b32_e32 v1, s9
	v_add_co_u32_e32 v2, vcc, s8, v22
	s_cmp_lg_u32 s24, 0
	v_addc_co_u32_e32 v3, vcc, v1, v23, vcc
	s_cselect_b64 s[30:31], -1, 0
	s_cmp_eq_u32 s24, 0
	s_cselect_b64 s[34:35], -1, 0
	s_and_b64 vcc, exec, s[30:31]
	s_cbranch_vccnz .LBB12_12
; %bb.11:
	s_lshl_b64 s[8:9], s[40:41], 6
	v_mov_b32_e32 v1, s9
	v_add_co_u32_e32 v4, vcc, s8, v2
	v_addc_co_u32_e32 v5, vcc, v3, v1, vcc
	global_load_dwordx2 v[6:7], v[4:5], off
	global_load_dwordx2 v[12:13], v[2:3], off
	v_add_co_u32_e32 v4, vcc, s8, v4
	v_addc_co_u32_e32 v5, vcc, v5, v1, vcc
	v_mov_b32_e32 v1, 0xc0
	v_mad_u64_u32 v[10:11], s[8:9], s40, v1, v[2:3]
	s_mul_i32 s8, s41, 0xc0
	v_add_u32_e32 v11, s8, v11
	global_load_dwordx2 v[14:15], v[10:11], off
	global_load_dwordx2 v[18:19], v[4:5], off
	v_mul_u32_u24_e32 v1, 33, v8
	v_add_lshl_u32 v1, v1, v0, 3
	s_waitcnt vmcnt(2)
	ds_write_b64 v1, v[12:13]
	ds_write_b64 v1, v[6:7] offset:2112
	s_waitcnt vmcnt(1)
	ds_write_b64 v1, v[14:15] offset:6336
	s_waitcnt vmcnt(0)
	ds_write_b64 v1, v[18:19] offset:4224
	s_cbranch_execz .LBB12_13
	s_branch .LBB12_28
.LBB12_12:
.LBB12_13:
	v_lshlrev_b32_e32 v1, 3, v0
	v_sub_co_u32_e32 v4, vcc, v2, v1
	s_ashr_i32 s25, s24, 31
	v_subbrev_co_u32_e32 v5, vcc, 0, v3, vcc
	s_lshl_b64 s[10:11], s[24:25], 3
	v_mov_b32_e32 v6, s11
	v_add_co_u32_e32 v4, vcc, s10, v4
	v_addc_co_u32_e32 v5, vcc, v5, v6, vcc
	v_add_co_u32_e32 v4, vcc, -8, v4
	v_addc_co_u32_e32 v5, vcc, -1, v5, vcc
	v_cmp_gt_i32_e32 vcc, s24, v0
	v_mov_b32_e32 v6, 0
	v_cndmask_b32_e32 v5, v5, v3, vcc
	v_cndmask_b32_e32 v4, v4, v2, vcc
	v_cmp_gt_i32_e64 s[8:9], s24, v8
	v_mov_b32_e32 v7, v6
	s_and_saveexec_b64 s[12:13], s[8:9]
	s_cbranch_execz .LBB12_15
; %bb.14:
	global_load_dwordx2 v[6:7], v[4:5], off
.LBB12_15:
	s_or_b64 exec, exec, s[12:13]
	v_mul_u32_u24_e32 v9, 33, v8
	v_add_lshl_u32 v9, v9, v0, 3
	s_waitcnt vmcnt(0)
	ds_write_b64 v9, v[6:7]
	v_add_u32_e32 v6, 8, v8
	v_cmp_le_i32_e64 s[8:9], s24, v6
	s_and_saveexec_b64 s[12:13], s[8:9]
	s_xor_b64 s[8:9], exec, s[12:13]
	s_cbranch_execz .LBB12_17
; %bb.16:
	v_mul_u32_u24_e32 v6, 33, v6
	v_add_lshl_u32 v10, v6, v0, 3
	v_mov_b32_e32 v6, 0
	v_mov_b32_e32 v7, v6
	ds_write_b64 v10, v[6:7]
.LBB12_17:
	s_andn2_saveexec_b64 s[12:13], s[8:9]
	s_cbranch_execz .LBB12_19
; %bb.18:
	s_lshl_b64 s[8:9], s[40:41], 6
	v_mov_b32_e32 v7, s9
	v_add_co_u32_e64 v6, s[8:9], s8, v4
	v_addc_co_u32_e64 v7, s[8:9], v5, v7, s[8:9]
	global_load_dwordx2 v[6:7], v[6:7], off
	s_waitcnt vmcnt(0)
	ds_write_b64 v9, v[6:7] offset:2112
.LBB12_19:
	s_or_b64 exec, exec, s[12:13]
	v_add_u32_e32 v6, 16, v8
	v_cmp_le_i32_e64 s[8:9], s24, v6
	s_and_saveexec_b64 s[12:13], s[8:9]
	s_xor_b64 s[8:9], exec, s[12:13]
	s_cbranch_execz .LBB12_21
; %bb.20:
	v_mov_b32_e32 v6, 0
	v_mov_b32_e32 v7, v6
	ds_write_b64 v9, v[6:7] offset:4224
.LBB12_21:
	s_andn2_saveexec_b64 s[12:13], s[8:9]
	s_cbranch_execz .LBB12_23
; %bb.22:
	s_lshl_b64 s[8:9], s[40:41], 7
	v_mov_b32_e32 v7, s9
	v_add_co_u32_e64 v6, s[8:9], s8, v4
	v_addc_co_u32_e64 v7, s[8:9], v5, v7, s[8:9]
	global_load_dwordx2 v[6:7], v[6:7], off
	s_waitcnt vmcnt(0)
	ds_write_b64 v9, v[6:7] offset:4224
.LBB12_23:
	s_or_b64 exec, exec, s[12:13]
	v_add_u32_e32 v6, 24, v8
	v_cmp_le_i32_e64 s[8:9], s24, v6
	s_and_saveexec_b64 s[12:13], s[8:9]
	s_xor_b64 s[8:9], exec, s[12:13]
	s_cbranch_execz .LBB12_25
; %bb.24:
	v_mov_b32_e32 v6, 0
	v_mov_b32_e32 v7, v6
	ds_write_b64 v9, v[6:7] offset:6336
                                        ; implicit-def: $vgpr9
.LBB12_25:
	s_andn2_saveexec_b64 s[8:9], s[8:9]
	s_cbranch_execz .LBB12_27
; %bb.26:
	v_mov_b32_e32 v6, 0xc0
	v_mad_u64_u32 v[6:7], s[12:13], s40, v6, v[4:5]
	s_mul_i32 s12, s41, 0xc0
	v_add_u32_e32 v7, s12, v7
	global_load_dwordx2 v[6:7], v[6:7], off
	s_waitcnt vmcnt(0)
	ds_write_b64 v9, v[6:7] offset:6336
.LBB12_27:
	s_or_b64 exec, exec, s[8:9]
	v_add_co_u32_e64 v1, s[8:9], v4, v1
	v_addc_co_u32_e64 v4, s[8:9], 0, v5, s[8:9]
	v_mov_b32_e32 v5, s11
	v_subrev_co_u32_e64 v1, s[8:9], s10, v1
	v_subb_co_u32_e64 v4, s[8:9], v4, v5, s[8:9]
	v_add_co_u32_e64 v1, s[8:9], 8, v1
	v_addc_co_u32_e64 v4, s[8:9], 0, v4, s[8:9]
	v_cndmask_b32_e32 v3, v4, v3, vcc
	v_cndmask_b32_e32 v2, v1, v2, vcc
.LBB12_28:
	v_lshlrev_b32_e32 v9, 2, v8
	v_cmp_ge_u32_e64 s[8:9], v9, v0
	s_waitcnt lgkmcnt(0)
	s_barrier
	s_and_saveexec_b64 s[10:11], s[8:9]
	s_xor_b64 s[10:11], exec, s[10:11]
	s_cbranch_execz .LBB12_32
; %bb.29:
	v_cmp_eq_u32_e32 vcc, v9, v0
	s_and_saveexec_b64 s[12:13], vcc
	s_cbranch_execz .LBB12_31
; %bb.30:
	v_mul_u32_u24_e32 v1, 34, v0
	v_lshlrev_b32_e32 v1, 3, v1
	v_mov_b32_e32 v4, 0
	ds_write_b32 v1, v4 offset:4
.LBB12_31:
	s_or_b64 exec, exec, s[12:13]
.LBB12_32:
	s_or_saveexec_b64 s[10:11], s[10:11]
	v_mul_u32_u24_e32 v28, 33, v0
	v_add_lshl_u32 v12, v9, v28, 3
	s_xor_b64 exec, exec, s[10:11]
	s_cbranch_execz .LBB12_34
; %bb.33:
	v_mul_u32_u24_e32 v1, 0x84, v8
	v_add_lshl_u32 v1, v1, v0, 3
	ds_read_b64 v[4:5], v1
	s_waitcnt lgkmcnt(0)
	v_xor_b32_e32 v5, 0x80000000, v5
	ds_write_b64 v12, v[4:5]
.LBB12_34:
	s_or_b64 exec, exec, s[10:11]
	v_or_b32_e32 v10, 1, v9
	v_cmp_ge_u32_e64 s[10:11], v10, v0
	s_and_saveexec_b64 s[12:13], s[10:11]
	s_xor_b64 s[12:13], exec, s[12:13]
	s_cbranch_execz .LBB12_38
; %bb.35:
	v_cmp_eq_u32_e32 vcc, v10, v0
	s_and_saveexec_b64 s[14:15], vcc
	s_cbranch_execz .LBB12_37
; %bb.36:
	v_mul_u32_u24_e32 v1, 34, v0
	v_lshlrev_b32_e32 v1, 3, v1
	v_mov_b32_e32 v4, 0
	ds_write_b32 v1, v4 offset:4
.LBB12_37:
	s_or_b64 exec, exec, s[14:15]
.LBB12_38:
	s_or_saveexec_b64 s[12:13], s[12:13]
	v_mul_u32_u24_e32 v1, 33, v10
	s_xor_b64 exec, exec, s[12:13]
	s_cbranch_execz .LBB12_40
; %bb.39:
	v_add_lshl_u32 v4, v1, v0, 3
	ds_read_b64 v[4:5], v4
	s_waitcnt lgkmcnt(0)
	v_xor_b32_e32 v5, 0x80000000, v5
	ds_write_b64 v12, v[4:5] offset:8
.LBB12_40:
	s_or_b64 exec, exec, s[12:13]
	v_or_b32_e32 v11, 2, v9
	v_cmp_ge_u32_e64 s[12:13], v11, v0
	s_and_saveexec_b64 s[14:15], s[12:13]
	s_xor_b64 s[14:15], exec, s[14:15]
	s_cbranch_execz .LBB12_44
; %bb.41:
	v_cmp_eq_u32_e32 vcc, v11, v0
	s_and_saveexec_b64 s[16:17], vcc
	s_cbranch_execz .LBB12_43
; %bb.42:
	v_mul_u32_u24_e32 v4, 34, v0
	v_lshlrev_b32_e32 v4, 3, v4
	v_mov_b32_e32 v5, 0
	ds_write_b32 v4, v5 offset:4
.LBB12_43:
	s_or_b64 exec, exec, s[16:17]
.LBB12_44:
	s_andn2_saveexec_b64 s[14:15], s[14:15]
	s_cbranch_execz .LBB12_46
; %bb.45:
	v_mul_u32_u24_e32 v4, 33, v11
	v_add_lshl_u32 v4, v4, v0, 3
	ds_read_b64 v[4:5], v4
	s_waitcnt lgkmcnt(0)
	v_xor_b32_e32 v5, 0x80000000, v5
	ds_write_b64 v12, v[4:5] offset:16
.LBB12_46:
	s_or_b64 exec, exec, s[14:15]
	v_or_b32_e32 v13, 3, v9
	v_cmp_ge_u32_e64 s[14:15], v13, v0
	s_and_saveexec_b64 s[16:17], s[14:15]
	s_xor_b64 s[16:17], exec, s[16:17]
	s_cbranch_execz .LBB12_50
; %bb.47:
	v_cmp_eq_u32_e32 vcc, v13, v0
	s_and_saveexec_b64 s[18:19], vcc
	s_cbranch_execz .LBB12_49
; %bb.48:
	v_mul_u32_u24_e32 v4, 34, v0
	v_lshlrev_b32_e32 v4, 3, v4
	v_mov_b32_e32 v5, 0
	ds_write_b32 v4, v5 offset:4
.LBB12_49:
	s_or_b64 exec, exec, s[18:19]
.LBB12_50:
	s_andn2_saveexec_b64 s[16:17], s[16:17]
	s_cbranch_execz .LBB12_52
; %bb.51:
	v_mul_u32_u24_e32 v4, 33, v13
	v_add_lshl_u32 v4, v4, v0, 3
	ds_read_b64 v[4:5], v4
	s_waitcnt lgkmcnt(0)
	v_xor_b32_e32 v5, 0x80000000, v5
	ds_write_b64 v12, v[4:5] offset:24
.LBB12_52:
	s_or_b64 exec, exec, s[16:17]
	v_mul_u32_u24_e32 v4, 0x84, v8
	v_lshlrev_b32_e32 v24, 3, v9
	s_waitcnt lgkmcnt(0)
	s_barrier
	v_add_lshl_u32 v15, v4, v0, 3
	v_add_lshl_u32 v14, v1, v0, 3
	ds_read_b128 v[4:7], v24 offset:9088
	ds_read_b64 v[18:19], v15
	ds_read2_b64 v[30:33], v14 offset1:33
	ds_read_b64 v[38:39], v14 offset:528
	ds_read_b128 v[34:37], v24 offset:9104
	s_mov_b32 s16, 0
	s_waitcnt lgkmcnt(3)
	v_pk_mul_f32 v[40:41], v[4:5], v[18:19] op_sel:[0,1]
	v_pk_fma_f32 v[42:43], v[4:5], v[18:19], v[40:41] op_sel:[0,0,1] op_sel_hi:[1,1,0] neg_lo:[0,0,1] neg_hi:[0,0,1]
	v_pk_fma_f32 v[4:5], v[4:5], v[18:19], v[40:41] op_sel:[0,0,1] op_sel_hi:[1,0,0]
	s_waitcnt lgkmcnt(2)
	v_pk_mul_f32 v[18:19], v[6:7], v[30:31] op_sel:[0,1]
	v_pk_fma_f32 v[40:41], v[6:7], v[30:31], v[18:19] op_sel:[0,0,1] op_sel_hi:[1,1,0] neg_lo:[0,0,1] neg_hi:[0,0,1]
	v_pk_fma_f32 v[6:7], v[6:7], v[30:31], v[18:19] op_sel:[0,0,1] op_sel_hi:[1,0,0]
	v_mov_b32_e32 v43, v5
	v_mov_b32_e32 v41, v7
	s_waitcnt lgkmcnt(0)
	v_pk_mul_f32 v[6:7], v[34:35], v[32:33] op_sel:[0,1]
	v_pk_add_f32 v[4:5], v[42:43], 0 op_sel_hi:[1,0]
	v_pk_fma_f32 v[18:19], v[34:35], v[32:33], v[6:7] op_sel:[0,0,1] op_sel_hi:[1,1,0] neg_lo:[0,0,1] neg_hi:[0,0,1]
	v_pk_fma_f32 v[6:7], v[34:35], v[32:33], v[6:7] op_sel:[0,0,1] op_sel_hi:[1,0,0]
	v_pk_add_f32 v[4:5], v[4:5], v[40:41]
	v_mov_b32_e32 v19, v7
	v_pk_mul_f32 v[6:7], v[36:37], v[38:39] op_sel:[0,1]
	v_pk_add_f32 v[4:5], v[4:5], v[18:19]
	v_pk_fma_f32 v[18:19], v[36:37], v[38:39], v[6:7] op_sel:[0,0,1] op_sel_hi:[1,1,0] neg_lo:[0,0,1] neg_hi:[0,0,1]
	v_pk_fma_f32 v[6:7], v[36:37], v[38:39], v[6:7] op_sel:[0,0,1] op_sel_hi:[1,0,0]
	s_mov_b32 s17, s16
	v_mov_b32_e32 v19, v7
	v_add_lshl_u32 v29, v8, v28, 3
	v_pk_add_f32 v[4:5], v[4:5], v[18:19]
	v_cmp_gt_u32_e64 s[20:21], 32, v27
	v_pk_mov_b32 v[18:19], s[16:17], s[16:17] op_sel:[0,1]
	s_barrier
	ds_write_b64 v29, v[4:5]
	s_waitcnt lgkmcnt(0)
	s_barrier
	s_and_saveexec_b64 s[16:17], s[20:21]
	s_cbranch_execz .LBB12_54
; %bb.53:
	v_lshlrev_b32_e32 v1, 3, v28
	ds_read2_b64 v[4:7], v1 offset1:7
	ds_read2_b64 v[30:33], v1 offset0:1 offset1:2
	ds_read2_b64 v[34:37], v1 offset0:3 offset1:4
	s_waitcnt lgkmcnt(1)
	v_add_f32_e32 v4, v30, v4
	v_add_f32_e32 v5, v31, v5
	;; [unrolled: 1-line block ×4, first 2 shown]
	ds_read2_b64 v[30:33], v1 offset0:5 offset1:6
	s_waitcnt lgkmcnt(1)
	v_add_f32_e32 v1, v4, v34
	v_add_f32_e32 v4, v5, v35
	;; [unrolled: 1-line block ×4, first 2 shown]
	s_waitcnt lgkmcnt(0)
	v_add_f32_e32 v1, v1, v30
	v_add_f32_e32 v5, v4, v31
	;; [unrolled: 1-line block ×4, first 2 shown]
	v_pk_add_f32 v[18:19], v[4:5], v[6:7]
.LBB12_54:
	s_or_b64 exec, exec, s[16:17]
	s_lshl_b64 s[22:23], s[40:41], 8
	v_mov_b32_e32 v1, s23
	v_add_co_u32_e32 v4, vcc, s22, v2
	v_addc_co_u32_e32 v5, vcc, v3, v1, vcc
	v_add_co_u32_e32 v2, vcc, 0x100, v4
	v_cndmask_b32_e64 v1, 0, 1, s[34:35]
	s_mov_b64 s[18:19], vcc
	v_cmp_ne_u32_e64 s[16:17], 1, v1
	s_andn2_b64 vcc, exec, s[34:35]
	v_addc_co_u32_e64 v1, s[18:19], 0, v5, s[18:19]
	s_barrier
	s_cbranch_vccnz .LBB12_56
; %bb.55:
	s_lshl_b64 s[18:19], s[40:41], 6
	v_mov_b32_e32 v3, s19
	v_add_co_u32_e32 v6, vcc, s18, v4
	v_addc_co_u32_e32 v7, vcc, v5, v3, vcc
	v_add_co_u32_e32 v30, vcc, s18, v6
	v_addc_co_u32_e32 v31, vcc, v7, v3, vcc
	v_mov_b32_e32 v3, 0xc0
	v_mad_u64_u32 v[32:33], s[18:19], s40, v3, v[4:5]
	s_mul_i32 s18, s41, 0xc0
	v_add_u32_e32 v33, s18, v33
	global_load_dwordx2 v[34:35], v[4:5], off offset:256
	global_load_dwordx2 v[36:37], v[6:7], off offset:256
	;; [unrolled: 1-line block ×4, first 2 shown]
	v_mul_u32_u24_e32 v3, 33, v8
	v_add_lshl_u32 v3, v3, v0, 3
	s_waitcnt vmcnt(3)
	ds_write_b64 v3, v[34:35]
	s_waitcnt vmcnt(2)
	ds_write_b64 v3, v[36:37] offset:2112
	s_waitcnt vmcnt(1)
	ds_write_b64 v3, v[38:39] offset:4224
	;; [unrolled: 2-line block ×3, first 2 shown]
	s_cbranch_execz .LBB12_57
	s_branch .LBB12_72
.LBB12_56:
.LBB12_57:
	v_lshlrev_b32_e32 v3, 3, v0
	v_sub_co_u32_e32 v5, vcc, v2, v3
	s_ashr_i32 s25, s24, 31
	v_subbrev_co_u32_e32 v6, vcc, 0, v1, vcc
	s_lshl_b64 s[34:35], s[24:25], 3
	v_mov_b32_e32 v7, s35
	v_add_co_u32_e32 v5, vcc, s34, v5
	v_addc_co_u32_e32 v6, vcc, v6, v7, vcc
	v_or_b32_e32 v4, 32, v0
	v_add_co_u32_e32 v7, vcc, 0xfffffef8, v5
	v_addc_co_u32_e32 v5, vcc, -1, v6, vcc
	v_cmp_gt_i32_e64 s[18:19], s24, v4
	s_sub_i32 s25, s24, 32
	v_mov_b32_e32 v6, 0
	v_cndmask_b32_e64 v5, v5, v1, s[18:19]
	v_cndmask_b32_e64 v4, v7, v2, s[18:19]
	v_cmp_gt_i32_e32 vcc, s25, v8
	v_mov_b32_e32 v7, v6
	s_and_saveexec_b64 s[36:37], vcc
	s_cbranch_execz .LBB12_59
; %bb.58:
	global_load_dwordx2 v[6:7], v[4:5], off
.LBB12_59:
	s_or_b64 exec, exec, s[36:37]
	v_mul_u32_u24_e32 v25, 33, v8
	v_add_lshl_u32 v25, v25, v0, 3
	s_waitcnt vmcnt(0)
	ds_write_b64 v25, v[6:7]
	v_add_u32_e32 v6, 8, v8
	v_cmp_le_i32_e32 vcc, s25, v6
	s_and_saveexec_b64 s[36:37], vcc
	s_xor_b64 s[36:37], exec, s[36:37]
	s_cbranch_execz .LBB12_61
; %bb.60:
	v_mul_u32_u24_e32 v6, 33, v6
	v_add_lshl_u32 v30, v6, v0, 3
	v_mov_b32_e32 v6, 0
	v_mov_b32_e32 v7, v6
	ds_write_b64 v30, v[6:7]
.LBB12_61:
	s_andn2_saveexec_b64 s[36:37], s[36:37]
	s_cbranch_execz .LBB12_63
; %bb.62:
	s_lshl_b64 s[38:39], s[40:41], 6
	v_mov_b32_e32 v7, s39
	v_add_co_u32_e32 v6, vcc, s38, v4
	v_addc_co_u32_e32 v7, vcc, v5, v7, vcc
	global_load_dwordx2 v[6:7], v[6:7], off
	s_waitcnt vmcnt(0)
	ds_write_b64 v25, v[6:7] offset:2112
.LBB12_63:
	s_or_b64 exec, exec, s[36:37]
	v_add_u32_e32 v6, 16, v8
	v_cmp_le_i32_e32 vcc, s25, v6
	s_and_saveexec_b64 s[36:37], vcc
	s_xor_b64 s[36:37], exec, s[36:37]
	s_cbranch_execz .LBB12_65
; %bb.64:
	v_mov_b32_e32 v6, 0
	v_mov_b32_e32 v7, v6
	ds_write_b64 v25, v[6:7] offset:4224
.LBB12_65:
	s_andn2_saveexec_b64 s[36:37], s[36:37]
	s_cbranch_execz .LBB12_67
; %bb.66:
	s_lshl_b64 s[38:39], s[40:41], 7
	v_mov_b32_e32 v7, s39
	v_add_co_u32_e32 v6, vcc, s38, v4
	v_addc_co_u32_e32 v7, vcc, v5, v7, vcc
	global_load_dwordx2 v[6:7], v[6:7], off
	s_waitcnt vmcnt(0)
	ds_write_b64 v25, v[6:7] offset:4224
.LBB12_67:
	s_or_b64 exec, exec, s[36:37]
	v_add_u32_e32 v6, 24, v8
	v_cmp_le_i32_e32 vcc, s25, v6
	s_and_saveexec_b64 s[36:37], vcc
	s_xor_b64 s[36:37], exec, s[36:37]
	s_cbranch_execz .LBB12_69
; %bb.68:
	v_mov_b32_e32 v6, 0
	v_mov_b32_e32 v7, v6
	ds_write_b64 v25, v[6:7] offset:6336
                                        ; implicit-def: $vgpr25
.LBB12_69:
	s_andn2_saveexec_b64 s[36:37], s[36:37]
	s_cbranch_execz .LBB12_71
; %bb.70:
	v_mov_b32_e32 v6, 0xc0
	v_mad_u64_u32 v[6:7], s[38:39], s40, v6, v[4:5]
	s_mul_i32 s25, s41, 0xc0
	v_add_u32_e32 v7, s25, v7
	global_load_dwordx2 v[6:7], v[6:7], off
	s_waitcnt vmcnt(0)
	ds_write_b64 v25, v[6:7] offset:6336
.LBB12_71:
	s_or_b64 exec, exec, s[36:37]
	v_add_co_u32_e32 v3, vcc, v4, v3
	v_addc_co_u32_e32 v4, vcc, 0, v5, vcc
	v_mov_b32_e32 v5, s35
	v_subrev_co_u32_e32 v3, vcc, s34, v3
	v_subb_co_u32_e32 v4, vcc, v4, v5, vcc
	v_add_co_u32_e32 v3, vcc, 0x108, v3
	v_addc_co_u32_e32 v4, vcc, 0, v4, vcc
	v_cndmask_b32_e64 v1, v4, v1, s[18:19]
	v_cndmask_b32_e64 v2, v3, v2, s[18:19]
.LBB12_72:
	v_add_u32_e32 v6, 0x2380, v24
	s_lshl_b64 s[18:19], s[40:41], 5
	s_waitcnt lgkmcnt(0)
	s_barrier
	s_and_saveexec_b64 s[34:35], s[8:9]
	s_xor_b64 s[8:9], exec, s[34:35]
	s_cbranch_execnz .LBB12_85
; %bb.73:
	s_andn2_saveexec_b64 s[8:9], s[8:9]
	s_cbranch_execnz .LBB12_88
.LBB12_74:
	s_or_b64 exec, exec, s[8:9]
	s_and_saveexec_b64 s[8:9], s[10:11]
	s_xor_b64 s[8:9], exec, s[8:9]
	s_cbranch_execnz .LBB12_89
.LBB12_75:
	s_andn2_saveexec_b64 s[8:9], s[8:9]
	s_cbranch_execnz .LBB12_92
.LBB12_76:
	s_or_b64 exec, exec, s[8:9]
	s_and_saveexec_b64 s[8:9], s[12:13]
	s_xor_b64 s[8:9], exec, s[8:9]
	s_cbranch_execnz .LBB12_93
.LBB12_77:
	s_andn2_saveexec_b64 s[8:9], s[8:9]
	s_cbranch_execnz .LBB12_96
.LBB12_78:
	s_or_b64 exec, exec, s[8:9]
	s_and_saveexec_b64 s[8:9], s[14:15]
	s_xor_b64 s[8:9], exec, s[8:9]
	s_cbranch_execnz .LBB12_97
.LBB12_79:
	s_andn2_saveexec_b64 s[8:9], s[8:9]
	s_cbranch_execz .LBB12_81
.LBB12_80:
	ds_read_b64 v[4:5], v14 offset:528
	s_waitcnt lgkmcnt(0)
	v_xor_b32_e32 v5, 0x80000000, v5
	ds_write_b64 v12, v[4:5] offset:24
.LBB12_81:
	s_or_b64 exec, exec, s[8:9]
	s_waitcnt lgkmcnt(0)
	s_barrier
	ds_read_b64 v[4:5], v15
	ds_read_b128 v[30:33], v6 offset:256
	ds_read2_b64 v[34:37], v14 offset1:33
	ds_read_b64 v[10:11], v14 offset:528
	ds_read_b128 v[38:41], v6 offset:272
	v_cmp_eq_u32_e64 s[8:9], 1, v8
	s_waitcnt lgkmcnt(3)
	v_pk_mul_f32 v[14:15], v[30:31], v[4:5] op_sel:[0,1]
	v_pk_fma_f32 v[24:25], v[30:31], v[4:5], v[14:15] op_sel:[0,0,1] op_sel_hi:[1,1,0] neg_lo:[0,0,1] neg_hi:[0,0,1]
	v_pk_fma_f32 v[4:5], v[30:31], v[4:5], v[14:15] op_sel:[0,0,1] op_sel_hi:[1,0,0]
	v_mov_b32_e32 v25, v5
	s_waitcnt lgkmcnt(2)
	v_pk_mul_f32 v[14:15], v[32:33], v[34:35] op_sel:[0,1]
	v_pk_add_f32 v[4:5], v[24:25], 0 op_sel_hi:[1,0]
	v_pk_fma_f32 v[24:25], v[32:33], v[34:35], v[14:15] op_sel:[0,0,1] op_sel_hi:[1,1,0] neg_lo:[0,0,1] neg_hi:[0,0,1]
	v_pk_fma_f32 v[14:15], v[32:33], v[34:35], v[14:15] op_sel:[0,0,1] op_sel_hi:[1,0,0]
	v_mov_b32_e32 v25, v15
	s_waitcnt lgkmcnt(0)
	v_pk_mul_f32 v[14:15], v[38:39], v[36:37] op_sel:[0,1]
	v_pk_add_f32 v[4:5], v[4:5], v[24:25]
	v_pk_fma_f32 v[24:25], v[38:39], v[36:37], v[14:15] op_sel:[0,0,1] op_sel_hi:[1,1,0] neg_lo:[0,0,1] neg_hi:[0,0,1]
	v_pk_fma_f32 v[14:15], v[38:39], v[36:37], v[14:15] op_sel:[0,0,1] op_sel_hi:[1,0,0]
	v_mov_b32_e32 v25, v15
	v_pk_mul_f32 v[14:15], v[40:41], v[10:11] op_sel:[0,1]
	v_pk_add_f32 v[4:5], v[4:5], v[24:25]
	v_pk_fma_f32 v[24:25], v[40:41], v[10:11], v[14:15] op_sel:[0,0,1] op_sel_hi:[1,1,0] neg_lo:[0,0,1] neg_hi:[0,0,1]
	v_pk_fma_f32 v[10:11], v[40:41], v[10:11], v[14:15] op_sel:[0,0,1] op_sel_hi:[1,0,0]
	v_mov_b32_e32 v25, v11
	v_pk_add_f32 v[4:5], v[4:5], v[24:25]
	s_barrier
	ds_write_b64 v29, v[4:5]
	s_waitcnt lgkmcnt(0)
	s_barrier
	s_and_saveexec_b64 s[10:11], s[8:9]
	s_cbranch_execz .LBB12_83
; %bb.82:
	v_lshlrev_b32_e32 v3, 3, v28
	ds_read2_b64 v[30:33], v3 offset1:7
	ds_read2_b64 v[34:37], v3 offset0:1 offset1:2
	ds_read2_b64 v[38:41], v3 offset0:3 offset1:4
	s_waitcnt lgkmcnt(1)
	v_add_f32_e32 v4, v34, v30
	v_add_f32_e32 v5, v35, v31
	;; [unrolled: 1-line block ×4, first 2 shown]
	ds_read2_b64 v[34:37], v3 offset0:5 offset1:6
	s_waitcnt lgkmcnt(1)
	v_add_f32_e32 v3, v4, v38
	v_add_f32_e32 v4, v5, v39
	;; [unrolled: 1-line block ×4, first 2 shown]
	s_waitcnt lgkmcnt(0)
	v_add_f32_e32 v4, v3, v34
	v_add_f32_e32 v5, v5, v35
	v_pk_add_f32 v[4:5], v[4:5], v[36:37]
	v_pk_add_f32 v[18:19], v[4:5], v[32:33]
.LBB12_83:
	s_or_b64 exec, exec, s[10:11]
	s_lshl_b64 s[10:11], s[18:19], 3
	v_mov_b32_e32 v3, s11
	v_subrev_co_u32_e64 v24, s[10:11], s10, v2
	s_and_b64 vcc, exec, s[16:17]
	v_subb_co_u32_e64 v25, s[10:11], v1, v3, s[10:11]
	s_barrier
	s_cbranch_vccnz .LBB12_100
; %bb.84:
	s_lshl_b64 s[10:11], s[40:41], 6
	v_mov_b32_e32 v1, s11
	v_add_co_u32_e32 v2, vcc, s10, v24
	v_addc_co_u32_e32 v3, vcc, v25, v1, vcc
	v_add_co_u32_e32 v4, vcc, s10, v2
	v_addc_co_u32_e32 v5, vcc, v3, v1, vcc
	v_mov_b32_e32 v1, 0xc0
	v_mad_u64_u32 v[10:11], s[10:11], s40, v1, v[24:25]
	s_mul_i32 s10, s41, 0xc0
	v_add_u32_e32 v11, s10, v11
	global_load_dwordx2 v[14:15], v[24:25], off
	global_load_dwordx2 v[30:31], v[2:3], off
	global_load_dwordx2 v[32:33], v[4:5], off
	global_load_dwordx2 v[34:35], v[10:11], off
	v_mad_u32_u24 v1, v8, 33, v0
	v_add_u32_e32 v4, 8, v8
	v_add_u32_e32 v5, 16, v8
	;; [unrolled: 1-line block ×3, first 2 shown]
	v_lshlrev_b32_e32 v7, 3, v1
	v_add_u32_e32 v2, 0x108, v1
	v_add_u32_e32 v3, 0x210, v1
	;; [unrolled: 1-line block ×3, first 2 shown]
	s_waitcnt vmcnt(3)
	ds_write_b64 v7, v[14:15]
	s_waitcnt vmcnt(2)
	ds_write_b64 v7, v[30:31] offset:2112
	s_waitcnt vmcnt(1)
	ds_write_b64 v7, v[32:33] offset:4224
	;; [unrolled: 2-line block ×3, first 2 shown]
	s_cbranch_execz .LBB12_101
	s_branch .LBB12_116
.LBB12_85:
	v_cmp_eq_u32_e32 vcc, v9, v0
	s_and_saveexec_b64 s[34:35], vcc
	s_cbranch_execz .LBB12_87
; %bb.86:
	v_mul_u32_u24_e32 v3, 34, v0
	v_lshlrev_b32_e32 v3, 3, v3
	v_mov_b32_e32 v4, 0
	ds_write_b32 v3, v4 offset:4
.LBB12_87:
	s_or_b64 exec, exec, s[34:35]
	s_andn2_saveexec_b64 s[8:9], s[8:9]
	s_cbranch_execz .LBB12_74
.LBB12_88:
	ds_read_b64 v[4:5], v15
	s_waitcnt lgkmcnt(0)
	v_xor_b32_e32 v5, 0x80000000, v5
	ds_write_b64 v12, v[4:5]
	s_or_b64 exec, exec, s[8:9]
	s_and_saveexec_b64 s[8:9], s[10:11]
	s_xor_b64 s[8:9], exec, s[8:9]
	s_cbranch_execz .LBB12_75
.LBB12_89:
	v_cmp_eq_u32_e32 vcc, v10, v0
	s_and_saveexec_b64 s[10:11], vcc
	s_cbranch_execz .LBB12_91
; %bb.90:
	v_mul_u32_u24_e32 v3, 34, v0
	v_lshlrev_b32_e32 v3, 3, v3
	v_mov_b32_e32 v4, 0
	ds_write_b32 v3, v4 offset:4
.LBB12_91:
	s_or_b64 exec, exec, s[10:11]
	s_andn2_saveexec_b64 s[8:9], s[8:9]
	s_cbranch_execz .LBB12_76
.LBB12_92:
	ds_read_b64 v[4:5], v14
	s_waitcnt lgkmcnt(0)
	v_xor_b32_e32 v5, 0x80000000, v5
	ds_write_b64 v12, v[4:5] offset:8
	s_or_b64 exec, exec, s[8:9]
	s_and_saveexec_b64 s[8:9], s[12:13]
	s_xor_b64 s[8:9], exec, s[8:9]
	s_cbranch_execz .LBB12_77
.LBB12_93:
	v_cmp_eq_u32_e32 vcc, v11, v0
	s_and_saveexec_b64 s[10:11], vcc
	s_cbranch_execz .LBB12_95
; %bb.94:
	v_mul_u32_u24_e32 v3, 34, v0
	v_lshlrev_b32_e32 v3, 3, v3
	v_mov_b32_e32 v4, 0
	ds_write_b32 v3, v4 offset:4
.LBB12_95:
	s_or_b64 exec, exec, s[10:11]
	s_andn2_saveexec_b64 s[8:9], s[8:9]
	s_cbranch_execz .LBB12_78
.LBB12_96:
	ds_read_b64 v[4:5], v14 offset:264
	s_waitcnt lgkmcnt(0)
	v_xor_b32_e32 v5, 0x80000000, v5
	ds_write_b64 v12, v[4:5] offset:16
	s_or_b64 exec, exec, s[8:9]
	s_and_saveexec_b64 s[8:9], s[14:15]
	s_xor_b64 s[8:9], exec, s[8:9]
	s_cbranch_execz .LBB12_79
.LBB12_97:
	v_cmp_eq_u32_e32 vcc, v13, v0
	s_and_saveexec_b64 s[10:11], vcc
	s_cbranch_execz .LBB12_99
; %bb.98:
	v_mul_u32_u24_e32 v3, 34, v0
	v_lshlrev_b32_e32 v3, 3, v3
	v_mov_b32_e32 v4, 0
	ds_write_b32 v3, v4 offset:4
.LBB12_99:
	s_or_b64 exec, exec, s[10:11]
	s_andn2_saveexec_b64 s[8:9], s[8:9]
	s_cbranch_execnz .LBB12_80
	s_branch .LBB12_81
.LBB12_100:
                                        ; implicit-def: $vgpr1
                                        ; implicit-def: $vgpr4
                                        ; implicit-def: $vgpr2
                                        ; implicit-def: $vgpr5
                                        ; implicit-def: $vgpr3
                                        ; implicit-def: $vgpr9
                                        ; implicit-def: $vgpr10
.LBB12_101:
	v_lshlrev_b32_e32 v7, 3, v0
	v_sub_co_u32_e32 v2, vcc, v24, v7
	s_ashr_i32 s25, s24, 31
	v_subbrev_co_u32_e32 v3, vcc, 0, v25, vcc
	s_lshl_b64 s[12:13], s[24:25], 3
	v_mov_b32_e32 v4, s13
	v_add_co_u32_e32 v2, vcc, s12, v2
	v_addc_co_u32_e32 v3, vcc, v3, v4, vcc
	v_or_b32_e32 v1, 32, v0
	v_add_co_u32_e32 v2, vcc, 0xfffffef8, v2
	v_addc_co_u32_e32 v3, vcc, -1, v3, vcc
	v_cmp_gt_i32_e64 s[10:11], s24, v1
	v_mov_b32_e32 v4, 0
	v_cndmask_b32_e64 v3, v3, v25, s[10:11]
	v_cndmask_b32_e64 v2, v2, v24, s[10:11]
	v_cmp_gt_i32_e32 vcc, s24, v8
	v_mov_b32_e32 v5, v4
	s_and_saveexec_b64 s[14:15], vcc
	s_cbranch_execz .LBB12_103
; %bb.102:
	global_load_dwordx2 v[4:5], v[2:3], off
.LBB12_103:
	s_or_b64 exec, exec, s[14:15]
	v_mad_u32_u24 v1, v8, 33, v0
	v_lshlrev_b32_e32 v11, 3, v1
	s_waitcnt vmcnt(0)
	ds_write_b64 v11, v[4:5]
	v_add_u32_e32 v4, 8, v8
	v_cmp_le_i32_e32 vcc, s24, v4
	s_and_saveexec_b64 s[14:15], vcc
	s_xor_b64 s[14:15], exec, s[14:15]
	s_cbranch_execz .LBB12_105
; %bb.104:
	v_mul_u32_u24_e32 v5, 33, v4
	v_mov_b32_e32 v14, 0
	v_add_lshl_u32 v5, v5, v0, 3
	v_mov_b32_e32 v15, v14
	ds_write_b64 v5, v[14:15]
.LBB12_105:
	s_andn2_saveexec_b64 s[14:15], s[14:15]
	s_cbranch_execz .LBB12_107
; %bb.106:
	s_lshl_b64 s[16:17], s[40:41], 6
	v_mov_b32_e32 v5, s17
	v_add_co_u32_e32 v14, vcc, s16, v2
	v_addc_co_u32_e32 v15, vcc, v3, v5, vcc
	global_load_dwordx2 v[14:15], v[14:15], off
	s_waitcnt vmcnt(0)
	ds_write_b64 v11, v[14:15] offset:2112
.LBB12_107:
	s_or_b64 exec, exec, s[14:15]
	v_add_u32_e32 v5, 16, v8
	v_cmp_le_i32_e32 vcc, s24, v5
	s_and_saveexec_b64 s[14:15], vcc
	s_xor_b64 s[14:15], exec, s[14:15]
	s_cbranch_execz .LBB12_109
; %bb.108:
	v_mul_u32_u24_e32 v9, 33, v5
	v_mov_b32_e32 v14, 0
	v_add_lshl_u32 v0, v9, v0, 3
	v_mov_b32_e32 v15, v14
	ds_write_b64 v0, v[14:15]
.LBB12_109:
	s_andn2_saveexec_b64 s[14:15], s[14:15]
	s_cbranch_execz .LBB12_111
; %bb.110:
	s_lshl_b64 s[16:17], s[40:41], 7
	v_mov_b32_e32 v0, s17
	v_add_co_u32_e32 v14, vcc, s16, v2
	v_addc_co_u32_e32 v15, vcc, v3, v0, vcc
	global_load_dwordx2 v[14:15], v[14:15], off
	s_waitcnt vmcnt(0)
	ds_write_b64 v11, v[14:15] offset:4224
.LBB12_111:
	s_or_b64 exec, exec, s[14:15]
	v_add_u32_e32 v9, 24, v8
	v_cmp_le_i32_e32 vcc, s24, v9
                                        ; implicit-def: $vgpr10
	s_and_saveexec_b64 s[14:15], vcc
	s_xor_b64 s[14:15], exec, s[14:15]
	s_cbranch_execz .LBB12_113
; %bb.112:
	v_mov_b32_e32 v14, 0
	v_add_u32_e32 v10, 0x318, v1
	v_mov_b32_e32 v15, v14
	ds_write_b64 v11, v[14:15] offset:6336
                                        ; implicit-def: $vgpr11
.LBB12_113:
	s_andn2_saveexec_b64 s[14:15], s[14:15]
	s_cbranch_execz .LBB12_115
; %bb.114:
	v_mov_b32_e32 v0, 0xc0
	v_mad_u64_u32 v[14:15], s[16:17], s40, v0, v[2:3]
	s_mul_i32 s16, s41, 0xc0
	v_add_u32_e32 v15, s16, v15
	global_load_dwordx2 v[14:15], v[14:15], off
	v_add_u32_e32 v10, 0x318, v1
	s_waitcnt vmcnt(0)
	ds_write_b64 v11, v[14:15] offset:6336
.LBB12_115:
	s_or_b64 exec, exec, s[14:15]
	v_add_co_u32_e32 v0, vcc, v2, v7
	v_addc_co_u32_e32 v2, vcc, 0, v3, vcc
	v_mov_b32_e32 v3, s13
	v_subrev_co_u32_e32 v0, vcc, s12, v0
	v_subb_co_u32_e32 v2, vcc, v2, v3, vcc
	v_add_co_u32_e32 v0, vcc, 0x108, v0
	v_addc_co_u32_e32 v2, vcc, 0, v2, vcc
	v_cndmask_b32_e64 v25, v2, v25, s[10:11]
	v_cndmask_b32_e64 v24, v0, v24, s[10:11]
	v_add_u32_e32 v2, 0x108, v1
	v_add_u32_e32 v3, 0x210, v1
.LBB12_116:
	v_lshlrev_b32_e32 v0, 3, v1
	s_waitcnt lgkmcnt(0)
	s_barrier
	ds_read_b64 v[30:31], v0
	v_lshlrev_b32_e32 v7, 3, v8
	v_lshlrev_b32_e32 v13, 3, v2
	;; [unrolled: 1-line block ×7, first 2 shown]
	ds_read_b64 v[32:33], v0
	ds_read2_b64 v[8:11], v12 offset1:1
	ds_read2_b64 v[0:3], v12 offset0:2 offset1:3
	ds_read_b64 v[34:35], v4 offset:9088
	ds_read_b64 v[36:37], v13
	ds_read_b64 v[38:39], v7 offset:9088
	ds_read_b128 v[12:15], v6 offset:256
	ds_read_b128 v[4:7], v6 offset:272
	ds_read_b64 v[40:41], v40 offset:9088
	ds_read_b64 v[42:43], v42
	ds_read_b64 v[44:45], v44 offset:9088
	s_waitcnt lgkmcnt(5)
	v_pk_mul_f32 v[46:47], v[38:39], v[30:31] op_sel:[0,1]
	v_pk_fma_f32 v[48:49], v[38:39], v[30:31], v[46:47] op_sel:[0,0,1] op_sel_hi:[1,1,0] neg_lo:[0,0,1] neg_hi:[0,0,1]
	v_pk_fma_f32 v[30:31], v[38:39], v[30:31], v[46:47] op_sel:[0,0,1] op_sel_hi:[1,0,0]
	v_pk_mul_f32 v[38:39], v[34:35], v[36:37] op_sel:[0,1]
	v_pk_fma_f32 v[46:47], v[34:35], v[36:37], v[38:39] op_sel:[0,0,1] op_sel_hi:[1,1,0] neg_lo:[0,0,1] neg_hi:[0,0,1]
	v_pk_fma_f32 v[34:35], v[34:35], v[36:37], v[38:39] op_sel:[0,0,1] op_sel_hi:[1,0,0]
	v_mov_b32_e32 v47, v35
	s_waitcnt lgkmcnt(0)
	v_pk_mul_f32 v[34:35], v[44:45], v[32:33] op_sel:[0,1]
	v_mov_b32_e32 v49, v31
	v_pk_fma_f32 v[36:37], v[44:45], v[32:33], v[34:35] op_sel:[0,0,1] op_sel_hi:[1,1,0] neg_lo:[0,0,1] neg_hi:[0,0,1]
	v_pk_fma_f32 v[32:33], v[44:45], v[32:33], v[34:35] op_sel:[0,0,1] op_sel_hi:[1,0,0]
	v_pk_add_f32 v[30:31], v[48:49], 0 op_sel_hi:[1,0]
	v_mov_b32_e32 v37, v33
	v_pk_mul_f32 v[32:33], v[40:41], v[42:43] op_sel:[0,1]
	v_pk_add_f32 v[30:31], v[30:31], v[46:47]
	v_pk_fma_f32 v[34:35], v[40:41], v[42:43], v[32:33] op_sel:[0,0,1] op_sel_hi:[1,1,0] neg_lo:[0,0,1] neg_hi:[0,0,1]
	v_pk_fma_f32 v[32:33], v[40:41], v[42:43], v[32:33] op_sel:[0,0,1] op_sel_hi:[1,0,0]
	v_pk_add_f32 v[30:31], v[30:31], v[36:37]
	v_mov_b32_e32 v35, v33
	v_pk_add_f32 v[30:31], v[30:31], v[34:35]
	s_barrier
	ds_write_b64 v29, v[30:31]
	s_waitcnt lgkmcnt(0)
	s_barrier
	s_and_saveexec_b64 s[10:11], s[8:9]
	s_cbranch_execz .LBB12_118
; %bb.117:
	v_lshlrev_b32_e32 v42, 3, v28
	ds_read2_b64 v[30:33], v42 offset1:1
	ds_read2_b64 v[34:37], v42 offset0:2 offset1:3
	ds_read2_b64 v[38:41], v42 offset0:4 offset1:5
	s_waitcnt lgkmcnt(2)
	v_pk_add_f32 v[18:19], v[18:19], v[30:31]
	v_pk_add_f32 v[18:19], v[18:19], v[32:33]
	ds_read2_b64 v[30:33], v42 offset0:6 offset1:7
	s_waitcnt lgkmcnt(2)
	v_pk_add_f32 v[18:19], v[18:19], v[34:35]
	v_pk_add_f32 v[18:19], v[18:19], v[36:37]
	s_waitcnt lgkmcnt(1)
	v_pk_add_f32 v[18:19], v[18:19], v[38:39]
	v_pk_add_f32 v[18:19], v[18:19], v[40:41]
	s_waitcnt lgkmcnt(0)
	v_pk_add_f32 v[18:19], v[18:19], v[30:31]
	v_pk_add_f32 v[18:19], v[18:19], v[32:33]
.LBB12_118:
	s_or_b64 exec, exec, s[10:11]
	v_pk_mul_f32 v[30:31], v[8:9], v[12:13] op_sel:[1,0]
	v_pk_fma_f32 v[32:33], v[8:9], v[12:13], v[30:31] op_sel:[0,0,1] op_sel_hi:[1,1,0]
	v_pk_fma_f32 v[8:9], v[8:9], v[12:13], v[30:31] op_sel:[0,0,1] op_sel_hi:[0,1,0] neg_lo:[0,0,1] neg_hi:[0,0,1]
	v_mov_b32_e32 v12, v11
	v_pk_mul_f32 v[12:13], v[12:13], v[14:15] op_sel_hi:[0,1]
	v_pk_fma_f32 v[30:31], v[10:11], v[14:15], v[12:13] op_sel:[0,0,1] op_sel_hi:[1,1,0]
	v_pk_fma_f32 v[10:11], v[10:11], v[14:15], v[12:13] op_sel:[0,0,1] op_sel_hi:[0,1,0] neg_lo:[0,0,1] neg_hi:[0,0,1]
	v_mov_b32_e32 v33, v9
	v_mov_b32_e32 v31, v11
	v_pk_mul_f32 v[10:11], v[0:1], v[4:5] op_sel:[1,0]
	v_pk_add_f32 v[8:9], v[32:33], 0 op_sel_hi:[1,0]
	v_pk_fma_f32 v[12:13], v[0:1], v[4:5], v[10:11] op_sel:[0,0,1] op_sel_hi:[1,1,0]
	v_pk_fma_f32 v[0:1], v[0:1], v[4:5], v[10:11] op_sel:[0,0,1] op_sel_hi:[0,1,0] neg_lo:[0,0,1] neg_hi:[0,0,1]
	v_mov_b32_e32 v4, v3
	v_pk_add_f32 v[8:9], v[8:9], v[30:31]
	v_mov_b32_e32 v13, v1
	v_pk_mul_f32 v[4:5], v[4:5], v[6:7] op_sel_hi:[0,1]
	v_pk_add_f32 v[0:1], v[8:9], v[12:13]
	v_pk_fma_f32 v[8:9], v[2:3], v[6:7], v[4:5] op_sel:[0,0,1] op_sel_hi:[1,1,0]
	v_pk_fma_f32 v[2:3], v[2:3], v[6:7], v[4:5] op_sel:[0,0,1] op_sel_hi:[0,1,0] neg_lo:[0,0,1] neg_hi:[0,0,1]
	v_mov_b32_e32 v9, v3
	v_pk_add_f32 v[0:1], v[0:1], v[8:9]
	s_barrier
	ds_write_b64 v29, v[0:1]
	s_waitcnt lgkmcnt(0)
	s_barrier
	s_and_saveexec_b64 s[8:9], s[20:21]
	s_cbranch_execz .LBB12_120
; %bb.119:
	v_lshlrev_b32_e32 v14, 3, v28
	ds_read2_b64 v[0:3], v14 offset1:1
	ds_read2_b64 v[4:7], v14 offset0:2 offset1:3
	ds_read2_b64 v[8:11], v14 offset0:4 offset1:5
	s_waitcnt lgkmcnt(2)
	v_pk_add_f32 v[0:1], v[18:19], v[0:1]
	v_pk_add_f32 v[12:13], v[0:1], v[2:3]
	ds_read2_b64 v[0:3], v14 offset0:6 offset1:7
	s_waitcnt lgkmcnt(2)
	v_pk_add_f32 v[4:5], v[12:13], v[4:5]
	v_pk_add_f32 v[4:5], v[4:5], v[6:7]
	s_waitcnt lgkmcnt(1)
	v_pk_add_f32 v[4:5], v[4:5], v[8:9]
	v_pk_add_f32 v[4:5], v[4:5], v[10:11]
	;; [unrolled: 3-line block ×3, first 2 shown]
.LBB12_120:
	s_or_b64 exec, exec, s[8:9]
	s_load_dwordx2 s[4:5], s[4:5], 0x68
	s_mul_hi_u32 s8, s33, s7
	s_mul_i32 s44, s44, s7
	s_add_i32 s8, s8, s44
	s_mul_i32 s7, s33, s7
	s_mul_i32 s8, s8, s52
	s_mul_hi_u32 s9, s7, s52
	s_add_i32 s9, s9, s8
	s_mul_i32 s8, s7, s52
	s_lshl_b64 s[8:9], s[8:9], 3
	s_waitcnt lgkmcnt(0)
	s_add_u32 s7, s4, s8
	s_mul_i32 s4, s6, s33
	s_addc_u32 s8, s5, s9
	s_ashr_i32 s5, s4, 31
	s_lshl_b64 s[4:5], s[4:5], 3
	s_add_u32 s7, s7, s4
	v_cmp_le_i32_e32 vcc, s24, v26
	s_addc_u32 s20, s8, s5
	s_and_b64 vcc, s[30:31], vcc
	s_cmp_lt_i32 s6, 1
	v_lshlrev_b32_e32 v73, 3, v26
	s_barrier
	s_cbranch_scc1 .LBB12_127
; %bb.121:
	s_mul_i32 s4, s26, s49
	s_mul_hi_u32 s5, s26, s48
	s_add_i32 s4, s5, s4
	s_mul_i32 s5, s27, s48
	s_add_i32 s5, s4, s5
	s_mul_i32 s4, s26, s48
	s_lshl_b64 s[4:5], s[4:5], 3
	v_mov_b32_e32 v0, s5
	v_subrev_co_u32_e64 v74, s[4:5], s4, v20
	v_subb_co_u32_e64 v75, s[4:5], v21, v0, s[4:5]
	v_mov_b32_e32 v0, s29
	v_subrev_co_u32_e64 v1, s[4:5], s28, v24
	v_subb_co_u32_e64 v0, s[4:5], v25, v0, s[4:5]
	v_lshlrev_b32_e32 v3, 2, v72
	v_sub_co_u32_e64 v6, s[4:5], v1, v22
	v_subb_co_u32_e64 v7, s[4:5], v0, v23, s[4:5]
	v_mad_u64_u32 v[0:1], s[4:5], v3, s40, 0
	v_mov_b32_e32 v2, v1
	v_mad_u64_u32 v[2:3], s[4:5], v3, s41, v[2:3]
	v_mov_b32_e32 v1, v2
	v_lshlrev_b64 v[0:1], 3, v[0:1]
	v_add_co_u32_e64 v0, s[4:5], v6, v0
	v_addc_co_u32_e64 v1, s[4:5], v7, v1, s[4:5]
	s_ashr_i32 s25, s24, 31
	s_lshl_b64 s[4:5], s[24:25], 3
	v_mov_b32_e32 v2, s5
	v_add_co_u32_e64 v3, s[4:5], s4, v0
	v_addc_co_u32_e64 v2, s[4:5], v1, v2, s[4:5]
	s_movk_i32 s4, 0xfef8
	v_add_co_u32_e64 v3, s[4:5], s4, v3
	v_addc_co_u32_e64 v2, s[4:5], -1, v2, s[4:5]
	v_add_co_u32_e64 v0, s[4:5], v0, v73
	v_addc_co_u32_e64 v1, s[4:5], 0, v1, s[4:5]
	s_movk_i32 s4, 0xff00
	v_add_co_u32_e64 v0, s[4:5], s4, v0
	v_addc_co_u32_e64 v1, s[4:5], -1, v1, s[4:5]
	v_cndmask_b32_e32 v14, v0, v3, vcc
	v_and_b32_e32 v0, 48, v26
	v_and_b32_e32 v4, 15, v26
	v_cndmask_b32_e32 v15, v1, v2, vcc
	v_lshlrev_b32_e32 v1, 3, v0
	s_movk_i32 s8, 0x218
	v_lshrrev_b32_e32 v5, 4, v27
	v_mad_u32_u24 v78, v4, s8, v1
	v_or_b32_e32 v1, 0x78, v73
	v_mad_u32_u24 v79, v4, s8, v1
	v_lshlrev_b32_e32 v1, 5, v5
	v_mad_u32_u24 v80, v4, s8, v1
	v_mov_b32_e32 v1, 0x2180
	v_lshl_add_u32 v81, v72, 5, v1
	s_movk_i32 s9, 0x860
	v_lshlrev_b32_e32 v1, 3, v5
	v_mad_u32_u24 v82, v72, s9, v73
	v_mad_u32_u24 v83, v4, s8, v1
	s_mul_i32 s8, s41, 24
	s_mul_hi_u32 s9, s40, 24
	s_add_i32 s8, s9, s8
	s_mul_i32 s9, s41, 0x90
	s_mul_hi_u32 s16, s40, 0x90
	s_add_i32 s9, s16, s9
	;; [unrolled: 3-line block ×10, first 2 shown]
	s_mul_i32 s16, s41, 0x88
	s_mul_hi_u32 s17, s40, 0x88
	s_lshl_b64 s[10:11], s[40:41], 3
	s_lshl_b64 s[14:15], s[40:41], 4
	s_add_i32 s44, s17, s16
	s_lshl_b64 s[16:17], s[40:41], 7
	v_mov_b32_e32 v13, 0
	v_add_u32_e32 v76, 0x2180, v73
	v_add_u32_e32 v77, 0x2380, v73
	v_cmp_gt_u32_e64 s[4:5], 64, v27
	s_lshl_b64 s[12:13], s[40:41], 9
	s_mul_i32 s21, s40, 24
	s_mul_i32 s24, s40, 0x90
	;; [unrolled: 1-line block ×11, first 2 shown]
	v_or_b32_e32 v84, v0, v4
	s_mov_b32 s35, 0
	v_mov_b32_e32 v85, s11
	v_mov_b32_e32 v86, s15
	;; [unrolled: 1-line block ×15, first 2 shown]
	s_branch .LBB12_123
.LBB12_122:                             ;   in Loop: Header=BB12_123 Depth=1
	s_or_b64 exec, exec, s[18:19]
	v_mul_f32_e32 v12, v20, v28
	v_fma_f32 v12, -v21, v29, v12
	v_pk_mul_f32 v[20:21], v[20:21], v[28:29] op_sel:[1,0] op_sel_hi:[0,1]
	v_add_f32_e32 v12, v18, v12
	v_add_f32_e32 v18, v20, v21
	;; [unrolled: 1-line block ×3, first 2 shown]
	v_mul_f32_e32 v18, v22, v42
	v_fma_f32 v18, -v23, v43, v18
	v_add_f32_e32 v12, v12, v18
	v_pk_mul_f32 v[18:19], v[22:23], v[42:43] op_sel:[1,0] op_sel_hi:[0,1]
	v_add_f32_e32 v18, v18, v19
	v_add_f32_e32 v20, v20, v18
	v_mul_f32_e32 v18, v24, v38
	v_fma_f32 v18, -v25, v39, v18
	v_add_f32_e32 v12, v12, v18
	v_pk_mul_f32 v[18:19], v[24:25], v[38:39] op_sel:[1,0] op_sel_hi:[0,1]
	v_add_f32_e32 v18, v18, v19
	v_add_f32_e32 v20, v20, v18
	;; [unrolled: 6-line block ×4, first 2 shown]
	v_mul_f32_e32 v18, v32, v58
	v_fma_f32 v18, -v33, v59, v18
	v_pk_mul_f32 v[20:21], v[32:33], v[58:59] op_sel:[1,0] op_sel_hi:[0,1]
	v_add_f32_e32 v18, v12, v18
	v_add_f32_e32 v12, v20, v21
	;; [unrolled: 1-line block ×3, first 2 shown]
	v_mov_b32_e32 v12, v57
	v_pk_mul_f32 v[20:21], v[30:31], v[12:13] op_sel:[1,0] op_sel_hi:[0,1]
	v_pk_fma_f32 v[20:21], v[30:31], v[56:57], v[20:21] neg_lo:[0,0,1] neg_hi:[0,0,1]
	v_pk_mul_f32 v[22:23], v[30:31], v[56:57] op_sel:[1,0] op_sel_hi:[0,1]
	v_mov_b32_e32 v21, v22
	v_pk_mul_f32 v[26:27], v[36:37], v[54:55] op_sel:[1,0] op_sel_hi:[0,1]
	v_pk_fma_f32 v[22:23], v[30:31], v[56:57], v[20:21] op_sel:[1,0,0] op_sel_hi:[0,1,1]
	v_mov_b32_e32 v12, v55
	v_mov_b32_e32 v21, v26
	v_pk_mul_f32 v[24:25], v[36:37], v[12:13] op_sel:[1,0] op_sel_hi:[0,1]
	v_pk_fma_f32 v[26:27], v[36:37], v[54:55], v[20:21] op_sel:[1,0,0] op_sel_hi:[0,1,1]
	v_mov_b32_e32 v21, v23
	v_pk_fma_f32 v[24:25], v[36:37], v[54:55], v[24:25] neg_lo:[0,0,1] neg_hi:[0,0,1]
	v_pk_add_f32 v[18:19], v[18:19], v[20:21]
	v_pk_mul_f32 v[20:21], v[50:51], v[64:65] op_sel:[1,1] op_sel_hi:[0,1]
	v_mov_b32_e32 v25, v27
	v_pk_mul_f32 v[22:23], v[48:49], v[8:9] op_sel:[0,1]
	v_pk_fma_f32 v[28:29], v[50:51], v[64:65], v[20:21] neg_lo:[0,0,1] neg_hi:[0,0,1]
	v_pk_fma_f32 v[20:21], v[50:51], v[64:65], v[20:21] op_sel_hi:[1,0,1]
	v_pk_add_f32 v[18:19], v[18:19], v[24:25]
	v_mov_b32_e32 v12, v11
	v_mov_b32_e32 v29, v21
	v_pk_fma_f32 v[20:21], v[48:49], v[8:9], v[22:23] op_sel:[0,0,1] op_sel_hi:[1,1,0] neg_lo:[0,0,1] neg_hi:[0,0,1]
	v_pk_fma_f32 v[8:9], v[48:49], v[8:9], v[22:23] op_sel:[0,0,1] op_sel_hi:[1,0,0]
	v_pk_mul_f32 v[24:25], v[44:45], v[12:13] op_sel_hi:[1,0]
	v_pk_add_f32 v[18:19], v[18:19], v[28:29]
	v_mov_b32_e32 v21, v9
	v_pk_add_f32 v[8:9], v[18:19], v[20:21]
	v_pk_fma_f32 v[18:19], v[44:45], v[10:11], v[24:25] op_sel:[0,0,1] op_sel_hi:[1,1,0] neg_lo:[0,0,1] neg_hi:[0,0,1]
	v_pk_fma_f32 v[10:11], v[44:45], v[10:11], v[24:25] op_sel:[0,0,1] op_sel_hi:[1,0,0]
	v_pk_mul_f32 v[26:27], v[46:47], v[66:67] op_sel:[0,1]
	v_mov_b32_e32 v19, v11
	v_pk_add_f32 v[8:9], v[8:9], v[18:19]
	v_pk_fma_f32 v[10:11], v[46:47], v[66:67], v[26:27] op_sel:[0,0,1] op_sel_hi:[1,1,0] neg_lo:[0,0,1] neg_hi:[0,0,1]
	v_pk_fma_f32 v[18:19], v[46:47], v[66:67], v[26:27] op_sel:[0,0,1] op_sel_hi:[1,0,0]
	v_mov_b32_e32 v11, v19
	v_pk_add_f32 v[8:9], v[8:9], v[10:11]
	v_pk_mul_f32 v[10:11], v[70:71], v[0:1] op_sel:[0,1]
	v_pk_mul_f32 v[18:19], v[68:69], v[6:7] op_sel:[0,1]
	v_pk_fma_f32 v[24:25], v[70:71], v[0:1], v[10:11] op_sel:[0,0,1] op_sel_hi:[1,1,0] neg_lo:[0,0,1] neg_hi:[0,0,1]
	v_pk_fma_f32 v[0:1], v[70:71], v[0:1], v[10:11] op_sel:[0,0,1] op_sel_hi:[1,0,0]
	v_pk_mul_f32 v[20:21], v[60:61], v[4:5] op_sel:[0,1]
	v_mov_b32_e32 v25, v1
	v_pk_fma_f32 v[0:1], v[68:69], v[6:7], v[18:19] op_sel:[0,0,1] op_sel_hi:[1,1,0] neg_lo:[0,0,1] neg_hi:[0,0,1]
	v_pk_fma_f32 v[6:7], v[68:69], v[6:7], v[18:19] op_sel:[0,0,1] op_sel_hi:[1,0,0]
	v_pk_mul_f32 v[22:23], v[62:63], v[2:3] op_sel:[0,1]
	v_mov_b32_e32 v1, v7
	v_pk_fma_f32 v[6:7], v[60:61], v[4:5], v[20:21] op_sel:[0,0,1] op_sel_hi:[1,1,0] neg_lo:[0,0,1] neg_hi:[0,0,1]
	v_pk_fma_f32 v[4:5], v[60:61], v[4:5], v[20:21] op_sel:[0,0,1] op_sel_hi:[1,0,0]
	v_mov_b32_e32 v7, v5
	v_pk_fma_f32 v[4:5], v[62:63], v[2:3], v[22:23] op_sel:[0,0,1] op_sel_hi:[1,1,0] neg_lo:[0,0,1] neg_hi:[0,0,1]
	v_pk_fma_f32 v[2:3], v[62:63], v[2:3], v[22:23] op_sel:[0,0,1] op_sel_hi:[1,0,0]
	v_mov_b32_e32 v5, v3
	v_pk_add_f32 v[2:3], v[8:9], v[24:25]
	v_pk_add_f32 v[0:1], v[2:3], v[0:1]
	;; [unrolled: 1-line block ×4, first 2 shown]
	v_mov_b32_e32 v0, s13
	s_add_i32 s35, s35, 64
	s_add_i32 s6, s6, -1
	v_add_co_u32_e64 v14, s[8:9], s12, v14
	s_cmp_eq_u32 s6, 0
	v_addc_co_u32_e64 v15, s[8:9], v15, v0, s[8:9]
	s_barrier
	s_cbranch_scc1 .LBB12_127
.LBB12_123:                             ; =>This Inner Loop Header: Depth=1
	s_and_saveexec_b64 s[18:19], s[2:3]
	s_cbranch_execz .LBB12_125
; %bb.124:                              ;   in Loop: Header=BB12_123 Depth=1
	s_mul_i32 s8, s35, s49
	s_mul_hi_u32 s9, s35, s48
	s_add_i32 s9, s9, s8
	s_mul_i32 s8, s35, s48
	s_lshl_b64 s[8:9], s[8:9], 3
	v_mov_b32_e32 v1, s9
	v_add_co_u32_e64 v0, s[8:9], s8, v74
	v_addc_co_u32_e64 v1, s[8:9], v75, v1, s[8:9]
	global_load_dwordx2 v[0:1], v[0:1], off
	s_waitcnt vmcnt(0)
	ds_write_b64 v76, v[0:1]
.LBB12_125:                             ;   in Loop: Header=BB12_123 Depth=1
	s_or_b64 exec, exec, s[18:19]
	v_add_co_u32_e64 v0, s[8:9], s10, v14
	v_addc_co_u32_e64 v1, s[8:9], v15, v85, s[8:9]
	v_add_co_u32_e64 v2, s[8:9], s14, v14
	s_waitcnt lgkmcnt(0)
	s_barrier
	global_load_dwordx2 v[20:21], v[14:15], off
	v_addc_co_u32_e64 v3, s[8:9], v15, v86, s[8:9]
	global_load_dwordx2 v[22:23], v[0:1], off
	global_load_dwordx2 v[24:25], v[2:3], off
	v_add_co_u32_e64 v0, s[8:9], s21, v14
	v_addc_co_u32_e64 v1, s[8:9], v15, v87, s[8:9]
	global_load_dwordx2 v[26:27], v[0:1], off
	ds_read_b64 v[0:1], v77
	ds_read_b64 v[28:29], v81
	v_add_co_u32_e64 v8, s[8:9], s16, v14
	v_addc_co_u32_e64 v9, s[8:9], v15, v88, s[8:9]
	v_add_co_u32_e64 v10, s[8:9], s34, v14
	v_addc_co_u32_e64 v11, s[8:9], v15, v89, s[8:9]
	;; [unrolled: 2-line block ×3, first 2 shown]
	s_waitcnt vmcnt(3) lgkmcnt(1)
	v_mul_f32_e32 v2, v21, v1
	v_mul_f32_e32 v3, v21, v0
	v_fmac_f32_e32 v2, v20, v0
	v_fma_f32 v3, v20, v1, -v3
	s_waitcnt vmcnt(2)
	v_mul_f32_e32 v4, v23, v1
	v_mul_f32_e32 v5, v23, v0
	s_waitcnt vmcnt(1)
	v_mul_f32_e32 v6, v25, v1
	v_mul_f32_e32 v7, v25, v0
	ds_write_b64 v82, v[2:3]
	v_fmac_f32_e32 v4, v22, v0
	v_fma_f32 v5, v22, v1, -v5
	s_waitcnt vmcnt(0)
	v_mul_f32_e32 v30, v27, v1
	v_mul_f32_e32 v12, v27, v0
	v_fmac_f32_e32 v6, v24, v0
	v_fma_f32 v7, v24, v1, -v7
	ds_read_b64 v[42:43], v81 offset:8
	ds_write_b64 v82, v[4:5] offset:536
	v_fmac_f32_e32 v30, v26, v0
	v_fma_f32 v31, v26, v1, -v12
	ds_read_b64 v[38:39], v81 offset:16
	ds_write_b64 v82, v[6:7] offset:1072
	ds_read_b64 v[34:35], v81 offset:24
	ds_write_b64 v82, v[30:31] offset:1608
	s_waitcnt lgkmcnt(0)
	s_barrier
	ds_read2_b64 v[4:7], v80 offset1:1
	ds_read2_b64 v[0:3], v80 offset0:2 offset1:3
	s_waitcnt lgkmcnt(0)
	s_barrier
	global_load_dwordx2 v[40:41], v[8:9], off
	global_load_dwordx2 v[32:33], v[10:11], off
	;; [unrolled: 1-line block ×3, first 2 shown]
	v_add_co_u32_e64 v8, s[8:9], s25, v14
	v_addc_co_u32_e64 v9, s[8:9], v15, v91, s[8:9]
	global_load_dwordx2 v[36:37], v[8:9], off
	ds_read_b64 v[44:45], v77
	ds_read_b64 v[52:53], v81 offset:128
	v_add_co_u32_e64 v8, s[8:9], s22, v14
	v_addc_co_u32_e64 v9, s[8:9], v15, v92, s[8:9]
	v_add_co_u32_e64 v10, s[8:9], s33, v14
	v_addc_co_u32_e64 v11, s[8:9], v15, v93, s[8:9]
	v_add_co_u32_e64 v46, s[8:9], s26, v14
	v_addc_co_u32_e64 v47, s[8:9], v15, v94, s[8:9]
	v_pk_add_f32 v[4:5], v[4:5], 0 op_sel_hi:[1,0]
	v_pk_add_f32 v[4:5], v[4:5], v[6:7]
	v_pk_add_f32 v[0:1], v[4:5], v[0:1]
	s_waitcnt vmcnt(3) lgkmcnt(1)
	v_mul_f32_e32 v48, v41, v45
	v_mul_f32_e32 v12, v41, v44
	s_waitcnt vmcnt(2)
	v_mul_f32_e32 v50, v33, v45
	v_mul_f32_e32 v51, v33, v44
	v_fmac_f32_e32 v48, v40, v44
	v_fma_f32 v49, v40, v45, -v12
	s_waitcnt vmcnt(1)
	v_mul_f32_e32 v54, v31, v45
	v_mul_f32_e32 v55, v31, v44
	v_fmac_f32_e32 v50, v32, v44
	v_fma_f32 v51, v32, v45, -v51
	ds_write_b64 v82, v[48:49]
	s_waitcnt vmcnt(0)
	v_mul_f32_e32 v60, v37, v45
	v_mul_f32_e32 v56, v37, v44
	v_fmac_f32_e32 v54, v30, v44
	v_fma_f32 v55, v30, v45, -v55
	ds_read_b64 v[58:59], v81 offset:136
	ds_write_b64 v82, v[50:51] offset:536
	v_fmac_f32_e32 v60, v36, v44
	v_fma_f32 v61, v36, v45, -v56
	ds_read_b64 v[56:57], v81 offset:144
	ds_write_b64 v82, v[54:55] offset:1072
	ds_read_b64 v[54:55], v81 offset:152
	ds_write_b64 v82, v[60:61] offset:1608
	s_waitcnt lgkmcnt(0)
	s_barrier
	ds_read2_b64 v[100:103], v80 offset1:1
	ds_read2_b64 v[104:107], v80 offset0:2 offset1:3
	s_waitcnt lgkmcnt(0)
	s_barrier
	global_load_dwordx2 v[50:51], v[8:9], off
	global_load_dwordx2 v[48:49], v[10:11], off
	;; [unrolled: 1-line block ×3, first 2 shown]
	v_add_co_u32_e64 v8, s[8:9], s27, v14
	v_addc_co_u32_e64 v9, s[8:9], v15, v95, s[8:9]
	global_load_dwordx2 v[46:47], v[8:9], off
	ds_read_b64 v[8:9], v77
	ds_read_b64 v[64:65], v81 offset:256
	v_add_co_u32_e64 v62, s[8:9], s31, v14
	v_addc_co_u32_e64 v63, s[8:9], v15, v96, s[8:9]
	v_add_co_u32_e64 v116, s[8:9], s30, v14
	v_addc_co_u32_e64 v117, s[8:9], v15, v97, s[8:9]
	;; [unrolled: 2-line block ×3, first 2 shown]
	s_waitcnt vmcnt(3) lgkmcnt(1)
	v_mul_f32_e32 v10, v51, v9
	v_mul_f32_e32 v11, v51, v8
	s_waitcnt vmcnt(2)
	v_mul_f32_e32 v60, v49, v9
	v_mul_f32_e32 v12, v49, v8
	s_waitcnt vmcnt(1)
	v_mul_f32_e32 v66, v45, v8
	v_mul_f32_e32 v68, v45, v9
	v_fma_f32 v11, v50, v9, -v11
	s_waitcnt vmcnt(0)
	v_mul_f32_e32 v67, v47, v8
	v_mul_f32_e32 v70, v47, v9
	v_fmac_f32_e32 v10, v50, v8
	v_fma_f32 v61, v48, v9, -v12
	v_fma_f32 v69, v44, v9, -v66
	v_fmac_f32_e32 v60, v48, v8
	v_fmac_f32_e32 v68, v44, v8
	v_fma_f32 v71, v46, v9, -v67
	v_fmac_f32_e32 v70, v46, v8
	ds_write_b64 v82, v[10:11]
	ds_read_b64 v[66:67], v81 offset:280
	ds_read2_b64 v[8:11], v81 offset0:33 offset1:34
	ds_write2_b64 v82, v[60:61], v[68:69] offset0:67 offset1:134
	ds_write_b64 v82, v[70:71] offset:1608
	s_waitcnt lgkmcnt(0)
	s_barrier
	ds_read2_b64 v[108:111], v80 offset1:1
	ds_read2_b64 v[112:115], v80 offset0:2 offset1:3
	s_waitcnt lgkmcnt(0)
	s_barrier
	global_load_dwordx2 v[70:71], v[62:63], off
	global_load_dwordx2 v[68:69], v[116:117], off
	;; [unrolled: 1-line block ×3, first 2 shown]
	v_add_co_u32_e64 v62, s[8:9], s29, v14
	v_addc_co_u32_e64 v63, s[8:9], v15, v99, s[8:9]
	global_load_dwordx2 v[62:63], v[62:63], off
	v_pk_add_f32 v[116:117], v[0:1], v[2:3]
	v_pk_add_f32 v[0:1], v[100:101], 0 op_sel_hi:[1,0]
	v_pk_add_f32 v[0:1], v[0:1], v[102:103]
	v_pk_add_f32 v[0:1], v[0:1], v[104:105]
	;; [unrolled: 1-line block ×3, first 2 shown]
	ds_read_b64 v[2:3], v77
	ds_read_b64 v[0:1], v81 offset:384
	v_pk_add_f32 v[4:5], v[108:109], 0 op_sel_hi:[1,0]
	v_pk_add_f32 v[4:5], v[4:5], v[110:111]
	v_pk_add_f32 v[4:5], v[4:5], v[112:113]
	;; [unrolled: 1-line block ×3, first 2 shown]
	s_waitcnt vmcnt(3) lgkmcnt(1)
	v_mul_f32_e32 v5, v71, v2
	v_mul_f32_e32 v4, v71, v3
	s_waitcnt vmcnt(2)
	v_mul_f32_e32 v6, v69, v2
	v_mul_f32_e32 v100, v69, v3
	v_fma_f32 v5, v70, v3, -v5
	v_fmac_f32_e32 v4, v70, v2
	s_waitcnt vmcnt(1)
	v_mul_f32_e32 v7, v61, v2
	v_mul_f32_e32 v102, v61, v3
	v_fma_f32 v101, v68, v3, -v6
	v_fmac_f32_e32 v100, v68, v2
	ds_write_b64 v82, v[4:5]
	s_waitcnt vmcnt(0)
	v_mul_f32_e32 v12, v63, v2
	v_mul_f32_e32 v104, v63, v3
	v_fma_f32 v103, v60, v3, -v7
	v_fmac_f32_e32 v102, v60, v2
	ds_read_b64 v[6:7], v81 offset:392
	ds_write_b64 v82, v[100:101] offset:536
	v_fma_f32 v105, v62, v3, -v12
	v_fmac_f32_e32 v104, v62, v2
	ds_read_b64 v[4:5], v81 offset:400
	ds_write_b64 v82, v[102:103] offset:1072
	ds_read_b64 v[2:3], v81 offset:408
	ds_write_b64 v82, v[104:105] offset:1608
	s_waitcnt lgkmcnt(0)
	s_barrier
	ds_read2_b64 v[100:103], v80 offset1:1
	ds_read2_b64 v[104:107], v80 offset0:2 offset1:3
	s_waitcnt lgkmcnt(0)
	s_barrier
	v_pk_add_f32 v[100:101], v[100:101], 0 op_sel_hi:[1,0]
	v_pk_add_f32 v[100:101], v[100:101], v[102:103]
	v_pk_add_f32 v[100:101], v[100:101], v[104:105]
	;; [unrolled: 1-line block ×3, first 2 shown]
	ds_write2_b64 v83, v[116:117], v[118:119] offset1:16
	ds_write2_b64 v83, v[108:109], v[100:101] offset0:32 offset1:48
	s_waitcnt lgkmcnt(0)
	s_barrier
	s_and_saveexec_b64 s[18:19], s[4:5]
	s_cbranch_execz .LBB12_122
; %bb.126:                              ;   in Loop: Header=BB12_123 Depth=1
	ds_read_b64 v[108:109], v78
	ds_read2_b64 v[100:103], v78 offset0:1 offset1:2
	ds_read2_b64 v[104:107], v78 offset0:3 offset1:4
	s_waitcnt lgkmcnt(1)
	v_add_f32_e32 v12, v100, v108
	v_add_f32_e32 v100, v101, v109
	;; [unrolled: 1-line block ×4, first 2 shown]
	ds_read2_b64 v[100:103], v78 offset0:5 offset1:6
	s_waitcnt lgkmcnt(1)
	v_add_f32_e32 v12, v12, v104
	v_add_f32_e32 v104, v108, v105
	;; [unrolled: 1-line block ×4, first 2 shown]
	v_add_u32_e32 v12, s35, v84
	ds_read2_b64 v[104:107], v78 offset0:7 offset1:8
	v_lshlrev_b64 v[110:111], 3, v[12:13]
	v_mov_b32_e32 v12, s20
	v_add_co_u32_e64 v112, s[8:9], s7, v110
	v_addc_co_u32_e64 v113, s[8:9], v12, v111, s[8:9]
	s_waitcnt lgkmcnt(1)
	v_pk_add_f32 v[100:101], v[108:109], v[100:101]
	ds_read2_b64 v[108:111], v78 offset0:9 offset1:10
	v_pk_add_f32 v[100:101], v[100:101], v[102:103]
	s_waitcnt lgkmcnt(1)
	v_pk_add_f32 v[100:101], v[100:101], v[104:105]
	v_pk_add_f32 v[104:105], v[100:101], v[106:107]
	ds_read2_b64 v[100:103], v78 offset0:11 offset1:12
	s_waitcnt lgkmcnt(1)
	v_pk_add_f32 v[108:109], v[104:105], v[108:109]
	ds_read2_b64 v[104:107], v78 offset0:13 offset1:14
	v_pk_add_f32 v[108:109], v[108:109], v[110:111]
	ds_read_b64 v[110:111], v79
	s_waitcnt lgkmcnt(2)
	v_pk_add_f32 v[100:101], v[108:109], v[100:101]
	v_pk_add_f32 v[100:101], v[100:101], v[102:103]
	s_waitcnt lgkmcnt(1)
	v_pk_add_f32 v[100:101], v[100:101], v[104:105]
	v_pk_add_f32 v[100:101], v[100:101], v[106:107]
	s_waitcnt lgkmcnt(0)
	v_pk_add_f32 v[100:101], v[100:101], v[110:111]
	global_store_dwordx2 v[112:113], v[100:101], off
	s_branch .LBB12_122
.LBB12_127:
	s_movk_i32 s2, 0x218
	s_or_b64 s[0:1], s[0:1], vcc
	v_mad_u32_u24 v0, v72, s2, v73
	s_xor_b64 s[0:1], s[0:1], -1
	ds_write_b64 v0, v[18:19]
	s_waitcnt lgkmcnt(0)
	s_barrier
	s_and_saveexec_b64 s[2:3], s[0:1]
	s_cbranch_execz .LBB12_129
; %bb.128:
	ds_read2_b64 v[0:3], v73 offset1:67
	ds_read2_b64 v[4:7], v73 offset0:134 offset1:201
	v_lshlrev_b64 v[8:9], 3, v[16:17]
	v_mov_b32_e32 v10, s20
	v_add_co_u32_e32 v8, vcc, s7, v8
	s_waitcnt lgkmcnt(1)
	v_pk_add_f32 v[0:1], v[2:3], v[0:1]
	s_waitcnt lgkmcnt(0)
	v_pk_add_f32 v[0:1], v[0:1], v[4:5]
	v_addc_co_u32_e32 v9, vcc, v10, v9, vcc
	v_pk_add_f32 v[0:1], v[0:1], v[6:7]
	global_store_dwordx2 v[8:9], v[0:1], off
.LBB12_129:
	s_endpgm
	.section	.rodata,"a",@progbits
	.p2align	6, 0x0
	.amdhsa_kernel _ZL26rocblas_hemvn_kernel_lowerILb1ELi64ELi4ELi33ELi32ELi16El19rocblas_complex_numIfEPKS1_PS1_EviT6_lT7_lT5_lS6_lS7_lS5_lT8_i
		.amdhsa_group_segment_fixed_size 9600
		.amdhsa_private_segment_fixed_size 0
		.amdhsa_kernarg_size 376
		.amdhsa_user_sgpr_count 6
		.amdhsa_user_sgpr_private_segment_buffer 1
		.amdhsa_user_sgpr_dispatch_ptr 0
		.amdhsa_user_sgpr_queue_ptr 0
		.amdhsa_user_sgpr_kernarg_segment_ptr 1
		.amdhsa_user_sgpr_dispatch_id 0
		.amdhsa_user_sgpr_flat_scratch_init 0
		.amdhsa_user_sgpr_kernarg_preload_length 0
		.amdhsa_user_sgpr_kernarg_preload_offset 0
		.amdhsa_user_sgpr_private_segment_size 0
		.amdhsa_uses_dynamic_stack 0
		.amdhsa_system_sgpr_private_segment_wavefront_offset 0
		.amdhsa_system_sgpr_workgroup_id_x 1
		.amdhsa_system_sgpr_workgroup_id_y 0
		.amdhsa_system_sgpr_workgroup_id_z 1
		.amdhsa_system_sgpr_workgroup_info 0
		.amdhsa_system_vgpr_workitem_id 1
		.amdhsa_next_free_vgpr 120
		.amdhsa_next_free_sgpr 53
		.amdhsa_accum_offset 120
		.amdhsa_reserve_vcc 1
		.amdhsa_reserve_flat_scratch 0
		.amdhsa_float_round_mode_32 0
		.amdhsa_float_round_mode_16_64 0
		.amdhsa_float_denorm_mode_32 3
		.amdhsa_float_denorm_mode_16_64 3
		.amdhsa_dx10_clamp 1
		.amdhsa_ieee_mode 1
		.amdhsa_fp16_overflow 0
		.amdhsa_tg_split 0
		.amdhsa_exception_fp_ieee_invalid_op 0
		.amdhsa_exception_fp_denorm_src 0
		.amdhsa_exception_fp_ieee_div_zero 0
		.amdhsa_exception_fp_ieee_overflow 0
		.amdhsa_exception_fp_ieee_underflow 0
		.amdhsa_exception_fp_ieee_inexact 0
		.amdhsa_exception_int_div_zero 0
	.end_amdhsa_kernel
	.section	.text._ZL26rocblas_hemvn_kernel_lowerILb1ELi64ELi4ELi33ELi32ELi16El19rocblas_complex_numIfEPKS1_PS1_EviT6_lT7_lT5_lS6_lS7_lS5_lT8_i,"axG",@progbits,_ZL26rocblas_hemvn_kernel_lowerILb1ELi64ELi4ELi33ELi32ELi16El19rocblas_complex_numIfEPKS1_PS1_EviT6_lT7_lT5_lS6_lS7_lS5_lT8_i,comdat
.Lfunc_end12:
	.size	_ZL26rocblas_hemvn_kernel_lowerILb1ELi64ELi4ELi33ELi32ELi16El19rocblas_complex_numIfEPKS1_PS1_EviT6_lT7_lT5_lS6_lS7_lS5_lT8_i, .Lfunc_end12-_ZL26rocblas_hemvn_kernel_lowerILb1ELi64ELi4ELi33ELi32ELi16El19rocblas_complex_numIfEPKS1_PS1_EviT6_lT7_lT5_lS6_lS7_lS5_lT8_i
                                        ; -- End function
	.section	.AMDGPU.csdata,"",@progbits
; Kernel info:
; codeLenInByte = 8312
; NumSgprs: 57
; NumVgprs: 120
; NumAgprs: 0
; TotalNumVgprs: 120
; ScratchSize: 0
; MemoryBound: 1
; FloatMode: 240
; IeeeMode: 1
; LDSByteSize: 9600 bytes/workgroup (compile time only)
; SGPRBlocks: 7
; VGPRBlocks: 14
; NumSGPRsForWavesPerEU: 57
; NumVGPRsForWavesPerEU: 120
; AccumOffset: 120
; Occupancy: 4
; WaveLimiterHint : 0
; COMPUTE_PGM_RSRC2:SCRATCH_EN: 0
; COMPUTE_PGM_RSRC2:USER_SGPR: 6
; COMPUTE_PGM_RSRC2:TRAP_HANDLER: 0
; COMPUTE_PGM_RSRC2:TGID_X_EN: 1
; COMPUTE_PGM_RSRC2:TGID_Y_EN: 0
; COMPUTE_PGM_RSRC2:TGID_Z_EN: 1
; COMPUTE_PGM_RSRC2:TIDIG_COMP_CNT: 1
; COMPUTE_PGM_RSRC3_GFX90A:ACCUM_OFFSET: 29
; COMPUTE_PGM_RSRC3_GFX90A:TG_SPLIT: 0
	.section	.text._ZL36rocblas_hemvn_kernel_lower_block_sumILi64El19rocblas_complex_numIfEPS1_S1_EviT1_lS3_lT2_lT0_lPT3_i,"axG",@progbits,_ZL36rocblas_hemvn_kernel_lower_block_sumILi64El19rocblas_complex_numIfEPS1_S1_EviT1_lS3_lT2_lT0_lPT3_i,comdat
	.globl	_ZL36rocblas_hemvn_kernel_lower_block_sumILi64El19rocblas_complex_numIfEPS1_S1_EviT1_lS3_lT2_lT0_lPT3_i ; -- Begin function _ZL36rocblas_hemvn_kernel_lower_block_sumILi64El19rocblas_complex_numIfEPS1_S1_EviT1_lS3_lT2_lT0_lPT3_i
	.p2align	8
	.type	_ZL36rocblas_hemvn_kernel_lower_block_sumILi64El19rocblas_complex_numIfEPS1_S1_EviT1_lS3_lT2_lT0_lPT3_i,@function
_ZL36rocblas_hemvn_kernel_lower_block_sumILi64El19rocblas_complex_numIfEPS1_S1_EviT1_lS3_lT2_lT0_lPT3_i: ; @_ZL36rocblas_hemvn_kernel_lower_block_sumILi64El19rocblas_complex_numIfEPS1_S1_EviT1_lS3_lT2_lT0_lPT3_i
; %bb.0:
	s_load_dwordx4 s[8:11], s[4:5], 0x0
	s_load_dwordx2 s[12:13], s[4:5], 0x18
	s_waitcnt lgkmcnt(0)
	s_or_b32 s0, s9, s10
	s_bitset0_b32 s0, 31
	s_cmp_eq_u32 s0, 0
	v_cmp_eq_f32_e64 s[0:1], s12, 1.0
	v_cmp_eq_f32_e64 s[2:3], s13, 0
	s_mov_b32 s15, s10
	s_cselect_b64 s[10:11], -1, 0
	s_and_b64 s[0:1], s[0:1], s[2:3]
	s_and_b64 s[0:1], s[10:11], s[0:1]
	s_and_b64 vcc, exec, s[0:1]
	s_cbranch_vccnz .LBB13_17
; %bb.1:
	s_load_dwordx2 s[16:17], s[4:5], 0x40
	s_load_dwordx2 s[18:19], s[4:5], 0x28
	s_load_dwordx4 s[0:3], s[4:5], 0x30
	s_mov_b32 s14, s9
	v_lshl_or_b32 v8, s6, 6, v0
	s_waitcnt lgkmcnt(0)
	s_mul_i32 s9, s7, s17
	s_mul_hi_u32 s17, s7, s16
	s_mul_i32 s16, s7, s16
	s_add_i32 s17, s17, s9
	s_lshl_b64 s[16:17], s[16:17], 3
	s_add_u32 s9, s18, s16
	s_addc_u32 s16, s19, s17
	s_lshl_b64 s[0:1], s[0:1], 3
	s_add_u32 s18, s9, s0
	s_addc_u32 s19, s16, s1
	s_mov_b64 s[16:17], -1
	s_andn2_b64 vcc, exec, s[10:11]
	v_cmp_gt_i32_e64 s[0:1], s8, v8
	s_cbranch_vccnz .LBB13_7
; %bb.2:
	s_and_saveexec_b64 s[10:11], s[0:1]
	s_cbranch_execz .LBB13_6
; %bb.3:
	v_ashrrev_i32_e32 v0, 31, v8
	v_cmp_neq_f32_e64 s[0:1], s12, 0
	v_cmp_neq_f32_e64 s[16:17], s13, 0
	v_mul_lo_u32 v2, v8, s3
	v_mul_lo_u32 v3, v0, s2
	v_mad_u64_u32 v[0:1], s[20:21], v8, s2, 0
	v_add3_u32 v1, v1, v2, v3
	s_or_b64 s[0:1], s[0:1], s[16:17]
	s_andn2_b64 vcc, exec, s[0:1]
	v_mov_b32_e32 v2, 0
	v_lshlrev_b64 v[0:1], 3, v[0:1]
	v_mov_b32_e32 v3, 0
	s_cbranch_vccnz .LBB13_5
; %bb.4:
	v_mov_b32_e32 v3, s19
	v_add_co_u32_e32 v2, vcc, s18, v0
	v_addc_co_u32_e32 v3, vcc, v3, v1, vcc
	global_load_dwordx2 v[4:5], v[2:3], off
	s_waitcnt vmcnt(0)
	v_pk_mul_f32 v[6:7], v[4:5], s[12:13] op_sel:[1,0]
	v_pk_fma_f32 v[2:3], v[4:5], s[12:13], v[6:7] op_sel:[0,0,1] op_sel_hi:[1,1,0] neg_lo:[0,0,1] neg_hi:[0,0,1]
	v_pk_fma_f32 v[4:5], v[4:5], s[12:13], v[6:7] op_sel:[0,0,1] op_sel_hi:[0,1,0]
	v_mov_b32_e32 v3, v5
.LBB13_5:
	v_mov_b32_e32 v4, s19
	v_add_co_u32_e32 v0, vcc, s18, v0
	v_addc_co_u32_e32 v1, vcc, v4, v1, vcc
	global_store_dwordx2 v[0:1], v[2:3], off
.LBB13_6:
	s_or_b64 exec, exec, s[10:11]
	s_mov_b64 s[16:17], 0
.LBB13_7:
	s_andn2_b64 vcc, exec, s[16:17]
	s_cbranch_vccnz .LBB13_17
; %bb.8:
	v_cmp_gt_i32_e32 vcc, s8, v8
	s_and_saveexec_b64 s[0:1], vcc
	s_cbranch_execz .LBB13_17
; %bb.9:
	s_load_dword s10, s[4:5], 0x58
	v_mov_b32_e32 v1, 0
	v_mov_b32_e32 v0, v1
	s_waitcnt lgkmcnt(0)
	s_cmp_ge_i32 s6, s10
	s_cbranch_scc1 .LBB13_12
; %bb.10:
	s_load_dwordx2 s[0:1], s[4:5], 0x48
	s_ashr_i32 s9, s8, 31
	s_mul_i32 s4, s6, s8
	v_add_u32_e32 v0, s4, v8
	s_mul_hi_u32 s4, s8, s7
	s_mul_i32 s5, s9, s7
	s_add_i32 s4, s4, s5
	s_mul_i32 s7, s8, s7
	s_mul_i32 s4, s4, s10
	s_mul_hi_u32 s5, s7, s10
	s_add_i32 s5, s5, s4
	s_mul_i32 s4, s7, s10
	s_lshl_b64 s[4:5], s[4:5], 3
	v_ashrrev_i32_e32 v1, 31, v0
	s_waitcnt lgkmcnt(0)
	s_add_u32 s0, s0, s4
	v_lshlrev_b64 v[0:1], 3, v[0:1]
	s_addc_u32 s1, s1, s5
	v_mov_b32_e32 v3, s1
	v_add_co_u32_e32 v2, vcc, s0, v0
	s_lshl_b64 s[0:1], s[8:9], 3
	v_mov_b32_e32 v0, 0
	v_addc_co_u32_e32 v3, vcc, v3, v1, vcc
	v_mov_b32_e32 v4, s1
	v_mov_b32_e32 v1, v0
.LBB13_11:                              ; =>This Inner Loop Header: Depth=1
	global_load_dwordx2 v[6:7], v[2:3], off
	s_add_i32 s6, s6, 1
	v_add_co_u32_e32 v2, vcc, s0, v2
	v_addc_co_u32_e32 v3, vcc, v3, v4, vcc
	s_cmp_ge_i32 s6, s10
	s_waitcnt vmcnt(0)
	v_pk_add_f32 v[0:1], v[0:1], v[6:7]
	s_cbranch_scc0 .LBB13_11
.LBB13_12:
	v_cmp_neq_f32_e64 s[0:1], s12, 0
	v_cmp_neq_f32_e64 s[4:5], s13, 0
	s_or_b64 s[0:1], s[0:1], s[4:5]
	v_pk_mul_f32 v[6:7], v[0:1], s[14:15] op_sel:[1,0]
	v_ashrrev_i32_e32 v4, 31, v8
	s_andn2_b64 vcc, exec, s[0:1]
	v_pk_fma_f32 v[2:3], v[0:1], s[14:15], v[6:7] op_sel:[0,0,1] op_sel_hi:[0,1,0]
	v_mul_lo_u32 v9, v8, s3
	v_mul_lo_u32 v10, v4, s2
	s_cbranch_vccz .LBB13_14
; %bb.13:
	v_pk_mul_f32 v[12:13], v[0:1], s[14:15] op_sel_hi:[0,1]
	v_mad_u64_u32 v[4:5], s[0:1], v8, s2, 0
	v_add3_u32 v5, v5, v9, v10
	v_sub_f32_e32 v2, v12, v7
	s_cbranch_execz .LBB13_15
	s_branch .LBB13_16
.LBB13_14:
                                        ; implicit-def: $vgpr4_vgpr5
.LBB13_15:
	v_mad_u64_u32 v[4:5], s[0:1], v8, s2, 0
	v_add3_u32 v5, v5, v9, v10
	v_lshlrev_b64 v[8:9], 3, v[4:5]
	v_mov_b32_e32 v2, s19
	v_add_co_u32_e32 v8, vcc, s18, v8
	v_addc_co_u32_e32 v9, vcc, v2, v9, vcc
	global_load_dwordx2 v[8:9], v[8:9], off
	v_pk_fma_f32 v[0:1], v[0:1], s[14:15], v[6:7] op_sel:[0,0,1] op_sel_hi:[1,1,0] neg_lo:[0,0,1] neg_hi:[0,0,1]
	v_mov_b32_e32 v1, v3
	s_waitcnt vmcnt(0)
	v_pk_mul_f32 v[6:7], v[8:9], s[12:13] op_sel:[1,0]
	v_pk_fma_f32 v[10:11], v[8:9], s[12:13], v[6:7] op_sel:[0,0,1] op_sel_hi:[1,1,0] neg_lo:[0,0,1] neg_hi:[0,0,1]
	v_pk_fma_f32 v[6:7], v[8:9], s[12:13], v[6:7] op_sel:[0,0,1] op_sel_hi:[0,1,0]
	v_mov_b32_e32 v11, v7
	v_pk_add_f32 v[2:3], v[0:1], v[10:11]
.LBB13_16:
	v_lshlrev_b64 v[0:1], 3, v[4:5]
	v_mov_b32_e32 v4, s19
	v_add_co_u32_e32 v0, vcc, s18, v0
	v_addc_co_u32_e32 v1, vcc, v4, v1, vcc
	global_store_dwordx2 v[0:1], v[2:3], off
.LBB13_17:
	s_endpgm
	.section	.rodata,"a",@progbits
	.p2align	6, 0x0
	.amdhsa_kernel _ZL36rocblas_hemvn_kernel_lower_block_sumILi64El19rocblas_complex_numIfEPS1_S1_EviT1_lS3_lT2_lT0_lPT3_i
		.amdhsa_group_segment_fixed_size 0
		.amdhsa_private_segment_fixed_size 0
		.amdhsa_kernarg_size 344
		.amdhsa_user_sgpr_count 6
		.amdhsa_user_sgpr_private_segment_buffer 1
		.amdhsa_user_sgpr_dispatch_ptr 0
		.amdhsa_user_sgpr_queue_ptr 0
		.amdhsa_user_sgpr_kernarg_segment_ptr 1
		.amdhsa_user_sgpr_dispatch_id 0
		.amdhsa_user_sgpr_flat_scratch_init 0
		.amdhsa_user_sgpr_kernarg_preload_length 0
		.amdhsa_user_sgpr_kernarg_preload_offset 0
		.amdhsa_user_sgpr_private_segment_size 0
		.amdhsa_uses_dynamic_stack 0
		.amdhsa_system_sgpr_private_segment_wavefront_offset 0
		.amdhsa_system_sgpr_workgroup_id_x 1
		.amdhsa_system_sgpr_workgroup_id_y 0
		.amdhsa_system_sgpr_workgroup_id_z 1
		.amdhsa_system_sgpr_workgroup_info 0
		.amdhsa_system_vgpr_workitem_id 0
		.amdhsa_next_free_vgpr 14
		.amdhsa_next_free_sgpr 22
		.amdhsa_accum_offset 16
		.amdhsa_reserve_vcc 1
		.amdhsa_reserve_flat_scratch 0
		.amdhsa_float_round_mode_32 0
		.amdhsa_float_round_mode_16_64 0
		.amdhsa_float_denorm_mode_32 3
		.amdhsa_float_denorm_mode_16_64 3
		.amdhsa_dx10_clamp 1
		.amdhsa_ieee_mode 1
		.amdhsa_fp16_overflow 0
		.amdhsa_tg_split 0
		.amdhsa_exception_fp_ieee_invalid_op 0
		.amdhsa_exception_fp_denorm_src 0
		.amdhsa_exception_fp_ieee_div_zero 0
		.amdhsa_exception_fp_ieee_overflow 0
		.amdhsa_exception_fp_ieee_underflow 0
		.amdhsa_exception_fp_ieee_inexact 0
		.amdhsa_exception_int_div_zero 0
	.end_amdhsa_kernel
	.section	.text._ZL36rocblas_hemvn_kernel_lower_block_sumILi64El19rocblas_complex_numIfEPS1_S1_EviT1_lS3_lT2_lT0_lPT3_i,"axG",@progbits,_ZL36rocblas_hemvn_kernel_lower_block_sumILi64El19rocblas_complex_numIfEPS1_S1_EviT1_lS3_lT2_lT0_lPT3_i,comdat
.Lfunc_end13:
	.size	_ZL36rocblas_hemvn_kernel_lower_block_sumILi64El19rocblas_complex_numIfEPS1_S1_EviT1_lS3_lT2_lT0_lPT3_i, .Lfunc_end13-_ZL36rocblas_hemvn_kernel_lower_block_sumILi64El19rocblas_complex_numIfEPS1_S1_EviT1_lS3_lT2_lT0_lPT3_i
                                        ; -- End function
	.section	.AMDGPU.csdata,"",@progbits
; Kernel info:
; codeLenInByte = 764
; NumSgprs: 26
; NumVgprs: 14
; NumAgprs: 0
; TotalNumVgprs: 14
; ScratchSize: 0
; MemoryBound: 0
; FloatMode: 240
; IeeeMode: 1
; LDSByteSize: 0 bytes/workgroup (compile time only)
; SGPRBlocks: 3
; VGPRBlocks: 1
; NumSGPRsForWavesPerEU: 26
; NumVGPRsForWavesPerEU: 14
; AccumOffset: 16
; Occupancy: 8
; WaveLimiterHint : 0
; COMPUTE_PGM_RSRC2:SCRATCH_EN: 0
; COMPUTE_PGM_RSRC2:USER_SGPR: 6
; COMPUTE_PGM_RSRC2:TRAP_HANDLER: 0
; COMPUTE_PGM_RSRC2:TGID_X_EN: 1
; COMPUTE_PGM_RSRC2:TGID_Y_EN: 0
; COMPUTE_PGM_RSRC2:TGID_Z_EN: 1
; COMPUTE_PGM_RSRC2:TIDIG_COMP_CNT: 0
; COMPUTE_PGM_RSRC3_GFX90A:ACCUM_OFFSET: 3
; COMPUTE_PGM_RSRC3_GFX90A:TG_SPLIT: 0
	.section	.text._ZL26rocblas_hemvn_kernel_lowerILb1ELi64ELi4ELi33ELi32ELi16Ei19rocblas_complex_numIfEPKS1_PS1_EviT6_lT7_lT5_lS6_lS7_lS5_lT8_i,"axG",@progbits,_ZL26rocblas_hemvn_kernel_lowerILb1ELi64ELi4ELi33ELi32ELi16Ei19rocblas_complex_numIfEPKS1_PS1_EviT6_lT7_lT5_lS6_lS7_lS5_lT8_i,comdat
	.globl	_ZL26rocblas_hemvn_kernel_lowerILb1ELi64ELi4ELi33ELi32ELi16Ei19rocblas_complex_numIfEPKS1_PS1_EviT6_lT7_lT5_lS6_lS7_lS5_lT8_i ; -- Begin function _ZL26rocblas_hemvn_kernel_lowerILb1ELi64ELi4ELi33ELi32ELi16Ei19rocblas_complex_numIfEPKS1_PS1_EviT6_lT7_lT5_lS6_lS7_lS5_lT8_i
	.p2align	8
	.type	_ZL26rocblas_hemvn_kernel_lowerILb1ELi64ELi4ELi33ELi32ELi16Ei19rocblas_complex_numIfEPKS1_PS1_EviT6_lT7_lT5_lS6_lS7_lS5_lT8_i,@function
_ZL26rocblas_hemvn_kernel_lowerILb1ELi64ELi4ELi33ELi32ELi16Ei19rocblas_complex_numIfEPKS1_PS1_EviT6_lT7_lT5_lS6_lS7_lS5_lT8_i: ; @_ZL26rocblas_hemvn_kernel_lowerILb1ELi64ELi4ELi33ELi32ELi16Ei19rocblas_complex_numIfEPKS1_PS1_EviT6_lT7_lT5_lS6_lS7_lS5_lT8_i
; %bb.0:
	s_load_dwordx2 s[2:3], s[4:5], 0x84
	s_add_u32 s0, s4, 0x78
	s_addc_u32 s1, s5, 0
	s_waitcnt lgkmcnt(0)
	s_lshr_b32 s8, s2, 16
	s_and_b32 s2, s2, 0xffff
	s_and_b32 s3, s3, 0xffff
	s_mul_i32 s2, s8, s2
	s_mul_i32 s2, s2, s3
	s_cmpk_lg_i32 s2, 0x100
	s_cbranch_scc1 .LBB14_129
; %bb.1:
	s_load_dwordx2 s[2:3], s[4:5], 0x4
	s_mov_b64 s[8:9], -1
	s_waitcnt lgkmcnt(0)
	s_or_b32 s2, s2, s3
	s_bitset0_b32 s2, 31
	s_cmp_lg_u32 s2, 0
	s_cselect_b64 s[2:3], -1, 0
	s_and_b64 vcc, exec, s[2:3]
	s_cbranch_vccnz .LBB14_3
; %bb.2:
	s_load_dwordx2 s[8:9], s[4:5], 0x58
	s_waitcnt lgkmcnt(0)
	v_cmp_neq_f32_e64 s[10:11], s8, 1.0
	v_cmp_neq_f32_e64 s[8:9], s9, 0
	s_or_b64 s[8:9], s[10:11], s[8:9]
.LBB14_3:
	s_andn2_b64 vcc, exec, s[8:9]
	s_cbranch_vccnz .LBB14_129
; %bb.4:
	s_andn2_b64 vcc, exec, s[2:3]
	s_cbranch_vccnz .LBB14_129
; %bb.5:
	s_load_dwordx2 s[2:3], s[4:5], 0x50
	s_load_dwordx2 s[12:13], s[4:5], 0x40
	s_load_dword s33, s[4:5], 0x48
	s_load_dword s41, s[0:1], 0x0
	;; [unrolled: 1-line block ×3, first 2 shown]
	s_load_dwordx4 s[8:11], s[4:5], 0x30
	s_waitcnt lgkmcnt(0)
	s_mul_i32 s0, s7, s3
	s_mul_hi_u32 s1, s7, s2
	s_add_i32 s1, s1, s0
	s_mul_i32 s0, s7, s2
	s_lshl_b64 s[0:1], s[0:1], 3
	s_add_u32 s2, s10, s0
	s_addc_u32 s3, s11, s1
	s_lshl_b64 s[0:1], s[12:13], 3
	s_add_u32 s0, s2, s0
	s_addc_u32 s1, s3, s1
	v_and_b32_e32 v26, 0x3ff, v0
	s_lshl_b32 s26, s6, 6
	s_ashr_i32 s42, s40, 31
	s_lshr_b32 s3, s42, 26
	v_add_u32_e32 v16, s26, v26
	v_bfe_u32 v17, v0, 10, 10
	s_add_i32 s3, s40, s3
	v_mul_lo_u32 v0, v16, s33
	s_andn2_b32 s3, s3, 63
	v_ashrrev_i32_e32 v1, 31, v0
	s_add_i32 s2, s41, -1
	s_sub_i32 s3, s40, s3
	v_lshlrev_b64 v[0:1], 3, v[0:1]
	s_cmp_eq_u32 s6, s2
	v_mov_b32_e32 v2, s1
	v_add_co_u32_e32 v20, vcc, s0, v0
	s_cselect_b32 s24, s3, 0
	v_addc_co_u32_e32 v21, vcc, v2, v1, vcc
	v_cmp_ne_u32_e64 s[0:1], 0, v17
	v_cmp_eq_u32_e64 s[2:3], 0, v17
	s_and_saveexec_b64 s[10:11], s[2:3]
	s_cbranch_execz .LBB14_10
; %bb.6:
	s_cmp_lg_u32 s24, 0
	s_cselect_b64 s[12:13], -1, 0
	v_cmp_le_i32_e32 vcc, s24, v26
	v_mov_b32_e32 v0, 0x2380
	s_and_b64 s[12:13], s[12:13], vcc
	v_lshl_add_u32 v0, v26, 3, v0
	s_and_saveexec_b64 s[14:15], s[12:13]
	s_xor_b64 s[12:13], exec, s[14:15]
	s_cbranch_execz .LBB14_8
; %bb.7:
	v_mov_b32_e32 v2, 0
	v_mov_b32_e32 v3, v2
	ds_write_b64 v0, v[2:3]
                                        ; implicit-def: $vgpr0
.LBB14_8:
	s_andn2_saveexec_b64 s[12:13], s[12:13]
	s_cbranch_execz .LBB14_10
; %bb.9:
	global_load_dwordx2 v[2:3], v[20:21], off
	s_waitcnt vmcnt(0)
	ds_write_b64 v0, v[2:3]
.LBB14_10:
	s_or_b64 exec, exec, s[10:11]
	s_load_dwordx4 s[12:15], s[4:5], 0x18
	s_load_dword s22, s[4:5], 0x28
	s_mul_i32 s9, s7, s9
	s_mul_hi_u32 s10, s7, s8
	s_add_i32 s9, s10, s9
	s_mul_i32 s8, s7, s8
	s_lshl_b64 s[8:9], s[8:9], 3
	s_waitcnt lgkmcnt(0)
	s_add_u32 s10, s12, s8
	s_addc_u32 s11, s13, s9
	s_lshl_b64 s[8:9], s[14:15], 3
	s_add_u32 s10, s10, s8
	s_addc_u32 s11, s11, s9
	s_ashr_i32 s27, s26, 31
	v_lshl_add_u32 v27, v17, 6, v26
	s_lshl_b64 s[8:9], s[26:27], 3
	v_and_b32_e32 v0, 31, v26
	v_lshrrev_b32_e32 v8, 5, v27
	s_add_u32 s10, s10, s8
	s_addc_u32 s11, s11, s9
	v_mad_u64_u32 v[2:3], s[8:9], v8, s22, v[0:1]
	s_mul_i32 s8, s26, s22
	s_ashr_i32 s9, s8, 31
	s_lshl_b64 s[28:29], s[8:9], 3
	v_ashrrev_i32_e32 v3, 31, v2
	s_add_u32 s8, s28, s10
	v_lshlrev_b64 v[22:23], 3, v[2:3]
	s_addc_u32 s9, s29, s11
	v_mov_b32_e32 v1, s9
	v_add_co_u32_e32 v2, vcc, s8, v22
	s_cmp_lg_u32 s24, 0
	v_addc_co_u32_e32 v3, vcc, v1, v23, vcc
	s_cselect_b64 s[30:31], -1, 0
	s_cmp_eq_u32 s24, 0
	s_cselect_b64 s[34:35], -1, 0
	s_and_b64 vcc, exec, s[30:31]
	s_cbranch_vccnz .LBB14_12
; %bb.11:
	s_lshl_b32 s8, s22, 3
	s_ashr_i32 s9, s8, 31
	s_lshl_b64 s[8:9], s[8:9], 3
	v_mov_b32_e32 v1, s9
	v_add_co_u32_e32 v6, vcc, s8, v2
	s_ashr_i32 s23, s22, 31
	v_addc_co_u32_e32 v7, vcc, v3, v1, vcc
	s_lshl_b64 s[8:9], s[22:23], 6
	global_load_dwordx2 v[4:5], v[2:3], off
	global_load_dwordx2 v[10:11], v[6:7], off
	v_mov_b32_e32 v1, s9
	v_add_co_u32_e32 v6, vcc, s8, v6
	v_addc_co_u32_e32 v7, vcc, v7, v1, vcc
	global_load_dwordx2 v[12:13], v[6:7], off
	v_add_co_u32_e32 v6, vcc, s8, v6
	v_addc_co_u32_e32 v7, vcc, v7, v1, vcc
	global_load_dwordx2 v[6:7], v[6:7], off
	v_mul_u32_u24_e32 v1, 33, v8
	v_add_lshl_u32 v1, v1, v0, 3
	s_waitcnt vmcnt(3)
	ds_write_b64 v1, v[4:5]
	s_waitcnt vmcnt(2)
	ds_write_b64 v1, v[10:11] offset:2112
	s_waitcnt vmcnt(1)
	ds_write_b64 v1, v[12:13] offset:4224
	;; [unrolled: 2-line block ×3, first 2 shown]
	s_cbranch_execz .LBB14_13
	s_branch .LBB14_28
.LBB14_12:
.LBB14_13:
	v_lshlrev_b32_e32 v1, 3, v0
	v_sub_co_u32_e32 v4, vcc, v2, v1
	s_ashr_i32 s25, s24, 31
	v_subbrev_co_u32_e32 v5, vcc, 0, v3, vcc
	s_lshl_b64 s[10:11], s[24:25], 3
	v_mov_b32_e32 v6, s11
	v_add_co_u32_e32 v4, vcc, s10, v4
	v_addc_co_u32_e32 v5, vcc, v5, v6, vcc
	v_add_co_u32_e32 v4, vcc, -8, v4
	v_addc_co_u32_e32 v5, vcc, -1, v5, vcc
	v_cmp_gt_i32_e32 vcc, s24, v0
	v_mov_b32_e32 v6, 0
	v_cndmask_b32_e32 v5, v5, v3, vcc
	v_cndmask_b32_e32 v4, v4, v2, vcc
	v_cmp_gt_i32_e64 s[8:9], s24, v8
	v_mov_b32_e32 v7, v6
	s_and_saveexec_b64 s[12:13], s[8:9]
	s_cbranch_execz .LBB14_15
; %bb.14:
	global_load_dwordx2 v[6:7], v[4:5], off
.LBB14_15:
	s_or_b64 exec, exec, s[12:13]
	v_mul_u32_u24_e32 v9, 33, v8
	v_add_lshl_u32 v9, v9, v0, 3
	s_waitcnt vmcnt(0)
	ds_write_b64 v9, v[6:7]
	v_add_u32_e32 v6, 8, v8
	v_cmp_le_i32_e64 s[8:9], s24, v6
	s_and_saveexec_b64 s[12:13], s[8:9]
	s_xor_b64 s[8:9], exec, s[12:13]
	s_cbranch_execz .LBB14_17
; %bb.16:
	v_mul_u32_u24_e32 v6, 33, v6
	v_add_lshl_u32 v10, v6, v0, 3
	v_mov_b32_e32 v6, 0
	v_mov_b32_e32 v7, v6
	ds_write_b64 v10, v[6:7]
.LBB14_17:
	s_andn2_saveexec_b64 s[12:13], s[8:9]
	s_cbranch_execz .LBB14_19
; %bb.18:
	s_lshl_b32 s8, s22, 3
	s_ashr_i32 s9, s8, 31
	s_lshl_b64 s[8:9], s[8:9], 3
	v_mov_b32_e32 v7, s9
	v_add_co_u32_e64 v6, s[8:9], s8, v4
	v_addc_co_u32_e64 v7, s[8:9], v5, v7, s[8:9]
	global_load_dwordx2 v[6:7], v[6:7], off
	s_waitcnt vmcnt(0)
	ds_write_b64 v9, v[6:7] offset:2112
.LBB14_19:
	s_or_b64 exec, exec, s[12:13]
	v_add_u32_e32 v6, 16, v8
	v_cmp_le_i32_e64 s[8:9], s24, v6
	s_and_saveexec_b64 s[12:13], s[8:9]
	s_xor_b64 s[8:9], exec, s[12:13]
	s_cbranch_execz .LBB14_21
; %bb.20:
	v_mov_b32_e32 v6, 0
	v_mov_b32_e32 v7, v6
	ds_write_b64 v9, v[6:7] offset:4224
.LBB14_21:
	s_andn2_saveexec_b64 s[12:13], s[8:9]
	s_cbranch_execz .LBB14_23
; %bb.22:
	s_lshl_b32 s8, s22, 4
	s_ashr_i32 s9, s8, 31
	s_lshl_b64 s[8:9], s[8:9], 3
	v_mov_b32_e32 v7, s9
	v_add_co_u32_e64 v6, s[8:9], s8, v4
	v_addc_co_u32_e64 v7, s[8:9], v5, v7, s[8:9]
	global_load_dwordx2 v[6:7], v[6:7], off
	s_waitcnt vmcnt(0)
	ds_write_b64 v9, v[6:7] offset:4224
.LBB14_23:
	s_or_b64 exec, exec, s[12:13]
	v_add_u32_e32 v6, 24, v8
	v_cmp_le_i32_e64 s[8:9], s24, v6
	s_and_saveexec_b64 s[12:13], s[8:9]
	s_xor_b64 s[8:9], exec, s[12:13]
	s_cbranch_execz .LBB14_25
; %bb.24:
	v_mov_b32_e32 v6, 0
	v_mov_b32_e32 v7, v6
	ds_write_b64 v9, v[6:7] offset:6336
                                        ; implicit-def: $vgpr9
.LBB14_25:
	s_andn2_saveexec_b64 s[12:13], s[8:9]
	s_cbranch_execz .LBB14_27
; %bb.26:
	s_mul_i32 s8, s22, 24
	s_ashr_i32 s9, s8, 31
	s_lshl_b64 s[8:9], s[8:9], 3
	v_mov_b32_e32 v7, s9
	v_add_co_u32_e64 v6, s[8:9], s8, v4
	v_addc_co_u32_e64 v7, s[8:9], v5, v7, s[8:9]
	global_load_dwordx2 v[6:7], v[6:7], off
	s_waitcnt vmcnt(0)
	ds_write_b64 v9, v[6:7] offset:6336
.LBB14_27:
	s_or_b64 exec, exec, s[12:13]
	v_add_co_u32_e64 v1, s[8:9], v4, v1
	v_addc_co_u32_e64 v4, s[8:9], 0, v5, s[8:9]
	v_mov_b32_e32 v5, s11
	v_subrev_co_u32_e64 v1, s[8:9], s10, v1
	v_subb_co_u32_e64 v4, s[8:9], v4, v5, s[8:9]
	v_add_co_u32_e64 v1, s[8:9], 8, v1
	v_addc_co_u32_e64 v4, s[8:9], 0, v4, s[8:9]
	v_cndmask_b32_e32 v3, v4, v3, vcc
	v_cndmask_b32_e32 v2, v1, v2, vcc
.LBB14_28:
	v_lshlrev_b32_e32 v9, 2, v8
	v_cmp_ge_u32_e64 s[8:9], v9, v0
	s_waitcnt lgkmcnt(0)
	s_barrier
	s_and_saveexec_b64 s[10:11], s[8:9]
	s_xor_b64 s[10:11], exec, s[10:11]
	s_cbranch_execz .LBB14_32
; %bb.29:
	v_cmp_eq_u32_e32 vcc, v9, v0
	s_and_saveexec_b64 s[12:13], vcc
	s_cbranch_execz .LBB14_31
; %bb.30:
	v_mul_u32_u24_e32 v1, 34, v0
	v_lshlrev_b32_e32 v1, 3, v1
	v_mov_b32_e32 v4, 0
	ds_write_b32 v1, v4 offset:4
.LBB14_31:
	s_or_b64 exec, exec, s[12:13]
.LBB14_32:
	s_or_saveexec_b64 s[10:11], s[10:11]
	v_mul_u32_u24_e32 v28, 33, v0
	v_add_lshl_u32 v12, v9, v28, 3
	s_xor_b64 exec, exec, s[10:11]
	s_cbranch_execz .LBB14_34
; %bb.33:
	v_mul_u32_u24_e32 v1, 0x84, v8
	v_add_lshl_u32 v1, v1, v0, 3
	ds_read_b64 v[4:5], v1
	s_waitcnt lgkmcnt(0)
	v_xor_b32_e32 v5, 0x80000000, v5
	ds_write_b64 v12, v[4:5]
.LBB14_34:
	s_or_b64 exec, exec, s[10:11]
	v_or_b32_e32 v10, 1, v9
	v_cmp_ge_u32_e64 s[10:11], v10, v0
	s_and_saveexec_b64 s[12:13], s[10:11]
	s_xor_b64 s[12:13], exec, s[12:13]
	s_cbranch_execz .LBB14_38
; %bb.35:
	v_cmp_eq_u32_e32 vcc, v10, v0
	s_and_saveexec_b64 s[14:15], vcc
	s_cbranch_execz .LBB14_37
; %bb.36:
	v_mul_u32_u24_e32 v1, 34, v0
	v_lshlrev_b32_e32 v1, 3, v1
	v_mov_b32_e32 v4, 0
	ds_write_b32 v1, v4 offset:4
.LBB14_37:
	s_or_b64 exec, exec, s[14:15]
.LBB14_38:
	s_or_saveexec_b64 s[12:13], s[12:13]
	v_mul_u32_u24_e32 v1, 33, v10
	s_xor_b64 exec, exec, s[12:13]
	s_cbranch_execz .LBB14_40
; %bb.39:
	v_add_lshl_u32 v4, v1, v0, 3
	ds_read_b64 v[4:5], v4
	s_waitcnt lgkmcnt(0)
	v_xor_b32_e32 v5, 0x80000000, v5
	ds_write_b64 v12, v[4:5] offset:8
.LBB14_40:
	s_or_b64 exec, exec, s[12:13]
	v_or_b32_e32 v11, 2, v9
	v_cmp_ge_u32_e64 s[12:13], v11, v0
	s_and_saveexec_b64 s[14:15], s[12:13]
	s_xor_b64 s[14:15], exec, s[14:15]
	s_cbranch_execz .LBB14_44
; %bb.41:
	v_cmp_eq_u32_e32 vcc, v11, v0
	s_and_saveexec_b64 s[16:17], vcc
	s_cbranch_execz .LBB14_43
; %bb.42:
	v_mul_u32_u24_e32 v4, 34, v0
	v_lshlrev_b32_e32 v4, 3, v4
	v_mov_b32_e32 v5, 0
	ds_write_b32 v4, v5 offset:4
.LBB14_43:
	s_or_b64 exec, exec, s[16:17]
.LBB14_44:
	s_andn2_saveexec_b64 s[14:15], s[14:15]
	s_cbranch_execz .LBB14_46
; %bb.45:
	v_mul_u32_u24_e32 v4, 33, v11
	v_add_lshl_u32 v4, v4, v0, 3
	ds_read_b64 v[4:5], v4
	s_waitcnt lgkmcnt(0)
	v_xor_b32_e32 v5, 0x80000000, v5
	ds_write_b64 v12, v[4:5] offset:16
.LBB14_46:
	s_or_b64 exec, exec, s[14:15]
	v_or_b32_e32 v13, 3, v9
	v_cmp_ge_u32_e64 s[14:15], v13, v0
	s_and_saveexec_b64 s[16:17], s[14:15]
	s_xor_b64 s[16:17], exec, s[16:17]
	s_cbranch_execz .LBB14_50
; %bb.47:
	v_cmp_eq_u32_e32 vcc, v13, v0
	s_and_saveexec_b64 s[18:19], vcc
	s_cbranch_execz .LBB14_49
; %bb.48:
	v_mul_u32_u24_e32 v4, 34, v0
	v_lshlrev_b32_e32 v4, 3, v4
	v_mov_b32_e32 v5, 0
	ds_write_b32 v4, v5 offset:4
.LBB14_49:
	s_or_b64 exec, exec, s[18:19]
.LBB14_50:
	s_andn2_saveexec_b64 s[16:17], s[16:17]
	s_cbranch_execz .LBB14_52
; %bb.51:
	v_mul_u32_u24_e32 v4, 33, v13
	v_add_lshl_u32 v4, v4, v0, 3
	ds_read_b64 v[4:5], v4
	s_waitcnt lgkmcnt(0)
	v_xor_b32_e32 v5, 0x80000000, v5
	ds_write_b64 v12, v[4:5] offset:24
.LBB14_52:
	s_or_b64 exec, exec, s[16:17]
	v_mul_u32_u24_e32 v4, 0x84, v8
	v_lshlrev_b32_e32 v24, 3, v9
	s_waitcnt lgkmcnt(0)
	s_barrier
	v_add_lshl_u32 v15, v4, v0, 3
	v_add_lshl_u32 v14, v1, v0, 3
	ds_read_b128 v[4:7], v24 offset:9088
	ds_read_b64 v[18:19], v15
	ds_read2_b64 v[30:33], v14 offset1:33
	ds_read_b64 v[38:39], v14 offset:528
	ds_read_b128 v[34:37], v24 offset:9104
	s_mov_b32 s16, 0
	s_waitcnt lgkmcnt(3)
	v_pk_mul_f32 v[40:41], v[4:5], v[18:19] op_sel:[0,1]
	v_pk_fma_f32 v[42:43], v[4:5], v[18:19], v[40:41] op_sel:[0,0,1] op_sel_hi:[1,1,0] neg_lo:[0,0,1] neg_hi:[0,0,1]
	v_pk_fma_f32 v[4:5], v[4:5], v[18:19], v[40:41] op_sel:[0,0,1] op_sel_hi:[1,0,0]
	s_waitcnt lgkmcnt(2)
	v_pk_mul_f32 v[18:19], v[6:7], v[30:31] op_sel:[0,1]
	v_pk_fma_f32 v[40:41], v[6:7], v[30:31], v[18:19] op_sel:[0,0,1] op_sel_hi:[1,1,0] neg_lo:[0,0,1] neg_hi:[0,0,1]
	v_pk_fma_f32 v[6:7], v[6:7], v[30:31], v[18:19] op_sel:[0,0,1] op_sel_hi:[1,0,0]
	v_mov_b32_e32 v43, v5
	v_mov_b32_e32 v41, v7
	s_waitcnt lgkmcnt(0)
	v_pk_mul_f32 v[6:7], v[34:35], v[32:33] op_sel:[0,1]
	v_pk_add_f32 v[4:5], v[42:43], 0 op_sel_hi:[1,0]
	v_pk_fma_f32 v[18:19], v[34:35], v[32:33], v[6:7] op_sel:[0,0,1] op_sel_hi:[1,1,0] neg_lo:[0,0,1] neg_hi:[0,0,1]
	v_pk_fma_f32 v[6:7], v[34:35], v[32:33], v[6:7] op_sel:[0,0,1] op_sel_hi:[1,0,0]
	v_pk_add_f32 v[4:5], v[4:5], v[40:41]
	v_mov_b32_e32 v19, v7
	v_pk_mul_f32 v[6:7], v[36:37], v[38:39] op_sel:[0,1]
	v_pk_add_f32 v[4:5], v[4:5], v[18:19]
	v_pk_fma_f32 v[18:19], v[36:37], v[38:39], v[6:7] op_sel:[0,0,1] op_sel_hi:[1,1,0] neg_lo:[0,0,1] neg_hi:[0,0,1]
	v_pk_fma_f32 v[6:7], v[36:37], v[38:39], v[6:7] op_sel:[0,0,1] op_sel_hi:[1,0,0]
	s_mov_b32 s17, s16
	v_mov_b32_e32 v19, v7
	v_add_lshl_u32 v29, v8, v28, 3
	v_pk_add_f32 v[4:5], v[4:5], v[18:19]
	v_cmp_gt_u32_e64 s[20:21], 32, v27
	v_pk_mov_b32 v[18:19], s[16:17], s[16:17] op_sel:[0,1]
	s_barrier
	ds_write_b64 v29, v[4:5]
	s_waitcnt lgkmcnt(0)
	s_barrier
	s_and_saveexec_b64 s[16:17], s[20:21]
	s_cbranch_execz .LBB14_54
; %bb.53:
	v_lshlrev_b32_e32 v1, 3, v28
	ds_read2_b64 v[4:7], v1 offset1:7
	ds_read2_b64 v[30:33], v1 offset0:1 offset1:2
	ds_read2_b64 v[34:37], v1 offset0:3 offset1:4
	s_waitcnt lgkmcnt(1)
	v_add_f32_e32 v4, v30, v4
	v_add_f32_e32 v5, v31, v5
	;; [unrolled: 1-line block ×4, first 2 shown]
	ds_read2_b64 v[30:33], v1 offset0:5 offset1:6
	s_waitcnt lgkmcnt(1)
	v_add_f32_e32 v1, v4, v34
	v_add_f32_e32 v4, v5, v35
	;; [unrolled: 1-line block ×4, first 2 shown]
	s_waitcnt lgkmcnt(0)
	v_add_f32_e32 v1, v1, v30
	v_add_f32_e32 v5, v4, v31
	;; [unrolled: 1-line block ×4, first 2 shown]
	v_pk_add_f32 v[18:19], v[4:5], v[6:7]
.LBB14_54:
	s_or_b64 exec, exec, s[16:17]
	s_lshl_b32 s16, s22, 5
	s_ashr_i32 s17, s16, 31
	s_lshl_b64 s[36:37], s[16:17], 3
	v_mov_b32_e32 v1, s37
	v_add_co_u32_e32 v4, vcc, s36, v2
	v_addc_co_u32_e32 v5, vcc, v3, v1, vcc
	v_add_co_u32_e32 v2, vcc, 0x100, v4
	v_cndmask_b32_e64 v1, 0, 1, s[34:35]
	s_mov_b64 s[18:19], vcc
	v_cmp_ne_u32_e64 s[16:17], 1, v1
	s_andn2_b64 vcc, exec, s[34:35]
	v_addc_co_u32_e64 v1, s[18:19], 0, v5, s[18:19]
	s_barrier
	s_cbranch_vccnz .LBB14_56
; %bb.55:
	s_lshl_b32 s18, s22, 3
	s_ashr_i32 s19, s18, 31
	s_lshl_b64 s[18:19], s[18:19], 3
	v_mov_b32_e32 v3, s19
	v_add_co_u32_e32 v6, vcc, s18, v4
	s_ashr_i32 s23, s22, 31
	v_addc_co_u32_e32 v7, vcc, v5, v3, vcc
	s_lshl_b64 s[18:19], s[22:23], 6
	v_mov_b32_e32 v3, s19
	v_add_co_u32_e32 v30, vcc, s18, v6
	v_addc_co_u32_e32 v31, vcc, v7, v3, vcc
	v_add_co_u32_e32 v32, vcc, s18, v30
	v_addc_co_u32_e32 v33, vcc, v31, v3, vcc
	global_load_dwordx2 v[34:35], v[4:5], off offset:256
	global_load_dwordx2 v[36:37], v[6:7], off offset:256
	;; [unrolled: 1-line block ×4, first 2 shown]
	v_mul_u32_u24_e32 v3, 33, v8
	v_add_lshl_u32 v3, v3, v0, 3
	s_waitcnt vmcnt(3)
	ds_write_b64 v3, v[34:35]
	s_waitcnt vmcnt(2)
	ds_write_b64 v3, v[36:37] offset:2112
	s_waitcnt vmcnt(1)
	ds_write_b64 v3, v[38:39] offset:4224
	;; [unrolled: 2-line block ×3, first 2 shown]
	s_cbranch_execz .LBB14_57
	s_branch .LBB14_72
.LBB14_56:
.LBB14_57:
	v_lshlrev_b32_e32 v3, 3, v0
	v_sub_co_u32_e32 v5, vcc, v2, v3
	s_ashr_i32 s25, s24, 31
	v_subbrev_co_u32_e32 v6, vcc, 0, v1, vcc
	s_lshl_b64 s[34:35], s[24:25], 3
	v_mov_b32_e32 v7, s35
	v_add_co_u32_e32 v5, vcc, s34, v5
	v_addc_co_u32_e32 v6, vcc, v6, v7, vcc
	v_or_b32_e32 v4, 32, v0
	v_add_co_u32_e32 v7, vcc, 0xfffffef8, v5
	v_addc_co_u32_e32 v5, vcc, -1, v6, vcc
	v_cmp_gt_i32_e64 s[18:19], s24, v4
	s_sub_i32 s23, s24, 32
	v_mov_b32_e32 v6, 0
	v_cndmask_b32_e64 v5, v5, v1, s[18:19]
	v_cndmask_b32_e64 v4, v7, v2, s[18:19]
	v_cmp_gt_i32_e32 vcc, s23, v8
	v_mov_b32_e32 v7, v6
	s_and_saveexec_b64 s[38:39], vcc
	s_cbranch_execz .LBB14_59
; %bb.58:
	global_load_dwordx2 v[6:7], v[4:5], off
.LBB14_59:
	s_or_b64 exec, exec, s[38:39]
	v_mul_u32_u24_e32 v25, 33, v8
	v_add_lshl_u32 v25, v25, v0, 3
	s_waitcnt vmcnt(0)
	ds_write_b64 v25, v[6:7]
	v_add_u32_e32 v6, 8, v8
	v_cmp_le_i32_e32 vcc, s23, v6
	s_and_saveexec_b64 s[38:39], vcc
	s_xor_b64 s[38:39], exec, s[38:39]
	s_cbranch_execz .LBB14_61
; %bb.60:
	v_mul_u32_u24_e32 v6, 33, v6
	v_add_lshl_u32 v30, v6, v0, 3
	v_mov_b32_e32 v6, 0
	v_mov_b32_e32 v7, v6
	ds_write_b64 v30, v[6:7]
.LBB14_61:
	s_andn2_saveexec_b64 s[38:39], s[38:39]
	s_cbranch_execz .LBB14_63
; %bb.62:
	s_lshl_b32 s44, s22, 3
	s_ashr_i32 s45, s44, 31
	s_lshl_b64 s[44:45], s[44:45], 3
	v_mov_b32_e32 v7, s45
	v_add_co_u32_e32 v6, vcc, s44, v4
	v_addc_co_u32_e32 v7, vcc, v5, v7, vcc
	global_load_dwordx2 v[6:7], v[6:7], off
	s_waitcnt vmcnt(0)
	ds_write_b64 v25, v[6:7] offset:2112
.LBB14_63:
	s_or_b64 exec, exec, s[38:39]
	v_add_u32_e32 v6, 16, v8
	v_cmp_le_i32_e32 vcc, s23, v6
	s_and_saveexec_b64 s[38:39], vcc
	s_xor_b64 s[38:39], exec, s[38:39]
	s_cbranch_execz .LBB14_65
; %bb.64:
	v_mul_u32_u24_e32 v6, 33, v6
	v_add_lshl_u32 v30, v6, v0, 3
	v_mov_b32_e32 v6, 0
	v_mov_b32_e32 v7, v6
	ds_write_b64 v30, v[6:7]
.LBB14_65:
	s_andn2_saveexec_b64 s[38:39], s[38:39]
	s_cbranch_execz .LBB14_67
; %bb.66:
	s_lshl_b32 s44, s22, 4
	s_ashr_i32 s45, s44, 31
	s_lshl_b64 s[44:45], s[44:45], 3
	v_mov_b32_e32 v7, s45
	v_add_co_u32_e32 v6, vcc, s44, v4
	v_addc_co_u32_e32 v7, vcc, v5, v7, vcc
	global_load_dwordx2 v[6:7], v[6:7], off
	s_waitcnt vmcnt(0)
	ds_write_b64 v25, v[6:7] offset:4224
.LBB14_67:
	s_or_b64 exec, exec, s[38:39]
	v_add_u32_e32 v6, 24, v8
	v_cmp_le_i32_e32 vcc, s23, v6
	s_and_saveexec_b64 s[38:39], vcc
	s_xor_b64 s[38:39], exec, s[38:39]
	s_cbranch_execz .LBB14_69
; %bb.68:
	v_mov_b32_e32 v6, 0
	v_mov_b32_e32 v7, v6
	ds_write_b64 v25, v[6:7] offset:6336
                                        ; implicit-def: $vgpr25
.LBB14_69:
	s_andn2_saveexec_b64 s[38:39], s[38:39]
	s_cbranch_execz .LBB14_71
; %bb.70:
	s_mul_i32 s44, s22, 24
	s_ashr_i32 s45, s44, 31
	s_lshl_b64 s[44:45], s[44:45], 3
	v_mov_b32_e32 v7, s45
	v_add_co_u32_e32 v6, vcc, s44, v4
	v_addc_co_u32_e32 v7, vcc, v5, v7, vcc
	global_load_dwordx2 v[6:7], v[6:7], off
	s_waitcnt vmcnt(0)
	ds_write_b64 v25, v[6:7] offset:6336
.LBB14_71:
	s_or_b64 exec, exec, s[38:39]
	v_add_co_u32_e32 v3, vcc, v4, v3
	v_addc_co_u32_e32 v4, vcc, 0, v5, vcc
	v_mov_b32_e32 v5, s35
	v_subrev_co_u32_e32 v3, vcc, s34, v3
	v_subb_co_u32_e32 v4, vcc, v4, v5, vcc
	v_add_co_u32_e32 v3, vcc, 0x108, v3
	v_addc_co_u32_e32 v4, vcc, 0, v4, vcc
	v_cndmask_b32_e64 v1, v4, v1, s[18:19]
	v_cndmask_b32_e64 v2, v3, v2, s[18:19]
.LBB14_72:
	v_add_u32_e32 v6, 0x2380, v24
	s_waitcnt lgkmcnt(0)
	s_barrier
	s_and_saveexec_b64 s[18:19], s[8:9]
	s_xor_b64 s[8:9], exec, s[18:19]
	s_cbranch_execnz .LBB14_85
; %bb.73:
	s_andn2_saveexec_b64 s[8:9], s[8:9]
	s_cbranch_execnz .LBB14_88
.LBB14_74:
	s_or_b64 exec, exec, s[8:9]
	s_and_saveexec_b64 s[8:9], s[10:11]
	s_xor_b64 s[8:9], exec, s[8:9]
	s_cbranch_execnz .LBB14_89
.LBB14_75:
	s_andn2_saveexec_b64 s[8:9], s[8:9]
	s_cbranch_execnz .LBB14_92
.LBB14_76:
	s_or_b64 exec, exec, s[8:9]
	s_and_saveexec_b64 s[8:9], s[12:13]
	s_xor_b64 s[8:9], exec, s[8:9]
	s_cbranch_execnz .LBB14_93
.LBB14_77:
	s_andn2_saveexec_b64 s[8:9], s[8:9]
	s_cbranch_execnz .LBB14_96
.LBB14_78:
	s_or_b64 exec, exec, s[8:9]
	s_and_saveexec_b64 s[8:9], s[14:15]
	s_xor_b64 s[8:9], exec, s[8:9]
	s_cbranch_execnz .LBB14_97
.LBB14_79:
	s_andn2_saveexec_b64 s[8:9], s[8:9]
	s_cbranch_execz .LBB14_81
.LBB14_80:
	ds_read_b64 v[4:5], v14 offset:528
	s_waitcnt lgkmcnt(0)
	v_xor_b32_e32 v5, 0x80000000, v5
	ds_write_b64 v12, v[4:5] offset:24
.LBB14_81:
	s_or_b64 exec, exec, s[8:9]
	s_waitcnt lgkmcnt(0)
	s_barrier
	ds_read_b64 v[4:5], v15
	ds_read_b128 v[30:33], v6 offset:256
	ds_read2_b64 v[34:37], v14 offset1:33
	ds_read_b64 v[10:11], v14 offset:528
	ds_read_b128 v[38:41], v6 offset:272
	v_cmp_eq_u32_e64 s[8:9], 1, v8
	s_waitcnt lgkmcnt(3)
	v_pk_mul_f32 v[14:15], v[30:31], v[4:5] op_sel:[0,1]
	v_pk_fma_f32 v[24:25], v[30:31], v[4:5], v[14:15] op_sel:[0,0,1] op_sel_hi:[1,1,0] neg_lo:[0,0,1] neg_hi:[0,0,1]
	v_pk_fma_f32 v[4:5], v[30:31], v[4:5], v[14:15] op_sel:[0,0,1] op_sel_hi:[1,0,0]
	v_mov_b32_e32 v25, v5
	s_waitcnt lgkmcnt(2)
	v_pk_mul_f32 v[14:15], v[32:33], v[34:35] op_sel:[0,1]
	v_pk_add_f32 v[4:5], v[24:25], 0 op_sel_hi:[1,0]
	v_pk_fma_f32 v[24:25], v[32:33], v[34:35], v[14:15] op_sel:[0,0,1] op_sel_hi:[1,1,0] neg_lo:[0,0,1] neg_hi:[0,0,1]
	v_pk_fma_f32 v[14:15], v[32:33], v[34:35], v[14:15] op_sel:[0,0,1] op_sel_hi:[1,0,0]
	v_mov_b32_e32 v25, v15
	s_waitcnt lgkmcnt(0)
	v_pk_mul_f32 v[14:15], v[38:39], v[36:37] op_sel:[0,1]
	v_pk_add_f32 v[4:5], v[4:5], v[24:25]
	v_pk_fma_f32 v[24:25], v[38:39], v[36:37], v[14:15] op_sel:[0,0,1] op_sel_hi:[1,1,0] neg_lo:[0,0,1] neg_hi:[0,0,1]
	v_pk_fma_f32 v[14:15], v[38:39], v[36:37], v[14:15] op_sel:[0,0,1] op_sel_hi:[1,0,0]
	v_mov_b32_e32 v25, v15
	v_pk_mul_f32 v[14:15], v[40:41], v[10:11] op_sel:[0,1]
	v_pk_add_f32 v[4:5], v[4:5], v[24:25]
	v_pk_fma_f32 v[24:25], v[40:41], v[10:11], v[14:15] op_sel:[0,0,1] op_sel_hi:[1,1,0] neg_lo:[0,0,1] neg_hi:[0,0,1]
	v_pk_fma_f32 v[10:11], v[40:41], v[10:11], v[14:15] op_sel:[0,0,1] op_sel_hi:[1,0,0]
	v_mov_b32_e32 v25, v11
	v_pk_add_f32 v[4:5], v[4:5], v[24:25]
	s_barrier
	ds_write_b64 v29, v[4:5]
	s_waitcnt lgkmcnt(0)
	s_barrier
	s_and_saveexec_b64 s[10:11], s[8:9]
	s_cbranch_execz .LBB14_83
; %bb.82:
	v_lshlrev_b32_e32 v3, 3, v28
	ds_read2_b64 v[30:33], v3 offset1:7
	ds_read2_b64 v[34:37], v3 offset0:1 offset1:2
	ds_read2_b64 v[38:41], v3 offset0:3 offset1:4
	s_waitcnt lgkmcnt(1)
	v_add_f32_e32 v4, v34, v30
	v_add_f32_e32 v5, v35, v31
	v_add_f32_e32 v4, v4, v36
	v_add_f32_e32 v5, v5, v37
	ds_read2_b64 v[34:37], v3 offset0:5 offset1:6
	s_waitcnt lgkmcnt(1)
	v_add_f32_e32 v3, v4, v38
	v_add_f32_e32 v4, v5, v39
	;; [unrolled: 1-line block ×4, first 2 shown]
	s_waitcnt lgkmcnt(0)
	v_add_f32_e32 v4, v3, v34
	v_add_f32_e32 v5, v5, v35
	v_pk_add_f32 v[4:5], v[4:5], v[36:37]
	v_pk_add_f32 v[18:19], v[4:5], v[32:33]
.LBB14_83:
	s_or_b64 exec, exec, s[10:11]
	v_mov_b32_e32 v3, s37
	v_subrev_co_u32_e64 v24, s[10:11], s36, v2
	s_and_b64 vcc, exec, s[16:17]
	v_subb_co_u32_e64 v25, s[10:11], v1, v3, s[10:11]
	s_barrier
	s_cbranch_vccnz .LBB14_100
; %bb.84:
	s_lshl_b32 s10, s22, 3
	s_ashr_i32 s11, s10, 31
	s_lshl_b64 s[10:11], s[10:11], 3
	v_mov_b32_e32 v1, s11
	v_add_co_u32_e32 v2, vcc, s10, v24
	s_ashr_i32 s23, s22, 31
	v_addc_co_u32_e32 v3, vcc, v25, v1, vcc
	s_lshl_b64 s[10:11], s[22:23], 6
	v_mov_b32_e32 v1, s11
	v_add_co_u32_e32 v4, vcc, s10, v2
	v_addc_co_u32_e32 v5, vcc, v3, v1, vcc
	v_add_co_u32_e32 v10, vcc, s10, v4
	v_addc_co_u32_e32 v11, vcc, v5, v1, vcc
	global_load_dwordx2 v[14:15], v[24:25], off
	global_load_dwordx2 v[30:31], v[2:3], off
	;; [unrolled: 1-line block ×4, first 2 shown]
	v_mad_u32_u24 v1, v8, 33, v0
	v_add_u32_e32 v4, 8, v8
	v_add_u32_e32 v5, 16, v8
	;; [unrolled: 1-line block ×3, first 2 shown]
	v_lshlrev_b32_e32 v7, 3, v1
	v_add_u32_e32 v2, 0x108, v1
	v_add_u32_e32 v3, 0x210, v1
	v_add_u32_e32 v10, 0x318, v1
	s_waitcnt vmcnt(3)
	ds_write_b64 v7, v[14:15]
	s_waitcnt vmcnt(2)
	ds_write_b64 v7, v[30:31] offset:2112
	s_waitcnt vmcnt(1)
	ds_write_b64 v7, v[32:33] offset:4224
	;; [unrolled: 2-line block ×3, first 2 shown]
	s_cbranch_execz .LBB14_101
	s_branch .LBB14_116
.LBB14_85:
	v_cmp_eq_u32_e32 vcc, v9, v0
	s_and_saveexec_b64 s[18:19], vcc
	s_cbranch_execz .LBB14_87
; %bb.86:
	v_mul_u32_u24_e32 v3, 34, v0
	v_lshlrev_b32_e32 v3, 3, v3
	v_mov_b32_e32 v4, 0
	ds_write_b32 v3, v4 offset:4
.LBB14_87:
	s_or_b64 exec, exec, s[18:19]
	s_andn2_saveexec_b64 s[8:9], s[8:9]
	s_cbranch_execz .LBB14_74
.LBB14_88:
	ds_read_b64 v[4:5], v15
	s_waitcnt lgkmcnt(0)
	v_xor_b32_e32 v5, 0x80000000, v5
	ds_write_b64 v12, v[4:5]
	s_or_b64 exec, exec, s[8:9]
	s_and_saveexec_b64 s[8:9], s[10:11]
	s_xor_b64 s[8:9], exec, s[8:9]
	s_cbranch_execz .LBB14_75
.LBB14_89:
	v_cmp_eq_u32_e32 vcc, v10, v0
	s_and_saveexec_b64 s[10:11], vcc
	s_cbranch_execz .LBB14_91
; %bb.90:
	v_mul_u32_u24_e32 v3, 34, v0
	v_lshlrev_b32_e32 v3, 3, v3
	v_mov_b32_e32 v4, 0
	ds_write_b32 v3, v4 offset:4
.LBB14_91:
	s_or_b64 exec, exec, s[10:11]
	s_andn2_saveexec_b64 s[8:9], s[8:9]
	s_cbranch_execz .LBB14_76
.LBB14_92:
	ds_read_b64 v[4:5], v14
	s_waitcnt lgkmcnt(0)
	v_xor_b32_e32 v5, 0x80000000, v5
	ds_write_b64 v12, v[4:5] offset:8
	s_or_b64 exec, exec, s[8:9]
	s_and_saveexec_b64 s[8:9], s[12:13]
	s_xor_b64 s[8:9], exec, s[8:9]
	s_cbranch_execz .LBB14_77
.LBB14_93:
	v_cmp_eq_u32_e32 vcc, v11, v0
	s_and_saveexec_b64 s[10:11], vcc
	s_cbranch_execz .LBB14_95
; %bb.94:
	v_mul_u32_u24_e32 v3, 34, v0
	v_lshlrev_b32_e32 v3, 3, v3
	v_mov_b32_e32 v4, 0
	ds_write_b32 v3, v4 offset:4
.LBB14_95:
	s_or_b64 exec, exec, s[10:11]
	s_andn2_saveexec_b64 s[8:9], s[8:9]
	s_cbranch_execz .LBB14_78
.LBB14_96:
	ds_read_b64 v[4:5], v14 offset:264
	s_waitcnt lgkmcnt(0)
	v_xor_b32_e32 v5, 0x80000000, v5
	ds_write_b64 v12, v[4:5] offset:16
	s_or_b64 exec, exec, s[8:9]
	s_and_saveexec_b64 s[8:9], s[14:15]
	s_xor_b64 s[8:9], exec, s[8:9]
	s_cbranch_execz .LBB14_79
.LBB14_97:
	v_cmp_eq_u32_e32 vcc, v13, v0
	s_and_saveexec_b64 s[10:11], vcc
	s_cbranch_execz .LBB14_99
; %bb.98:
	v_mul_u32_u24_e32 v3, 34, v0
	v_lshlrev_b32_e32 v3, 3, v3
	v_mov_b32_e32 v4, 0
	ds_write_b32 v3, v4 offset:4
.LBB14_99:
	s_or_b64 exec, exec, s[10:11]
	s_andn2_saveexec_b64 s[8:9], s[8:9]
	s_cbranch_execnz .LBB14_80
	s_branch .LBB14_81
.LBB14_100:
                                        ; implicit-def: $vgpr1
                                        ; implicit-def: $vgpr4
                                        ; implicit-def: $vgpr2
                                        ; implicit-def: $vgpr5
                                        ; implicit-def: $vgpr3
                                        ; implicit-def: $vgpr9
                                        ; implicit-def: $vgpr10
.LBB14_101:
	v_lshlrev_b32_e32 v7, 3, v0
	v_sub_co_u32_e32 v2, vcc, v24, v7
	s_ashr_i32 s25, s24, 31
	v_subbrev_co_u32_e32 v3, vcc, 0, v25, vcc
	s_lshl_b64 s[12:13], s[24:25], 3
	v_mov_b32_e32 v4, s13
	v_add_co_u32_e32 v2, vcc, s12, v2
	v_addc_co_u32_e32 v3, vcc, v3, v4, vcc
	v_or_b32_e32 v1, 32, v0
	v_add_co_u32_e32 v2, vcc, 0xfffffef8, v2
	v_addc_co_u32_e32 v3, vcc, -1, v3, vcc
	v_cmp_gt_i32_e64 s[10:11], s24, v1
	v_mov_b32_e32 v4, 0
	v_cndmask_b32_e64 v3, v3, v25, s[10:11]
	v_cndmask_b32_e64 v2, v2, v24, s[10:11]
	v_cmp_gt_i32_e32 vcc, s24, v8
	v_mov_b32_e32 v5, v4
	s_and_saveexec_b64 s[14:15], vcc
	s_cbranch_execz .LBB14_103
; %bb.102:
	global_load_dwordx2 v[4:5], v[2:3], off
.LBB14_103:
	s_or_b64 exec, exec, s[14:15]
	v_mad_u32_u24 v1, v8, 33, v0
	v_lshlrev_b32_e32 v11, 3, v1
	s_waitcnt vmcnt(0)
	ds_write_b64 v11, v[4:5]
	v_add_u32_e32 v4, 8, v8
	v_cmp_le_i32_e32 vcc, s24, v4
	s_and_saveexec_b64 s[14:15], vcc
	s_xor_b64 s[14:15], exec, s[14:15]
	s_cbranch_execz .LBB14_105
; %bb.104:
	v_mul_u32_u24_e32 v5, 33, v4
	v_mov_b32_e32 v14, 0
	v_add_lshl_u32 v5, v5, v0, 3
	v_mov_b32_e32 v15, v14
	ds_write_b64 v5, v[14:15]
.LBB14_105:
	s_andn2_saveexec_b64 s[14:15], s[14:15]
	s_cbranch_execz .LBB14_107
; %bb.106:
	s_lshl_b32 s16, s22, 3
	s_ashr_i32 s17, s16, 31
	s_lshl_b64 s[16:17], s[16:17], 3
	v_mov_b32_e32 v5, s17
	v_add_co_u32_e32 v14, vcc, s16, v2
	v_addc_co_u32_e32 v15, vcc, v3, v5, vcc
	global_load_dwordx2 v[14:15], v[14:15], off
	s_waitcnt vmcnt(0)
	ds_write_b64 v11, v[14:15] offset:2112
.LBB14_107:
	s_or_b64 exec, exec, s[14:15]
	v_add_u32_e32 v5, 16, v8
	v_cmp_le_i32_e32 vcc, s24, v5
	s_and_saveexec_b64 s[14:15], vcc
	s_xor_b64 s[14:15], exec, s[14:15]
	s_cbranch_execz .LBB14_109
; %bb.108:
	v_mul_u32_u24_e32 v9, 33, v5
	v_mov_b32_e32 v14, 0
	v_add_lshl_u32 v9, v9, v0, 3
	v_mov_b32_e32 v15, v14
	ds_write_b64 v9, v[14:15]
.LBB14_109:
	s_andn2_saveexec_b64 s[14:15], s[14:15]
	s_cbranch_execz .LBB14_111
; %bb.110:
	s_lshl_b32 s16, s22, 4
	s_ashr_i32 s17, s16, 31
	s_lshl_b64 s[16:17], s[16:17], 3
	v_mov_b32_e32 v9, s17
	v_add_co_u32_e32 v14, vcc, s16, v2
	v_addc_co_u32_e32 v15, vcc, v3, v9, vcc
	global_load_dwordx2 v[14:15], v[14:15], off
	s_waitcnt vmcnt(0)
	ds_write_b64 v11, v[14:15] offset:4224
.LBB14_111:
	s_or_b64 exec, exec, s[14:15]
	v_add_u32_e32 v9, 24, v8
	v_cmp_le_i32_e32 vcc, s24, v9
                                        ; implicit-def: $vgpr10
	s_and_saveexec_b64 s[14:15], vcc
	s_xor_b64 s[14:15], exec, s[14:15]
	s_cbranch_execz .LBB14_113
; %bb.112:
	v_mad_u32_u24 v10, v9, 33, v0
	v_mov_b32_e32 v14, 0
	v_lshlrev_b32_e32 v0, 3, v10
	v_mov_b32_e32 v15, v14
	ds_write_b64 v0, v[14:15]
                                        ; implicit-def: $vgpr11
.LBB14_113:
	s_andn2_saveexec_b64 s[14:15], s[14:15]
	s_cbranch_execz .LBB14_115
; %bb.114:
	s_mul_i32 s16, s22, 24
	s_ashr_i32 s17, s16, 31
	s_lshl_b64 s[16:17], s[16:17], 3
	v_mov_b32_e32 v0, s17
	v_add_co_u32_e32 v14, vcc, s16, v2
	v_addc_co_u32_e32 v15, vcc, v3, v0, vcc
	global_load_dwordx2 v[14:15], v[14:15], off
	v_add_u32_e32 v10, 0x318, v1
	s_waitcnt vmcnt(0)
	ds_write_b64 v11, v[14:15] offset:6336
.LBB14_115:
	s_or_b64 exec, exec, s[14:15]
	v_add_co_u32_e32 v0, vcc, v2, v7
	v_addc_co_u32_e32 v2, vcc, 0, v3, vcc
	v_mov_b32_e32 v3, s13
	v_subrev_co_u32_e32 v0, vcc, s12, v0
	v_subb_co_u32_e32 v2, vcc, v2, v3, vcc
	v_add_co_u32_e32 v0, vcc, 0x108, v0
	v_addc_co_u32_e32 v2, vcc, 0, v2, vcc
	v_cndmask_b32_e64 v25, v2, v25, s[10:11]
	v_cndmask_b32_e64 v24, v0, v24, s[10:11]
	v_add_u32_e32 v2, 0x108, v1
	v_add_u32_e32 v3, 0x210, v1
.LBB14_116:
	v_lshlrev_b32_e32 v0, 3, v1
	s_waitcnt lgkmcnt(0)
	s_barrier
	ds_read_b64 v[30:31], v0
	v_lshlrev_b32_e32 v7, 3, v8
	v_lshlrev_b32_e32 v13, 3, v2
	;; [unrolled: 1-line block ×7, first 2 shown]
	ds_read_b64 v[32:33], v0
	ds_read2_b64 v[8:11], v12 offset1:1
	ds_read2_b64 v[0:3], v12 offset0:2 offset1:3
	ds_read_b64 v[34:35], v4 offset:9088
	ds_read_b64 v[36:37], v13
	ds_read_b64 v[38:39], v7 offset:9088
	ds_read_b128 v[12:15], v6 offset:256
	ds_read_b128 v[4:7], v6 offset:272
	ds_read_b64 v[40:41], v40 offset:9088
	ds_read_b64 v[42:43], v42
	ds_read_b64 v[44:45], v44 offset:9088
	s_waitcnt lgkmcnt(5)
	v_pk_mul_f32 v[46:47], v[38:39], v[30:31] op_sel:[0,1]
	v_pk_fma_f32 v[48:49], v[38:39], v[30:31], v[46:47] op_sel:[0,0,1] op_sel_hi:[1,1,0] neg_lo:[0,0,1] neg_hi:[0,0,1]
	v_pk_fma_f32 v[30:31], v[38:39], v[30:31], v[46:47] op_sel:[0,0,1] op_sel_hi:[1,0,0]
	v_pk_mul_f32 v[38:39], v[34:35], v[36:37] op_sel:[0,1]
	v_pk_fma_f32 v[46:47], v[34:35], v[36:37], v[38:39] op_sel:[0,0,1] op_sel_hi:[1,1,0] neg_lo:[0,0,1] neg_hi:[0,0,1]
	v_pk_fma_f32 v[34:35], v[34:35], v[36:37], v[38:39] op_sel:[0,0,1] op_sel_hi:[1,0,0]
	v_mov_b32_e32 v47, v35
	s_waitcnt lgkmcnt(0)
	v_pk_mul_f32 v[34:35], v[44:45], v[32:33] op_sel:[0,1]
	v_mov_b32_e32 v49, v31
	v_pk_fma_f32 v[36:37], v[44:45], v[32:33], v[34:35] op_sel:[0,0,1] op_sel_hi:[1,1,0] neg_lo:[0,0,1] neg_hi:[0,0,1]
	v_pk_fma_f32 v[32:33], v[44:45], v[32:33], v[34:35] op_sel:[0,0,1] op_sel_hi:[1,0,0]
	v_pk_add_f32 v[30:31], v[48:49], 0 op_sel_hi:[1,0]
	v_mov_b32_e32 v37, v33
	v_pk_mul_f32 v[32:33], v[40:41], v[42:43] op_sel:[0,1]
	v_pk_add_f32 v[30:31], v[30:31], v[46:47]
	v_pk_fma_f32 v[34:35], v[40:41], v[42:43], v[32:33] op_sel:[0,0,1] op_sel_hi:[1,1,0] neg_lo:[0,0,1] neg_hi:[0,0,1]
	v_pk_fma_f32 v[32:33], v[40:41], v[42:43], v[32:33] op_sel:[0,0,1] op_sel_hi:[1,0,0]
	v_pk_add_f32 v[30:31], v[30:31], v[36:37]
	v_mov_b32_e32 v35, v33
	v_pk_add_f32 v[30:31], v[30:31], v[34:35]
	s_barrier
	ds_write_b64 v29, v[30:31]
	s_waitcnt lgkmcnt(0)
	s_barrier
	s_and_saveexec_b64 s[10:11], s[8:9]
	s_cbranch_execz .LBB14_118
; %bb.117:
	v_lshlrev_b32_e32 v42, 3, v28
	ds_read2_b64 v[30:33], v42 offset1:1
	ds_read2_b64 v[34:37], v42 offset0:2 offset1:3
	ds_read2_b64 v[38:41], v42 offset0:4 offset1:5
	s_waitcnt lgkmcnt(2)
	v_pk_add_f32 v[18:19], v[18:19], v[30:31]
	v_pk_add_f32 v[18:19], v[18:19], v[32:33]
	ds_read2_b64 v[30:33], v42 offset0:6 offset1:7
	s_waitcnt lgkmcnt(2)
	v_pk_add_f32 v[18:19], v[18:19], v[34:35]
	v_pk_add_f32 v[18:19], v[18:19], v[36:37]
	s_waitcnt lgkmcnt(1)
	v_pk_add_f32 v[18:19], v[18:19], v[38:39]
	v_pk_add_f32 v[18:19], v[18:19], v[40:41]
	;; [unrolled: 3-line block ×3, first 2 shown]
.LBB14_118:
	s_or_b64 exec, exec, s[10:11]
	v_pk_mul_f32 v[30:31], v[8:9], v[12:13] op_sel:[1,0]
	v_pk_fma_f32 v[32:33], v[8:9], v[12:13], v[30:31] op_sel:[0,0,1] op_sel_hi:[1,1,0]
	v_pk_fma_f32 v[8:9], v[8:9], v[12:13], v[30:31] op_sel:[0,0,1] op_sel_hi:[0,1,0] neg_lo:[0,0,1] neg_hi:[0,0,1]
	v_mov_b32_e32 v12, v11
	v_pk_mul_f32 v[12:13], v[12:13], v[14:15] op_sel_hi:[0,1]
	v_pk_fma_f32 v[30:31], v[10:11], v[14:15], v[12:13] op_sel:[0,0,1] op_sel_hi:[1,1,0]
	v_pk_fma_f32 v[10:11], v[10:11], v[14:15], v[12:13] op_sel:[0,0,1] op_sel_hi:[0,1,0] neg_lo:[0,0,1] neg_hi:[0,0,1]
	v_mov_b32_e32 v33, v9
	v_mov_b32_e32 v31, v11
	v_pk_mul_f32 v[10:11], v[0:1], v[4:5] op_sel:[1,0]
	v_pk_add_f32 v[8:9], v[32:33], 0 op_sel_hi:[1,0]
	v_pk_fma_f32 v[12:13], v[0:1], v[4:5], v[10:11] op_sel:[0,0,1] op_sel_hi:[1,1,0]
	v_pk_fma_f32 v[0:1], v[0:1], v[4:5], v[10:11] op_sel:[0,0,1] op_sel_hi:[0,1,0] neg_lo:[0,0,1] neg_hi:[0,0,1]
	v_mov_b32_e32 v4, v3
	v_pk_add_f32 v[8:9], v[8:9], v[30:31]
	v_mov_b32_e32 v13, v1
	v_pk_mul_f32 v[4:5], v[4:5], v[6:7] op_sel_hi:[0,1]
	v_pk_add_f32 v[0:1], v[8:9], v[12:13]
	v_pk_fma_f32 v[8:9], v[2:3], v[6:7], v[4:5] op_sel:[0,0,1] op_sel_hi:[1,1,0]
	v_pk_fma_f32 v[2:3], v[2:3], v[6:7], v[4:5] op_sel:[0,0,1] op_sel_hi:[0,1,0] neg_lo:[0,0,1] neg_hi:[0,0,1]
	v_mov_b32_e32 v9, v3
	v_pk_add_f32 v[0:1], v[0:1], v[8:9]
	s_barrier
	ds_write_b64 v29, v[0:1]
	s_waitcnt lgkmcnt(0)
	s_barrier
	s_and_saveexec_b64 s[8:9], s[20:21]
	s_cbranch_execz .LBB14_120
; %bb.119:
	v_lshlrev_b32_e32 v14, 3, v28
	ds_read2_b64 v[0:3], v14 offset1:1
	ds_read2_b64 v[4:7], v14 offset0:2 offset1:3
	ds_read2_b64 v[8:11], v14 offset0:4 offset1:5
	s_waitcnt lgkmcnt(2)
	v_pk_add_f32 v[0:1], v[18:19], v[0:1]
	v_pk_add_f32 v[12:13], v[0:1], v[2:3]
	ds_read2_b64 v[0:3], v14 offset0:6 offset1:7
	s_waitcnt lgkmcnt(2)
	v_pk_add_f32 v[4:5], v[12:13], v[4:5]
	v_pk_add_f32 v[4:5], v[4:5], v[6:7]
	s_waitcnt lgkmcnt(1)
	v_pk_add_f32 v[4:5], v[4:5], v[8:9]
	v_pk_add_f32 v[4:5], v[4:5], v[10:11]
	;; [unrolled: 3-line block ×3, first 2 shown]
.LBB14_120:
	s_or_b64 exec, exec, s[8:9]
	s_load_dwordx2 s[4:5], s[4:5], 0x68
	s_mul_hi_u32 s8, s40, s7
	s_mul_i32 s42, s42, s7
	s_add_i32 s8, s8, s42
	s_mul_i32 s7, s40, s7
	s_mul_i32 s8, s8, s41
	s_mul_hi_u32 s9, s7, s41
	s_add_i32 s9, s9, s8
	s_mul_i32 s8, s7, s41
	s_lshl_b64 s[8:9], s[8:9], 3
	s_waitcnt lgkmcnt(0)
	s_add_u32 s7, s4, s8
	s_mul_i32 s4, s6, s40
	s_addc_u32 s8, s5, s9
	s_ashr_i32 s5, s4, 31
	s_lshl_b64 s[4:5], s[4:5], 3
	s_add_u32 s7, s7, s4
	v_cmp_le_i32_e32 vcc, s24, v26
	s_addc_u32 s27, s8, s5
	s_and_b64 vcc, s[30:31], vcc
	s_cmp_lt_i32 s6, 1
	v_lshlrev_b32_e32 v72, 3, v26
	s_barrier
	s_cbranch_scc1 .LBB14_127
; %bb.121:
	s_mul_i32 s4, s26, s33
	s_ashr_i32 s5, s4, 31
	s_lshl_b64 s[4:5], s[4:5], 3
	v_mov_b32_e32 v0, s5
	v_subrev_co_u32_e64 v73, s[4:5], s4, v20
	v_subb_co_u32_e64 v74, s[4:5], v21, v0, s[4:5]
	v_mov_b32_e32 v0, s29
	v_subrev_co_u32_e64 v1, s[4:5], s28, v24
	v_subb_co_u32_e64 v0, s[4:5], v25, v0, s[4:5]
	v_sub_co_u32_e64 v4, s[4:5], v1, v22
	v_subb_co_u32_e64 v5, s[4:5], v0, v23, s[4:5]
	v_mul_lo_u32 v0, v17, s22
	v_lshl_add_u32 v0, v0, 2, v26
	v_ashrrev_i32_e32 v1, 31, v0
	v_lshlrev_b64 v[0:1], 3, v[0:1]
	v_add_co_u32_e64 v0, s[4:5], v4, v0
	v_addc_co_u32_e64 v1, s[4:5], v5, v1, s[4:5]
	s_movk_i32 s4, 0xff00
	v_add_co_u32_e64 v4, s[4:5], s4, v0
	v_addc_co_u32_e64 v5, s[4:5], -1, v1, s[4:5]
	v_sub_co_u32_e64 v0, s[4:5], v0, v72
	v_subbrev_co_u32_e64 v1, s[4:5], 0, v1, s[4:5]
	s_ashr_i32 s25, s24, 31
	s_lshl_b64 s[4:5], s[24:25], 3
	v_mov_b32_e32 v6, s5
	v_add_co_u32_e64 v0, s[4:5], s4, v0
	v_addc_co_u32_e64 v1, s[4:5], v1, v6, s[4:5]
	s_movk_i32 s4, 0xfef8
	v_add_co_u32_e64 v0, s[4:5], s4, v0
	v_addc_co_u32_e64 v1, s[4:5], -1, v1, s[4:5]
	v_cndmask_b32_e32 v14, v4, v0, vcc
	v_and_b32_e32 v0, 48, v26
	v_and_b32_e32 v2, 15, v26
	v_cndmask_b32_e32 v15, v5, v1, vcc
	v_lshlrev_b32_e32 v1, 3, v0
	s_movk_i32 s8, 0x218
	v_lshrrev_b32_e32 v3, 4, v27
	v_mad_u32_u24 v77, v2, s8, v1
	v_or_b32_e32 v1, 0x78, v72
	v_mad_u32_u24 v78, v2, s8, v1
	v_lshlrev_b32_e32 v1, 5, v3
	v_mad_u32_u24 v79, v2, s8, v1
	v_mov_b32_e32 v1, 0x2180
	s_ashr_i32 s23, s22, 31
	v_lshl_add_u32 v80, v17, 5, v1
	s_movk_i32 s9, 0x860
	v_lshlrev_b32_e32 v1, 3, v3
	v_mad_u32_u24 v81, v17, s9, v72
	v_mad_u32_u24 v82, v2, s8, v1
	s_lshl_b64 s[10:11], s[22:23], 3
	s_lshl_b64 s[14:15], s[22:23], 4
	s_mul_hi_i32 s8, s22, 24
	s_mul_hi_i32 s9, s22, 0x90
	;; [unrolled: 1-line block ×10, first 2 shown]
	s_lshl_b64 s[16:17], s[22:23], 8
	s_mul_hi_i32 s45, s22, 0x88
	s_lshl_b64 s[18:19], s[22:23], 7
	v_mov_b32_e32 v13, 0
	s_lshl_b32 s24, s33, 6
	v_add_u32_e32 v75, 0x2180, v72
	v_add_u32_e32 v76, 0x2380, v72
	v_cmp_gt_u32_e64 s[4:5], 64, v27
	s_lshl_b64 s[12:13], s[22:23], 9
	s_mul_i32 s25, s22, 24
	s_mul_i32 s26, s22, 0x90
	;; [unrolled: 1-line block ×11, first 2 shown]
	v_or_b32_e32 v12, v0, v2
	s_mov_b32 s20, 0
	v_mov_b32_e32 v83, s11
	v_mov_b32_e32 v84, s15
	;; [unrolled: 1-line block ×15, first 2 shown]
	s_branch .LBB14_123
.LBB14_122:                             ;   in Loop: Header=BB14_123 Depth=1
	s_or_b64 exec, exec, s[22:23]
	v_mul_f32_e32 v98, v20, v28
	v_fma_f32 v98, -v21, v29, v98
	v_pk_mul_f32 v[20:21], v[20:21], v[28:29] op_sel:[1,0] op_sel_hi:[0,1]
	v_add_f32_e32 v20, v20, v21
	v_add_f32_e32 v20, v19, v20
	v_mul_f32_e32 v19, v22, v42
	v_add_f32_e32 v18, v18, v98
	v_fma_f32 v19, -v23, v43, v19
	v_add_f32_e32 v21, v18, v19
	v_pk_mul_f32 v[18:19], v[22:23], v[42:43] op_sel:[1,0] op_sel_hi:[0,1]
	v_add_f32_e32 v18, v18, v19
	v_add_f32_e32 v20, v20, v18
	v_mul_f32_e32 v18, v24, v38
	v_fma_f32 v18, -v25, v39, v18
	v_add_f32_e32 v21, v21, v18
	v_pk_mul_f32 v[18:19], v[24:25], v[38:39] op_sel:[1,0] op_sel_hi:[0,1]
	v_add_f32_e32 v18, v18, v19
	v_add_f32_e32 v20, v20, v18
	v_mul_f32_e32 v18, v26, v34
	;; [unrolled: 6-line block ×4, first 2 shown]
	v_fma_f32 v18, -v33, v59, v18
	v_add_f32_e32 v18, v21, v18
	v_pk_mul_f32 v[20:21], v[32:33], v[58:59] op_sel:[1,0] op_sel_hi:[0,1]
	v_add_f32_e32 v20, v20, v21
	v_add_f32_e32 v19, v19, v20
	v_mov_b32_e32 v20, v57
	v_pk_mul_f32 v[20:21], v[30:31], v[20:21] op_sel:[1,0] op_sel_hi:[0,1]
	v_pk_fma_f32 v[20:21], v[30:31], v[56:57], v[20:21] neg_lo:[0,0,1] neg_hi:[0,0,1]
	v_pk_mul_f32 v[22:23], v[30:31], v[56:57] op_sel:[1,0] op_sel_hi:[0,1]
	v_mov_b32_e32 v21, v22
	v_pk_fma_f32 v[22:23], v[30:31], v[56:57], v[20:21] op_sel:[1,0,0] op_sel_hi:[0,1,1]
	v_pk_mul_f32 v[26:27], v[36:37], v[54:55] op_sel:[1,0] op_sel_hi:[0,1]
	v_mov_b32_e32 v22, v55
	v_mov_b32_e32 v21, v26
	v_pk_mul_f32 v[24:25], v[36:37], v[22:23] op_sel:[1,0] op_sel_hi:[0,1]
	v_pk_fma_f32 v[26:27], v[36:37], v[54:55], v[20:21] op_sel:[1,0,0] op_sel_hi:[0,1,1]
	v_mov_b32_e32 v21, v23
	v_pk_fma_f32 v[24:25], v[36:37], v[54:55], v[24:25] neg_lo:[0,0,1] neg_hi:[0,0,1]
	v_pk_add_f32 v[18:19], v[18:19], v[20:21]
	v_pk_mul_f32 v[20:21], v[50:51], v[64:65] op_sel:[1,1] op_sel_hi:[0,1]
	v_mov_b32_e32 v25, v27
	v_pk_mul_f32 v[22:23], v[48:49], v[8:9] op_sel:[0,1]
	v_pk_fma_f32 v[28:29], v[50:51], v[64:65], v[20:21] neg_lo:[0,0,1] neg_hi:[0,0,1]
	v_pk_fma_f32 v[20:21], v[50:51], v[64:65], v[20:21] op_sel_hi:[1,0,1]
	v_pk_add_f32 v[18:19], v[18:19], v[24:25]
	v_mov_b32_e32 v24, v11
	v_mov_b32_e32 v29, v21
	v_pk_fma_f32 v[20:21], v[48:49], v[8:9], v[22:23] op_sel:[0,0,1] op_sel_hi:[1,1,0] neg_lo:[0,0,1] neg_hi:[0,0,1]
	v_pk_fma_f32 v[8:9], v[48:49], v[8:9], v[22:23] op_sel:[0,0,1] op_sel_hi:[1,0,0]
	v_pk_mul_f32 v[24:25], v[44:45], v[24:25] op_sel_hi:[1,0]
	v_pk_add_f32 v[18:19], v[18:19], v[28:29]
	v_mov_b32_e32 v21, v9
	v_pk_add_f32 v[8:9], v[18:19], v[20:21]
	v_pk_fma_f32 v[18:19], v[44:45], v[10:11], v[24:25] op_sel:[0,0,1] op_sel_hi:[1,1,0] neg_lo:[0,0,1] neg_hi:[0,0,1]
	v_pk_fma_f32 v[10:11], v[44:45], v[10:11], v[24:25] op_sel:[0,0,1] op_sel_hi:[1,0,0]
	v_pk_mul_f32 v[26:27], v[46:47], v[66:67] op_sel:[0,1]
	v_mov_b32_e32 v19, v11
	v_pk_add_f32 v[8:9], v[8:9], v[18:19]
	v_pk_fma_f32 v[10:11], v[46:47], v[66:67], v[26:27] op_sel:[0,0,1] op_sel_hi:[1,1,0] neg_lo:[0,0,1] neg_hi:[0,0,1]
	v_pk_fma_f32 v[18:19], v[46:47], v[66:67], v[26:27] op_sel:[0,0,1] op_sel_hi:[1,0,0]
	v_mov_b32_e32 v11, v19
	v_pk_add_f32 v[8:9], v[8:9], v[10:11]
	v_pk_mul_f32 v[10:11], v[70:71], v[0:1] op_sel:[0,1]
	v_pk_mul_f32 v[18:19], v[68:69], v[6:7] op_sel:[0,1]
	v_pk_fma_f32 v[24:25], v[70:71], v[0:1], v[10:11] op_sel:[0,0,1] op_sel_hi:[1,1,0] neg_lo:[0,0,1] neg_hi:[0,0,1]
	v_pk_fma_f32 v[0:1], v[70:71], v[0:1], v[10:11] op_sel:[0,0,1] op_sel_hi:[1,0,0]
	v_pk_mul_f32 v[20:21], v[60:61], v[4:5] op_sel:[0,1]
	v_mov_b32_e32 v25, v1
	v_pk_fma_f32 v[0:1], v[68:69], v[6:7], v[18:19] op_sel:[0,0,1] op_sel_hi:[1,1,0] neg_lo:[0,0,1] neg_hi:[0,0,1]
	v_pk_fma_f32 v[6:7], v[68:69], v[6:7], v[18:19] op_sel:[0,0,1] op_sel_hi:[1,0,0]
	v_pk_mul_f32 v[22:23], v[62:63], v[2:3] op_sel:[0,1]
	v_mov_b32_e32 v1, v7
	v_pk_fma_f32 v[6:7], v[60:61], v[4:5], v[20:21] op_sel:[0,0,1] op_sel_hi:[1,1,0] neg_lo:[0,0,1] neg_hi:[0,0,1]
	v_pk_fma_f32 v[4:5], v[60:61], v[4:5], v[20:21] op_sel:[0,0,1] op_sel_hi:[1,0,0]
	v_mov_b32_e32 v7, v5
	v_pk_fma_f32 v[4:5], v[62:63], v[2:3], v[22:23] op_sel:[0,0,1] op_sel_hi:[1,1,0] neg_lo:[0,0,1] neg_hi:[0,0,1]
	v_pk_fma_f32 v[2:3], v[62:63], v[2:3], v[22:23] op_sel:[0,0,1] op_sel_hi:[1,0,0]
	v_mov_b32_e32 v5, v3
	v_pk_add_f32 v[2:3], v[8:9], v[24:25]
	v_pk_add_f32 v[0:1], v[2:3], v[0:1]
	;; [unrolled: 1-line block ×4, first 2 shown]
	v_mov_b32_e32 v0, s13
	v_add_co_u32_e64 v14, s[8:9], s12, v14
	s_add_i32 s6, s6, -1
	s_add_i32 s20, s20, s24
	v_addc_co_u32_e64 v15, s[8:9], v15, v0, s[8:9]
	s_cmp_eq_u32 s6, 0
	v_add_u32_e32 v12, 64, v12
	s_barrier
	s_cbranch_scc1 .LBB14_127
.LBB14_123:                             ; =>This Inner Loop Header: Depth=1
	s_and_saveexec_b64 s[22:23], s[2:3]
	s_cbranch_execz .LBB14_125
; %bb.124:                              ;   in Loop: Header=BB14_123 Depth=1
	s_ashr_i32 s21, s20, 31
	s_lshl_b64 s[8:9], s[20:21], 3
	v_mov_b32_e32 v1, s9
	v_add_co_u32_e64 v0, s[8:9], s8, v73
	v_addc_co_u32_e64 v1, s[8:9], v74, v1, s[8:9]
	global_load_dwordx2 v[0:1], v[0:1], off
	s_waitcnt vmcnt(0)
	ds_write_b64 v75, v[0:1]
.LBB14_125:                             ;   in Loop: Header=BB14_123 Depth=1
	s_or_b64 exec, exec, s[22:23]
	v_add_co_u32_e64 v0, s[8:9], s10, v14
	v_addc_co_u32_e64 v1, s[8:9], v15, v83, s[8:9]
	v_add_co_u32_e64 v2, s[8:9], s14, v14
	s_waitcnt lgkmcnt(0)
	s_barrier
	global_load_dwordx2 v[20:21], v[14:15], off
	v_addc_co_u32_e64 v3, s[8:9], v15, v84, s[8:9]
	global_load_dwordx2 v[22:23], v[0:1], off
	global_load_dwordx2 v[24:25], v[2:3], off
	v_add_co_u32_e64 v0, s[8:9], s25, v14
	v_addc_co_u32_e64 v1, s[8:9], v15, v85, s[8:9]
	global_load_dwordx2 v[26:27], v[0:1], off
	ds_read_b64 v[0:1], v76
	ds_read_b64 v[28:29], v80
	v_add_co_u32_e64 v8, s[8:9], s18, v14
	v_addc_co_u32_e64 v9, s[8:9], v15, v86, s[8:9]
	v_add_co_u32_e64 v10, s[8:9], s37, v14
	v_addc_co_u32_e64 v11, s[8:9], v15, v87, s[8:9]
	v_add_co_u32_e64 v36, s[8:9], s26, v14
	v_addc_co_u32_e64 v37, s[8:9], v15, v88, s[8:9]
	s_waitcnt vmcnt(3) lgkmcnt(1)
	v_mul_f32_e32 v2, v21, v1
	v_mul_f32_e32 v3, v21, v0
	v_fmac_f32_e32 v2, v20, v0
	v_fma_f32 v3, v20, v1, -v3
	s_waitcnt vmcnt(2)
	v_mul_f32_e32 v4, v23, v1
	v_mul_f32_e32 v5, v23, v0
	s_waitcnt vmcnt(1)
	v_mul_f32_e32 v6, v25, v1
	v_mul_f32_e32 v7, v25, v0
	ds_write_b64 v81, v[2:3]
	v_fmac_f32_e32 v4, v22, v0
	v_fma_f32 v5, v22, v1, -v5
	s_waitcnt vmcnt(0)
	v_mul_f32_e32 v30, v27, v1
	v_mul_f32_e32 v31, v27, v0
	v_fmac_f32_e32 v6, v24, v0
	v_fma_f32 v7, v24, v1, -v7
	ds_read_b64 v[42:43], v80 offset:8
	ds_write_b64 v81, v[4:5] offset:536
	v_fmac_f32_e32 v30, v26, v0
	v_fma_f32 v31, v26, v1, -v31
	ds_read_b64 v[38:39], v80 offset:16
	ds_write_b64 v81, v[6:7] offset:1072
	ds_read_b64 v[34:35], v80 offset:24
	ds_write_b64 v81, v[30:31] offset:1608
	s_waitcnt lgkmcnt(0)
	s_barrier
	ds_read2_b64 v[4:7], v79 offset1:1
	ds_read2_b64 v[0:3], v79 offset0:2 offset1:3
	s_waitcnt lgkmcnt(0)
	s_barrier
	global_load_dwordx2 v[40:41], v[8:9], off
	global_load_dwordx2 v[32:33], v[10:11], off
	;; [unrolled: 1-line block ×3, first 2 shown]
	v_add_co_u32_e64 v8, s[8:9], s28, v14
	v_addc_co_u32_e64 v9, s[8:9], v15, v89, s[8:9]
	global_load_dwordx2 v[36:37], v[8:9], off
	ds_read_b64 v[44:45], v76
	ds_read_b64 v[52:53], v80 offset:128
	v_add_co_u32_e64 v8, s[8:9], s16, v14
	v_addc_co_u32_e64 v9, s[8:9], v15, v90, s[8:9]
	v_add_co_u32_e64 v10, s[8:9], s36, v14
	v_addc_co_u32_e64 v11, s[8:9], v15, v91, s[8:9]
	;; [unrolled: 2-line block ×3, first 2 shown]
	v_pk_add_f32 v[4:5], v[4:5], 0 op_sel_hi:[1,0]
	v_pk_add_f32 v[4:5], v[4:5], v[6:7]
	v_pk_add_f32 v[0:1], v[4:5], v[0:1]
	s_waitcnt vmcnt(3) lgkmcnt(1)
	v_mul_f32_e32 v48, v41, v45
	v_mul_f32_e32 v49, v41, v44
	s_waitcnt vmcnt(2)
	v_mul_f32_e32 v50, v33, v45
	v_mul_f32_e32 v51, v33, v44
	v_fmac_f32_e32 v48, v40, v44
	v_fma_f32 v49, v40, v45, -v49
	s_waitcnt vmcnt(1)
	v_mul_f32_e32 v54, v31, v45
	v_mul_f32_e32 v55, v31, v44
	v_fmac_f32_e32 v50, v32, v44
	v_fma_f32 v51, v32, v45, -v51
	ds_write_b64 v81, v[48:49]
	s_waitcnt vmcnt(0)
	v_mul_f32_e32 v60, v37, v45
	v_mul_f32_e32 v56, v37, v44
	v_fmac_f32_e32 v54, v30, v44
	v_fma_f32 v55, v30, v45, -v55
	ds_read_b64 v[58:59], v80 offset:136
	ds_write_b64 v81, v[50:51] offset:536
	v_fmac_f32_e32 v60, v36, v44
	v_fma_f32 v61, v36, v45, -v56
	ds_read_b64 v[56:57], v80 offset:144
	ds_write_b64 v81, v[54:55] offset:1072
	ds_read_b64 v[54:55], v80 offset:152
	ds_write_b64 v81, v[60:61] offset:1608
	s_waitcnt lgkmcnt(0)
	s_barrier
	ds_read2_b64 v[98:101], v79 offset1:1
	ds_read2_b64 v[102:105], v79 offset0:2 offset1:3
	s_waitcnt lgkmcnt(0)
	s_barrier
	global_load_dwordx2 v[50:51], v[8:9], off
	global_load_dwordx2 v[48:49], v[10:11], off
	;; [unrolled: 1-line block ×3, first 2 shown]
	v_add_co_u32_e64 v8, s[8:9], s30, v14
	v_addc_co_u32_e64 v9, s[8:9], v15, v93, s[8:9]
	global_load_dwordx2 v[46:47], v[8:9], off
	ds_read_b64 v[8:9], v76
	ds_read_b64 v[64:65], v80 offset:256
	v_add_co_u32_e64 v62, s[8:9], s35, v14
	v_addc_co_u32_e64 v63, s[8:9], v15, v94, s[8:9]
	v_add_co_u32_e64 v114, s[8:9], s34, v14
	v_addc_co_u32_e64 v115, s[8:9], v15, v95, s[8:9]
	;; [unrolled: 2-line block ×3, first 2 shown]
	s_waitcnt vmcnt(3) lgkmcnt(1)
	v_mul_f32_e32 v10, v51, v9
	v_mul_f32_e32 v11, v51, v8
	s_waitcnt vmcnt(2)
	v_mul_f32_e32 v60, v49, v9
	v_mul_f32_e32 v61, v49, v8
	s_waitcnt vmcnt(1)
	v_mul_f32_e32 v66, v45, v8
	v_mul_f32_e32 v68, v45, v9
	v_fma_f32 v11, v50, v9, -v11
	s_waitcnt vmcnt(0)
	v_mul_f32_e32 v67, v47, v8
	v_mul_f32_e32 v70, v47, v9
	v_fmac_f32_e32 v10, v50, v8
	v_fma_f32 v61, v48, v9, -v61
	v_fma_f32 v69, v44, v9, -v66
	v_fmac_f32_e32 v60, v48, v8
	v_fmac_f32_e32 v68, v44, v8
	v_fma_f32 v71, v46, v9, -v67
	v_fmac_f32_e32 v70, v46, v8
	ds_write_b64 v81, v[10:11]
	ds_read_b64 v[66:67], v80 offset:280
	ds_read2_b64 v[8:11], v80 offset0:33 offset1:34
	ds_write2_b64 v81, v[60:61], v[68:69] offset0:67 offset1:134
	ds_write_b64 v81, v[70:71] offset:1608
	s_waitcnt lgkmcnt(0)
	s_barrier
	ds_read2_b64 v[106:109], v79 offset1:1
	ds_read2_b64 v[110:113], v79 offset0:2 offset1:3
	s_waitcnt lgkmcnt(0)
	s_barrier
	global_load_dwordx2 v[70:71], v[62:63], off
	global_load_dwordx2 v[68:69], v[114:115], off
	;; [unrolled: 1-line block ×3, first 2 shown]
	v_add_co_u32_e64 v62, s[8:9], s33, v14
	v_addc_co_u32_e64 v63, s[8:9], v15, v97, s[8:9]
	global_load_dwordx2 v[62:63], v[62:63], off
	v_pk_add_f32 v[114:115], v[0:1], v[2:3]
	v_pk_add_f32 v[0:1], v[98:99], 0 op_sel_hi:[1,0]
	v_pk_add_f32 v[0:1], v[0:1], v[100:101]
	v_pk_add_f32 v[0:1], v[0:1], v[102:103]
	;; [unrolled: 1-line block ×3, first 2 shown]
	ds_read_b64 v[2:3], v76
	ds_read_b64 v[0:1], v80 offset:384
	v_pk_add_f32 v[4:5], v[106:107], 0 op_sel_hi:[1,0]
	v_pk_add_f32 v[4:5], v[4:5], v[108:109]
	v_pk_add_f32 v[4:5], v[4:5], v[110:111]
	;; [unrolled: 1-line block ×3, first 2 shown]
	s_waitcnt vmcnt(3) lgkmcnt(1)
	v_mul_f32_e32 v5, v71, v2
	v_mul_f32_e32 v4, v71, v3
	s_waitcnt vmcnt(2)
	v_mul_f32_e32 v6, v69, v2
	v_mul_f32_e32 v98, v69, v3
	v_fma_f32 v5, v70, v3, -v5
	v_fmac_f32_e32 v4, v70, v2
	s_waitcnt vmcnt(1)
	v_mul_f32_e32 v7, v61, v2
	v_mul_f32_e32 v100, v61, v3
	v_fma_f32 v99, v68, v3, -v6
	v_fmac_f32_e32 v98, v68, v2
	ds_write_b64 v81, v[4:5]
	s_waitcnt vmcnt(0)
	v_mul_f32_e32 v103, v63, v2
	v_mul_f32_e32 v102, v63, v3
	v_fma_f32 v101, v60, v3, -v7
	v_fmac_f32_e32 v100, v60, v2
	ds_read_b64 v[6:7], v80 offset:392
	ds_write_b64 v81, v[98:99] offset:536
	v_fma_f32 v103, v62, v3, -v103
	v_fmac_f32_e32 v102, v62, v2
	ds_read_b64 v[4:5], v80 offset:400
	ds_write_b64 v81, v[100:101] offset:1072
	ds_read_b64 v[2:3], v80 offset:408
	ds_write_b64 v81, v[102:103] offset:1608
	s_waitcnt lgkmcnt(0)
	s_barrier
	ds_read2_b64 v[98:101], v79 offset1:1
	ds_read2_b64 v[102:105], v79 offset0:2 offset1:3
	s_waitcnt lgkmcnt(0)
	s_barrier
	v_pk_add_f32 v[98:99], v[98:99], 0 op_sel_hi:[1,0]
	v_pk_add_f32 v[98:99], v[98:99], v[100:101]
	v_pk_add_f32 v[98:99], v[98:99], v[102:103]
	;; [unrolled: 1-line block ×3, first 2 shown]
	ds_write2_b64 v82, v[114:115], v[116:117] offset1:16
	ds_write2_b64 v82, v[106:107], v[98:99] offset0:32 offset1:48
	s_waitcnt lgkmcnt(0)
	s_barrier
	s_and_saveexec_b64 s[22:23], s[4:5]
	s_cbranch_execz .LBB14_122
; %bb.126:                              ;   in Loop: Header=BB14_123 Depth=1
	ds_read_b64 v[106:107], v77
	ds_read2_b64 v[98:101], v77 offset0:1 offset1:2
	ds_read2_b64 v[102:105], v77 offset0:3 offset1:4
	v_lshlrev_b64 v[108:109], 3, v[12:13]
	v_mov_b32_e32 v111, s27
	v_add_co_u32_e64 v110, s[8:9], s7, v108
	s_waitcnt lgkmcnt(1)
	v_add_f32_e32 v98, v98, v106
	v_add_f32_e32 v99, v99, v107
	;; [unrolled: 1-line block ×4, first 2 shown]
	ds_read2_b64 v[98:101], v77 offset0:5 offset1:6
	s_waitcnt lgkmcnt(1)
	v_add_f32_e32 v102, v106, v102
	v_add_f32_e32 v103, v107, v103
	;; [unrolled: 1-line block ×4, first 2 shown]
	ds_read2_b64 v[102:105], v77 offset0:7 offset1:8
	v_addc_co_u32_e64 v111, s[8:9], v111, v109, s[8:9]
	s_waitcnt lgkmcnt(1)
	v_pk_add_f32 v[98:99], v[106:107], v[98:99]
	ds_read2_b64 v[106:109], v77 offset0:9 offset1:10
	v_pk_add_f32 v[98:99], v[98:99], v[100:101]
	s_waitcnt lgkmcnt(1)
	v_pk_add_f32 v[98:99], v[98:99], v[102:103]
	v_pk_add_f32 v[102:103], v[98:99], v[104:105]
	ds_read2_b64 v[98:101], v77 offset0:11 offset1:12
	s_waitcnt lgkmcnt(1)
	v_pk_add_f32 v[106:107], v[102:103], v[106:107]
	ds_read2_b64 v[102:105], v77 offset0:13 offset1:14
	v_pk_add_f32 v[106:107], v[106:107], v[108:109]
	ds_read_b64 v[108:109], v78
	s_waitcnt lgkmcnt(2)
	v_pk_add_f32 v[98:99], v[106:107], v[98:99]
	v_pk_add_f32 v[98:99], v[98:99], v[100:101]
	s_waitcnt lgkmcnt(1)
	v_pk_add_f32 v[98:99], v[98:99], v[102:103]
	v_pk_add_f32 v[98:99], v[98:99], v[104:105]
	s_waitcnt lgkmcnt(0)
	v_pk_add_f32 v[98:99], v[98:99], v[108:109]
	global_store_dwordx2 v[110:111], v[98:99], off
	s_branch .LBB14_122
.LBB14_127:
	s_movk_i32 s2, 0x218
	s_or_b64 s[0:1], s[0:1], vcc
	v_mad_u32_u24 v0, v17, s2, v72
	s_xor_b64 s[0:1], s[0:1], -1
	ds_write_b64 v0, v[18:19]
	s_waitcnt lgkmcnt(0)
	s_barrier
	s_and_saveexec_b64 s[2:3], s[0:1]
	s_cbranch_execz .LBB14_129
; %bb.128:
	ds_read2_b64 v[0:3], v72 offset1:67
	ds_read2_b64 v[4:7], v72 offset0:134 offset1:201
	v_ashrrev_i32_e32 v17, 31, v16
	v_lshlrev_b64 v[8:9], 3, v[16:17]
	v_mov_b32_e32 v10, s27
	s_waitcnt lgkmcnt(1)
	v_pk_add_f32 v[0:1], v[2:3], v[0:1]
	v_add_co_u32_e32 v8, vcc, s7, v8
	s_waitcnt lgkmcnt(0)
	v_pk_add_f32 v[0:1], v[0:1], v[4:5]
	v_addc_co_u32_e32 v9, vcc, v10, v9, vcc
	v_pk_add_f32 v[0:1], v[0:1], v[6:7]
	global_store_dwordx2 v[8:9], v[0:1], off
.LBB14_129:
	s_endpgm
	.section	.rodata,"a",@progbits
	.p2align	6, 0x0
	.amdhsa_kernel _ZL26rocblas_hemvn_kernel_lowerILb1ELi64ELi4ELi33ELi32ELi16Ei19rocblas_complex_numIfEPKS1_PS1_EviT6_lT7_lT5_lS6_lS7_lS5_lT8_i
		.amdhsa_group_segment_fixed_size 9600
		.amdhsa_private_segment_fixed_size 0
		.amdhsa_kernarg_size 376
		.amdhsa_user_sgpr_count 6
		.amdhsa_user_sgpr_private_segment_buffer 1
		.amdhsa_user_sgpr_dispatch_ptr 0
		.amdhsa_user_sgpr_queue_ptr 0
		.amdhsa_user_sgpr_kernarg_segment_ptr 1
		.amdhsa_user_sgpr_dispatch_id 0
		.amdhsa_user_sgpr_flat_scratch_init 0
		.amdhsa_user_sgpr_kernarg_preload_length 0
		.amdhsa_user_sgpr_kernarg_preload_offset 0
		.amdhsa_user_sgpr_private_segment_size 0
		.amdhsa_uses_dynamic_stack 0
		.amdhsa_system_sgpr_private_segment_wavefront_offset 0
		.amdhsa_system_sgpr_workgroup_id_x 1
		.amdhsa_system_sgpr_workgroup_id_y 0
		.amdhsa_system_sgpr_workgroup_id_z 1
		.amdhsa_system_sgpr_workgroup_info 0
		.amdhsa_system_vgpr_workitem_id 1
		.amdhsa_next_free_vgpr 118
		.amdhsa_next_free_sgpr 46
		.amdhsa_accum_offset 120
		.amdhsa_reserve_vcc 1
		.amdhsa_reserve_flat_scratch 0
		.amdhsa_float_round_mode_32 0
		.amdhsa_float_round_mode_16_64 0
		.amdhsa_float_denorm_mode_32 3
		.amdhsa_float_denorm_mode_16_64 3
		.amdhsa_dx10_clamp 1
		.amdhsa_ieee_mode 1
		.amdhsa_fp16_overflow 0
		.amdhsa_tg_split 0
		.amdhsa_exception_fp_ieee_invalid_op 0
		.amdhsa_exception_fp_denorm_src 0
		.amdhsa_exception_fp_ieee_div_zero 0
		.amdhsa_exception_fp_ieee_overflow 0
		.amdhsa_exception_fp_ieee_underflow 0
		.amdhsa_exception_fp_ieee_inexact 0
		.amdhsa_exception_int_div_zero 0
	.end_amdhsa_kernel
	.section	.text._ZL26rocblas_hemvn_kernel_lowerILb1ELi64ELi4ELi33ELi32ELi16Ei19rocblas_complex_numIfEPKS1_PS1_EviT6_lT7_lT5_lS6_lS7_lS5_lT8_i,"axG",@progbits,_ZL26rocblas_hemvn_kernel_lowerILb1ELi64ELi4ELi33ELi32ELi16Ei19rocblas_complex_numIfEPKS1_PS1_EviT6_lT7_lT5_lS6_lS7_lS5_lT8_i,comdat
.Lfunc_end14:
	.size	_ZL26rocblas_hemvn_kernel_lowerILb1ELi64ELi4ELi33ELi32ELi16Ei19rocblas_complex_numIfEPKS1_PS1_EviT6_lT7_lT5_lS6_lS7_lS5_lT8_i, .Lfunc_end14-_ZL26rocblas_hemvn_kernel_lowerILb1ELi64ELi4ELi33ELi32ELi16Ei19rocblas_complex_numIfEPKS1_PS1_EviT6_lT7_lT5_lS6_lS7_lS5_lT8_i
                                        ; -- End function
	.section	.AMDGPU.csdata,"",@progbits
; Kernel info:
; codeLenInByte = 8216
; NumSgprs: 50
; NumVgprs: 118
; NumAgprs: 0
; TotalNumVgprs: 118
; ScratchSize: 0
; MemoryBound: 1
; FloatMode: 240
; IeeeMode: 1
; LDSByteSize: 9600 bytes/workgroup (compile time only)
; SGPRBlocks: 6
; VGPRBlocks: 14
; NumSGPRsForWavesPerEU: 50
; NumVGPRsForWavesPerEU: 118
; AccumOffset: 120
; Occupancy: 4
; WaveLimiterHint : 1
; COMPUTE_PGM_RSRC2:SCRATCH_EN: 0
; COMPUTE_PGM_RSRC2:USER_SGPR: 6
; COMPUTE_PGM_RSRC2:TRAP_HANDLER: 0
; COMPUTE_PGM_RSRC2:TGID_X_EN: 1
; COMPUTE_PGM_RSRC2:TGID_Y_EN: 0
; COMPUTE_PGM_RSRC2:TGID_Z_EN: 1
; COMPUTE_PGM_RSRC2:TIDIG_COMP_CNT: 1
; COMPUTE_PGM_RSRC3_GFX90A:ACCUM_OFFSET: 29
; COMPUTE_PGM_RSRC3_GFX90A:TG_SPLIT: 0
	.section	.text._ZL36rocblas_hemvn_kernel_lower_block_sumILi64Ei19rocblas_complex_numIfEPS1_S1_EviT1_lS3_lT2_lT0_lPT3_i,"axG",@progbits,_ZL36rocblas_hemvn_kernel_lower_block_sumILi64Ei19rocblas_complex_numIfEPS1_S1_EviT1_lS3_lT2_lT0_lPT3_i,comdat
	.globl	_ZL36rocblas_hemvn_kernel_lower_block_sumILi64Ei19rocblas_complex_numIfEPS1_S1_EviT1_lS3_lT2_lT0_lPT3_i ; -- Begin function _ZL36rocblas_hemvn_kernel_lower_block_sumILi64Ei19rocblas_complex_numIfEPS1_S1_EviT1_lS3_lT2_lT0_lPT3_i
	.p2align	8
	.type	_ZL36rocblas_hemvn_kernel_lower_block_sumILi64Ei19rocblas_complex_numIfEPS1_S1_EviT1_lS3_lT2_lT0_lPT3_i,@function
_ZL36rocblas_hemvn_kernel_lower_block_sumILi64Ei19rocblas_complex_numIfEPS1_S1_EviT1_lS3_lT2_lT0_lPT3_i: ; @_ZL36rocblas_hemvn_kernel_lower_block_sumILi64Ei19rocblas_complex_numIfEPS1_S1_EviT1_lS3_lT2_lT0_lPT3_i
; %bb.0:
	s_load_dwordx4 s[8:11], s[4:5], 0x0
	s_load_dwordx2 s[2:3], s[4:5], 0x18
	s_waitcnt lgkmcnt(0)
	s_or_b32 s0, s9, s10
	s_bitset0_b32 s0, 31
	s_mov_b32 s13, s10
	s_cmp_eq_u32 s0, 0
	v_cmp_eq_f32_e64 s[10:11], s2, 1.0
	v_cmp_eq_f32_e64 s[14:15], s3, 0
	s_cselect_b64 s[0:1], -1, 0
	s_and_b64 s[10:11], s[10:11], s[14:15]
	s_and_b64 s[10:11], s[0:1], s[10:11]
	s_and_b64 vcc, exec, s[10:11]
	s_cbranch_vccnz .LBB15_17
; %bb.1:
	s_load_dwordx2 s[10:11], s[4:5], 0x40
	s_load_dwordx4 s[20:23], s[4:5], 0x28
	s_load_dword s16, s[4:5], 0x38
	s_mov_b32 s12, s9
	v_lshl_or_b32 v4, s6, 6, v0
	s_waitcnt lgkmcnt(0)
	s_mul_i32 s9, s7, s11
	s_mul_hi_u32 s11, s7, s10
	s_mul_i32 s10, s7, s10
	s_add_i32 s11, s11, s9
	s_lshl_b64 s[10:11], s[10:11], 3
	s_add_u32 s9, s20, s10
	s_addc_u32 s15, s21, s11
	s_lshl_b64 s[10:11], s[22:23], 3
	s_add_u32 s14, s9, s10
	s_addc_u32 s15, s15, s11
	s_mov_b64 s[10:11], -1
	s_andn2_b64 vcc, exec, s[0:1]
	v_cmp_gt_i32_e64 s[0:1], s8, v4
	s_cbranch_vccnz .LBB15_7
; %bb.2:
	s_and_saveexec_b64 s[10:11], s[0:1]
	s_cbranch_execz .LBB15_6
; %bb.3:
	v_cmp_neq_f32_e64 s[0:1], s2, 0
	v_cmp_neq_f32_e64 s[18:19], s3, 0
	v_mul_lo_u32 v0, v4, s16
	v_ashrrev_i32_e32 v1, 31, v0
	s_or_b64 s[0:1], s[0:1], s[18:19]
	s_andn2_b64 vcc, exec, s[0:1]
	v_mov_b32_e32 v2, 0
	v_lshlrev_b64 v[0:1], 3, v[0:1]
	v_mov_b32_e32 v3, 0
	s_cbranch_vccnz .LBB15_5
; %bb.4:
	v_mov_b32_e32 v3, s15
	v_add_co_u32_e32 v2, vcc, s14, v0
	v_addc_co_u32_e32 v3, vcc, v3, v1, vcc
	global_load_dwordx2 v[6:7], v[2:3], off
	s_waitcnt vmcnt(0)
	v_pk_mul_f32 v[8:9], v[6:7], s[2:3] op_sel:[1,0]
	v_pk_fma_f32 v[2:3], v[6:7], s[2:3], v[8:9] op_sel:[0,0,1] op_sel_hi:[1,1,0] neg_lo:[0,0,1] neg_hi:[0,0,1]
	v_pk_fma_f32 v[6:7], v[6:7], s[2:3], v[8:9] op_sel:[0,0,1] op_sel_hi:[0,1,0]
	v_mov_b32_e32 v3, v7
.LBB15_5:
	v_mov_b32_e32 v5, s15
	v_add_co_u32_e32 v0, vcc, s14, v0
	v_addc_co_u32_e32 v1, vcc, v5, v1, vcc
	global_store_dwordx2 v[0:1], v[2:3], off
.LBB15_6:
	s_or_b64 exec, exec, s[10:11]
	s_mov_b64 s[10:11], 0
.LBB15_7:
	s_andn2_b64 vcc, exec, s[10:11]
	s_cbranch_vccnz .LBB15_17
; %bb.8:
	v_cmp_gt_i32_e32 vcc, s8, v4
	s_and_saveexec_b64 s[0:1], vcc
	s_cbranch_execz .LBB15_17
; %bb.9:
	s_load_dword s10, s[4:5], 0x58
	v_mov_b32_e32 v1, 0
	v_mov_b32_e32 v0, v1
	s_waitcnt lgkmcnt(0)
	s_cmp_ge_i32 s6, s10
	s_cbranch_scc1 .LBB15_12
; %bb.10:
	s_load_dwordx2 s[0:1], s[4:5], 0x48
	s_ashr_i32 s9, s8, 31
	s_mul_i32 s4, s6, s8
	v_add_u32_e32 v0, s4, v4
	s_mul_hi_u32 s4, s8, s7
	s_mul_i32 s5, s9, s7
	s_add_i32 s4, s4, s5
	s_mul_i32 s7, s8, s7
	s_mul_i32 s4, s4, s10
	s_mul_hi_u32 s5, s7, s10
	s_add_i32 s5, s5, s4
	s_mul_i32 s4, s7, s10
	s_lshl_b64 s[4:5], s[4:5], 3
	v_ashrrev_i32_e32 v1, 31, v0
	s_waitcnt lgkmcnt(0)
	s_add_u32 s0, s0, s4
	v_lshlrev_b64 v[0:1], 3, v[0:1]
	s_addc_u32 s1, s1, s5
	v_mov_b32_e32 v3, s1
	v_add_co_u32_e32 v2, vcc, s0, v0
	s_lshl_b64 s[0:1], s[8:9], 3
	v_mov_b32_e32 v0, 0
	v_addc_co_u32_e32 v3, vcc, v3, v1, vcc
	v_mov_b32_e32 v5, s1
	v_mov_b32_e32 v1, v0
.LBB15_11:                              ; =>This Inner Loop Header: Depth=1
	global_load_dwordx2 v[6:7], v[2:3], off
	s_add_i32 s6, s6, 1
	v_add_co_u32_e32 v2, vcc, s0, v2
	v_addc_co_u32_e32 v3, vcc, v3, v5, vcc
	s_cmp_ge_i32 s6, s10
	s_waitcnt vmcnt(0)
	v_pk_add_f32 v[0:1], v[0:1], v[6:7]
	s_cbranch_scc0 .LBB15_11
.LBB15_12:
	v_cmp_neq_f32_e64 s[0:1], s2, 0
	v_cmp_neq_f32_e64 s[4:5], s3, 0
	s_or_b64 s[0:1], s[0:1], s[4:5]
	v_pk_mul_f32 v[6:7], v[0:1], s[12:13] op_sel:[1,0]
	v_mul_lo_u32 v4, v4, s16
	s_andn2_b64 vcc, exec, s[0:1]
	v_pk_fma_f32 v[2:3], v[0:1], s[12:13], v[6:7] op_sel:[0,0,1] op_sel_hi:[0,1,0]
	v_ashrrev_i32_e32 v5, 31, v4
	s_cbranch_vccz .LBB15_14
; %bb.13:
	v_pk_mul_f32 v[8:9], v[0:1], s[12:13] op_sel_hi:[0,1]
	v_sub_f32_e32 v2, v8, v7
	s_cbranch_execz .LBB15_15
	s_branch .LBB15_16
.LBB15_14:
.LBB15_15:
	v_lshlrev_b64 v[8:9], 3, v[4:5]
	v_mov_b32_e32 v2, s15
	v_add_co_u32_e32 v8, vcc, s14, v8
	v_addc_co_u32_e32 v9, vcc, v2, v9, vcc
	global_load_dwordx2 v[8:9], v[8:9], off
	v_pk_fma_f32 v[0:1], v[0:1], s[12:13], v[6:7] op_sel:[0,0,1] op_sel_hi:[1,1,0] neg_lo:[0,0,1] neg_hi:[0,0,1]
	v_mov_b32_e32 v1, v3
	s_waitcnt vmcnt(0)
	v_pk_mul_f32 v[6:7], v[8:9], s[2:3] op_sel:[1,0]
	v_pk_fma_f32 v[10:11], v[8:9], s[2:3], v[6:7] op_sel:[0,0,1] op_sel_hi:[1,1,0] neg_lo:[0,0,1] neg_hi:[0,0,1]
	v_pk_fma_f32 v[6:7], v[8:9], s[2:3], v[6:7] op_sel:[0,0,1] op_sel_hi:[0,1,0]
	v_mov_b32_e32 v11, v7
	v_pk_add_f32 v[2:3], v[0:1], v[10:11]
.LBB15_16:
	v_lshlrev_b64 v[0:1], 3, v[4:5]
	v_mov_b32_e32 v4, s15
	v_add_co_u32_e32 v0, vcc, s14, v0
	v_addc_co_u32_e32 v1, vcc, v4, v1, vcc
	global_store_dwordx2 v[0:1], v[2:3], off
.LBB15_17:
	s_endpgm
	.section	.rodata,"a",@progbits
	.p2align	6, 0x0
	.amdhsa_kernel _ZL36rocblas_hemvn_kernel_lower_block_sumILi64Ei19rocblas_complex_numIfEPS1_S1_EviT1_lS3_lT2_lT0_lPT3_i
		.amdhsa_group_segment_fixed_size 0
		.amdhsa_private_segment_fixed_size 0
		.amdhsa_kernarg_size 344
		.amdhsa_user_sgpr_count 6
		.amdhsa_user_sgpr_private_segment_buffer 1
		.amdhsa_user_sgpr_dispatch_ptr 0
		.amdhsa_user_sgpr_queue_ptr 0
		.amdhsa_user_sgpr_kernarg_segment_ptr 1
		.amdhsa_user_sgpr_dispatch_id 0
		.amdhsa_user_sgpr_flat_scratch_init 0
		.amdhsa_user_sgpr_kernarg_preload_length 0
		.amdhsa_user_sgpr_kernarg_preload_offset 0
		.amdhsa_user_sgpr_private_segment_size 0
		.amdhsa_uses_dynamic_stack 0
		.amdhsa_system_sgpr_private_segment_wavefront_offset 0
		.amdhsa_system_sgpr_workgroup_id_x 1
		.amdhsa_system_sgpr_workgroup_id_y 0
		.amdhsa_system_sgpr_workgroup_id_z 1
		.amdhsa_system_sgpr_workgroup_info 0
		.amdhsa_system_vgpr_workitem_id 0
		.amdhsa_next_free_vgpr 12
		.amdhsa_next_free_sgpr 24
		.amdhsa_accum_offset 12
		.amdhsa_reserve_vcc 1
		.amdhsa_reserve_flat_scratch 0
		.amdhsa_float_round_mode_32 0
		.amdhsa_float_round_mode_16_64 0
		.amdhsa_float_denorm_mode_32 3
		.amdhsa_float_denorm_mode_16_64 3
		.amdhsa_dx10_clamp 1
		.amdhsa_ieee_mode 1
		.amdhsa_fp16_overflow 0
		.amdhsa_tg_split 0
		.amdhsa_exception_fp_ieee_invalid_op 0
		.amdhsa_exception_fp_denorm_src 0
		.amdhsa_exception_fp_ieee_div_zero 0
		.amdhsa_exception_fp_ieee_overflow 0
		.amdhsa_exception_fp_ieee_underflow 0
		.amdhsa_exception_fp_ieee_inexact 0
		.amdhsa_exception_int_div_zero 0
	.end_amdhsa_kernel
	.section	.text._ZL36rocblas_hemvn_kernel_lower_block_sumILi64Ei19rocblas_complex_numIfEPS1_S1_EviT1_lS3_lT2_lT0_lPT3_i,"axG",@progbits,_ZL36rocblas_hemvn_kernel_lower_block_sumILi64Ei19rocblas_complex_numIfEPS1_S1_EviT1_lS3_lT2_lT0_lPT3_i,comdat
.Lfunc_end15:
	.size	_ZL36rocblas_hemvn_kernel_lower_block_sumILi64Ei19rocblas_complex_numIfEPS1_S1_EviT1_lS3_lT2_lT0_lPT3_i, .Lfunc_end15-_ZL36rocblas_hemvn_kernel_lower_block_sumILi64Ei19rocblas_complex_numIfEPS1_S1_EviT1_lS3_lT2_lT0_lPT3_i
                                        ; -- End function
	.section	.AMDGPU.csdata,"",@progbits
; Kernel info:
; codeLenInByte = 700
; NumSgprs: 28
; NumVgprs: 12
; NumAgprs: 0
; TotalNumVgprs: 12
; ScratchSize: 0
; MemoryBound: 0
; FloatMode: 240
; IeeeMode: 1
; LDSByteSize: 0 bytes/workgroup (compile time only)
; SGPRBlocks: 3
; VGPRBlocks: 1
; NumSGPRsForWavesPerEU: 28
; NumVGPRsForWavesPerEU: 12
; AccumOffset: 12
; Occupancy: 8
; WaveLimiterHint : 0
; COMPUTE_PGM_RSRC2:SCRATCH_EN: 0
; COMPUTE_PGM_RSRC2:USER_SGPR: 6
; COMPUTE_PGM_RSRC2:TRAP_HANDLER: 0
; COMPUTE_PGM_RSRC2:TGID_X_EN: 1
; COMPUTE_PGM_RSRC2:TGID_Y_EN: 0
; COMPUTE_PGM_RSRC2:TGID_Z_EN: 1
; COMPUTE_PGM_RSRC2:TIDIG_COMP_CNT: 0
; COMPUTE_PGM_RSRC3_GFX90A:ACCUM_OFFSET: 2
; COMPUTE_PGM_RSRC3_GFX90A:TG_SPLIT: 0
	.section	.text._ZL26rocblas_hemvn_kernel_upperILb1ELi64ELi4ELi33ELi32ELi16ElPK19rocblas_complex_numIdES3_PS1_EviT6_lT7_lT5_lS6_lS7_lS5_lT8_i,"axG",@progbits,_ZL26rocblas_hemvn_kernel_upperILb1ELi64ELi4ELi33ELi32ELi16ElPK19rocblas_complex_numIdES3_PS1_EviT6_lT7_lT5_lS6_lS7_lS5_lT8_i,comdat
	.globl	_ZL26rocblas_hemvn_kernel_upperILb1ELi64ELi4ELi33ELi32ELi16ElPK19rocblas_complex_numIdES3_PS1_EviT6_lT7_lT5_lS6_lS7_lS5_lT8_i ; -- Begin function _ZL26rocblas_hemvn_kernel_upperILb1ELi64ELi4ELi33ELi32ELi16ElPK19rocblas_complex_numIdES3_PS1_EviT6_lT7_lT5_lS6_lS7_lS5_lT8_i
	.p2align	8
	.type	_ZL26rocblas_hemvn_kernel_upperILb1ELi64ELi4ELi33ELi32ELi16ElPK19rocblas_complex_numIdES3_PS1_EviT6_lT7_lT5_lS6_lS7_lS5_lT8_i,@function
_ZL26rocblas_hemvn_kernel_upperILb1ELi64ELi4ELi33ELi32ELi16ElPK19rocblas_complex_numIdES3_PS1_EviT6_lT7_lT5_lS6_lS7_lS5_lT8_i: ; @_ZL26rocblas_hemvn_kernel_upperILb1ELi64ELi4ELi33ELi32ELi16ElPK19rocblas_complex_numIdES3_PS1_EviT6_lT7_lT5_lS6_lS7_lS5_lT8_i
; %bb.0:
	s_load_dwordx2 s[2:3], s[4:5], 0x84
	s_add_u32 s0, s4, 0x78
	s_addc_u32 s1, s5, 0
	s_waitcnt lgkmcnt(0)
	s_lshr_b32 s8, s2, 16
	s_and_b32 s2, s2, 0xffff
	s_and_b32 s3, s3, 0xffff
	s_mul_i32 s2, s8, s2
	s_mul_i32 s2, s2, s3
	s_cmpk_lg_i32 s2, 0x100
	s_cbranch_scc1 .LBB16_186
; %bb.1:
	s_load_dwordx16 s[8:23], s[4:5], 0x8
	s_waitcnt lgkmcnt(0)
	s_mul_i32 s3, s7, s11
	s_mul_hi_u32 s11, s7, s10
	s_mul_i32 s2, s7, s10
	s_add_i32 s3, s11, s3
	s_lshl_b64 s[2:3], s[2:3], 4
	s_add_u32 s2, s8, s2
	s_addc_u32 s3, s9, s3
	s_load_dwordx4 s[8:11], s[2:3], 0x0
	s_load_dwordx2 s[34:35], s[4:5], 0x68
	s_load_dwordx8 s[24:31], s[4:5], 0x48
	s_waitcnt lgkmcnt(0)
	v_cmp_neq_f64_e64 s[2:3], s[8:9], 0
	v_cmp_neq_f64_e64 s[8:9], s[10:11], 0
	s_or_b64 s[2:3], s[2:3], s[8:9]
	s_mov_b64 s[8:9], -1
	s_and_b64 vcc, exec, s[2:3]
	s_cbranch_vccnz .LBB16_3
; %bb.2:
	s_mul_i32 s8, s7, s31
	s_mul_hi_u32 s9, s7, s30
	s_add_i32 s9, s9, s8
	s_mul_i32 s8, s7, s30
	s_lshl_b64 s[8:9], s[8:9], 4
	s_add_u32 s8, s28, s8
	s_addc_u32 s9, s29, s9
	s_load_dwordx4 s[8:11], s[8:9], 0x0
	s_waitcnt lgkmcnt(0)
	v_cmp_neq_f64_e64 s[8:9], s[8:9], 1.0
	v_cmp_neq_f64_e64 s[10:11], s[10:11], 0
	s_or_b64 s[8:9], s[8:9], s[10:11]
.LBB16_3:
	s_andn2_b64 vcc, exec, s[8:9]
	s_cbranch_vccnz .LBB16_186
; %bb.4:
	s_andn2_b64 vcc, exec, s[2:3]
	s_cbranch_vccnz .LBB16_186
; %bb.5:
	s_load_dword s33, s[0:1], 0x0
	s_load_dword s37, s[4:5], 0x0
	s_mul_i32 s0, s7, s27
	s_mul_hi_u32 s1, s7, s26
	s_add_i32 s1, s1, s0
	s_mul_i32 s0, s7, s26
	s_lshl_b64 s[0:1], s[0:1], 4
	s_add_u32 s2, s20, s0
	s_addc_u32 s3, s21, s1
	s_lshl_b64 s[0:1], s[22:23], 4
	s_add_u32 s2, s2, s0
	s_addc_u32 s3, s3, s1
	s_waitcnt lgkmcnt(0)
	s_ashr_i32 s38, s37, 31
	s_lshr_b32 s1, s38, 26
	v_and_b32_e32 v201, 0x3ff, v0
	s_lshl_b32 s22, s6, 6
	s_add_i32 s1, s37, s1
	s_andn2_b32 s1, s1, 63
	v_add_u32_e32 v166, s22, v201
	s_add_i32 s0, s33, -1
	s_sub_i32 s36, s37, s1
	v_ashrrev_i32_e32 v167, 31, v166
	v_bfe_u32 v202, v0, 10, 10
	s_cmp_eq_u32 s6, s0
	v_mul_lo_u32 v2, v167, s24
	v_mul_lo_u32 v3, v166, s25
	v_mad_u64_u32 v[0:1], s[0:1], v166, s24, 0
	v_add3_u32 v1, v1, v3, v2
	v_lshlrev_b64 v[0:1], 4, v[0:1]
	v_mov_b32_e32 v2, s3
	v_add_co_u32_e32 v38, vcc, s2, v0
	s_cselect_b32 s20, s36, 0
	v_addc_co_u32_e32 v39, vcc, v2, v1, vcc
	v_cmp_eq_u32_e64 s[0:1], 0, v202
	s_and_saveexec_b64 s[2:3], s[0:1]
	s_cbranch_execz .LBB16_10
; %bb.6:
	s_cmp_lg_u32 s20, 0
	s_cselect_b64 s[4:5], -1, 0
	v_cmp_le_i32_e32 vcc, s20, v201
	v_mov_b32_e32 v0, 0x4700
	s_and_b64 s[4:5], s[4:5], vcc
	v_lshl_add_u32 v0, v201, 4, v0
	s_and_saveexec_b64 s[8:9], s[4:5]
	s_xor_b64 s[4:5], exec, s[8:9]
	s_cbranch_execz .LBB16_8
; %bb.7:
	v_mov_b32_e32 v2, 0
	v_mov_b32_e32 v3, v2
	;; [unrolled: 1-line block ×4, first 2 shown]
	ds_write_b128 v0, v[2:5]
                                        ; implicit-def: $vgpr0
.LBB16_8:
	s_andn2_saveexec_b64 s[4:5], s[4:5]
	s_cbranch_execz .LBB16_10
; %bb.9:
	global_load_dwordx4 v[2:5], v[38:39], off
	s_waitcnt vmcnt(0)
	ds_write2_b64 v0, v[2:3], v[4:5] offset1:1
.LBB16_10:
	s_or_b64 exec, exec, s[2:3]
	s_mul_i32 s2, s7, s19
	s_mul_hi_u32 s3, s7, s18
	s_add_i32 s3, s3, s2
	s_mul_i32 s2, s7, s18
	s_lshl_b64 s[2:3], s[2:3], 4
	s_add_u32 s4, s12, s2
	s_addc_u32 s5, s13, s3
	s_lshl_b64 s[2:3], s[14:15], 4
	s_add_u32 s4, s4, s2
	s_addc_u32 s5, s5, s3
	s_ashr_i32 s23, s22, 31
	v_lshl_add_u32 v42, v202, 6, v201
	s_lshl_b64 s[2:3], s[22:23], 4
	v_and_b32_e32 v4, 31, v201
	v_lshrrev_b32_e32 v12, 5, v42
	s_add_u32 s4, s4, s2
	v_mov_b32_e32 v5, 0
	s_addc_u32 s5, s5, s3
	v_mad_u64_u32 v[0:1], s[2:3], v12, s16, v[4:5]
	v_mov_b32_e32 v2, v1
	v_mad_u64_u32 v[2:3], s[2:3], v12, s17, v[2:3]
	s_mul_i32 s2, s22, s17
	s_mul_hi_u32 s3, s22, s16
	s_add_i32 s2, s3, s2
	s_mul_i32 s3, s23, s16
	s_add_i32 s3, s2, s3
	s_mul_i32 s2, s22, s16
	s_lshl_b64 s[2:3], s[2:3], 4
	s_add_u32 s2, s2, s4
	v_mov_b32_e32 v1, v2
	s_addc_u32 s3, s3, s5
	v_lshlrev_b64 v[36:37], 4, v[0:1]
	s_cmp_eq_u32 s20, 0
	v_mov_b32_e32 v1, s3
	v_add_co_u32_e32 v0, vcc, s2, v36
	s_cselect_b64 s[18:19], -1, 0
	s_cmp_lg_u32 s20, 0
	v_addc_co_u32_e32 v1, vcc, v1, v37, vcc
	s_cselect_b64 s[26:27], -1, 0
	s_and_b64 vcc, exec, s[26:27]
	v_cmp_gt_i32_e64 s[2:3], s20, v4
	v_lshlrev_b32_e32 v13, 4, v4
	v_mul_u32_u24_e32 v5, 33, v12
	s_mul_i32 s39, s17, 0x180
	s_cbranch_vccz .LBB16_28
; %bb.11:
	v_sub_co_u32_e32 v2, vcc, v0, v13
	s_ashr_i32 s21, s20, 31
	v_subbrev_co_u32_e32 v3, vcc, 0, v1, vcc
	s_lshl_b64 s[4:5], s[20:21], 4
	v_mov_b32_e32 v6, s5
	v_add_co_u32_e32 v2, vcc, s4, v2
	v_addc_co_u32_e32 v3, vcc, v3, v6, vcc
	v_add_co_u32_e32 v2, vcc, -16, v2
	v_addc_co_u32_e32 v3, vcc, -1, v3, vcc
	v_cndmask_b32_e64 v3, v3, v1, s[2:3]
	v_cndmask_b32_e64 v2, v2, v0, s[2:3]
	v_cmp_le_i32_e32 vcc, s20, v12
	v_add_lshl_u32 v6, v5, v4, 4
	s_and_saveexec_b64 s[8:9], vcc
	s_xor_b64 s[8:9], exec, s[8:9]
	s_cbranch_execz .LBB16_13
; %bb.12:
	v_mov_b32_e32 v8, 0
	v_mov_b32_e32 v9, v8
	;; [unrolled: 1-line block ×4, first 2 shown]
	ds_write_b128 v6, v[8:11]
.LBB16_13:
	s_andn2_saveexec_b64 s[8:9], s[8:9]
	s_cbranch_execz .LBB16_15
; %bb.14:
	global_load_dwordx4 v[8:11], v[2:3], off
	s_waitcnt vmcnt(0)
	ds_write2_b64 v6, v[8:9], v[10:11] offset1:1
.LBB16_15:
	s_or_b64 exec, exec, s[8:9]
	v_add_u32_e32 v7, 8, v12
	v_cmp_le_i32_e32 vcc, s20, v7
	s_and_saveexec_b64 s[8:9], vcc
	s_xor_b64 s[8:9], exec, s[8:9]
	s_cbranch_execz .LBB16_17
; %bb.16:
	v_mul_u32_u24_e32 v7, 33, v7
	v_mov_b32_e32 v8, 0
	v_add_lshl_u32 v7, v7, v4, 4
	v_mov_b32_e32 v9, v8
	v_mov_b32_e32 v10, v8
	;; [unrolled: 1-line block ×3, first 2 shown]
	ds_write_b128 v7, v[8:11]
.LBB16_17:
	s_andn2_saveexec_b64 s[8:9], s[8:9]
	s_cbranch_execz .LBB16_19
; %bb.18:
	s_lshl_b64 s[10:11], s[16:17], 7
	v_mov_b32_e32 v7, s11
	v_add_co_u32_e32 v8, vcc, s10, v2
	v_addc_co_u32_e32 v9, vcc, v3, v7, vcc
	global_load_dwordx4 v[8:11], v[8:9], off
	v_add_u32_e32 v7, 0x1080, v6
	s_waitcnt vmcnt(0)
	ds_write2_b64 v7, v[8:9], v[10:11] offset1:1
.LBB16_19:
	s_or_b64 exec, exec, s[8:9]
	v_add_u32_e32 v7, 16, v12
	v_cmp_le_i32_e32 vcc, s20, v7
	s_and_saveexec_b64 s[8:9], vcc
	s_xor_b64 s[8:9], exec, s[8:9]
	s_cbranch_execz .LBB16_21
; %bb.20:
	v_mov_b32_e32 v8, 0
	v_mov_b32_e32 v9, v8
	;; [unrolled: 1-line block ×4, first 2 shown]
	ds_write_b128 v6, v[8:11] offset:8448
.LBB16_21:
	s_andn2_saveexec_b64 s[8:9], s[8:9]
	s_cbranch_execz .LBB16_23
; %bb.22:
	s_lshl_b64 s[10:11], s[16:17], 8
	v_mov_b32_e32 v7, s11
	v_add_co_u32_e32 v8, vcc, s10, v2
	v_addc_co_u32_e32 v9, vcc, v3, v7, vcc
	global_load_dwordx4 v[8:11], v[8:9], off
	v_add_u32_e32 v7, 0x2100, v6
	s_waitcnt vmcnt(0)
	ds_write2_b64 v7, v[8:9], v[10:11] offset1:1
.LBB16_23:
	s_or_b64 exec, exec, s[8:9]
	v_add_u32_e32 v7, 24, v12
	v_cmp_le_i32_e32 vcc, s20, v7
	s_and_saveexec_b64 s[8:9], vcc
	s_xor_b64 s[8:9], exec, s[8:9]
	s_cbranch_execz .LBB16_25
; %bb.24:
	v_mov_b32_e32 v8, 0
	v_mov_b32_e32 v9, v8
	;; [unrolled: 1-line block ×4, first 2 shown]
	ds_write_b128 v6, v[8:11] offset:12672
                                        ; implicit-def: $vgpr6
.LBB16_25:
	s_andn2_saveexec_b64 s[8:9], s[8:9]
	s_cbranch_execz .LBB16_27
; %bb.26:
	v_mov_b32_e32 v7, 0x180
	v_mad_u64_u32 v[8:9], s[10:11], s16, v7, v[2:3]
	v_add_u32_e32 v9, s39, v9
	global_load_dwordx4 v[8:11], v[8:9], off
	v_add_u32_e32 v6, 0x3180, v6
	s_waitcnt vmcnt(0)
	ds_write2_b64 v6, v[8:9], v[10:11] offset1:1
.LBB16_27:
	s_or_b64 exec, exec, s[8:9]
	v_add_co_u32_e32 v2, vcc, v2, v13
	v_addc_co_u32_e32 v3, vcc, 0, v3, vcc
	v_mov_b32_e32 v6, s5
	v_subrev_co_u32_e32 v2, vcc, s4, v2
	v_subb_co_u32_e32 v3, vcc, v3, v6, vcc
	v_add_co_u32_e32 v2, vcc, 16, v2
	v_addc_co_u32_e32 v3, vcc, 0, v3, vcc
	v_cndmask_b32_e64 v7, v3, v1, s[2:3]
	v_cndmask_b32_e64 v6, v2, v0, s[2:3]
	s_branch .LBB16_30
.LBB16_28:
                                        ; implicit-def: $vgpr6_vgpr7
	s_cbranch_execz .LBB16_30
; %bb.29:
	s_lshl_b64 s[2:3], s[16:17], 7
	v_mov_b32_e32 v10, s3
	v_add_co_u32_e32 v2, vcc, s2, v0
	v_addc_co_u32_e32 v3, vcc, v1, v10, vcc
	global_load_dwordx4 v[6:9], v[0:1], off
	global_load_dwordx4 v[14:17], v[2:3], off
	v_add_co_u32_e32 v2, vcc, s2, v2
	v_addc_co_u32_e32 v3, vcc, v3, v10, vcc
	v_mov_b32_e32 v10, 0x180
	v_mad_u64_u32 v[10:11], s[2:3], s16, v10, v[0:1]
	v_add_u32_e32 v11, s39, v11
	global_load_dwordx4 v[18:21], v[10:11], off
	global_load_dwordx4 v[22:25], v[2:3], off
	v_add_lshl_u32 v2, v5, v4, 4
	v_add_u32_e32 v3, 0x1080, v2
	v_add_u32_e32 v10, 0x2100, v2
	;; [unrolled: 1-line block ×3, first 2 shown]
	s_waitcnt vmcnt(3)
	ds_write2_b64 v2, v[6:7], v[8:9] offset1:1
	s_waitcnt vmcnt(2)
	ds_write2_b64 v3, v[14:15], v[16:17] offset1:1
	;; [unrolled: 2-line block ×4, first 2 shown]
	v_pk_mov_b32 v[6:7], v[0:1], v[0:1] op_sel:[0,1]
.LBB16_30:
	v_lshlrev_b32_e32 v18, 2, v12
	v_cmp_le_u32_e64 s[4:5], v18, v4
	s_waitcnt lgkmcnt(0)
	s_barrier
	s_and_saveexec_b64 s[2:3], s[4:5]
	s_xor_b64 s[2:3], exec, s[2:3]
	s_cbranch_execz .LBB16_34
; %bb.31:
	v_cmp_eq_u32_e32 vcc, v18, v4
	s_and_saveexec_b64 s[8:9], vcc
	s_cbranch_execz .LBB16_33
; %bb.32:
	v_mul_u32_u24_e32 v0, 34, v4
	v_lshlrev_b32_e32 v2, 4, v0
	v_mov_b32_e32 v0, 0
	v_mov_b32_e32 v1, v0
	ds_write_b64 v2, v[0:1] offset:8
.LBB16_33:
	s_or_b64 exec, exec, s[8:9]
.LBB16_34:
	s_or_saveexec_b64 s[2:3], s[2:3]
	v_mul_u32_u24_e32 v14, 33, v4
	v_add_lshl_u32 v15, v18, v14, 4
	s_xor_b64 exec, exec, s[2:3]
	s_cbranch_execz .LBB16_36
; %bb.35:
	v_mul_u32_u24_e32 v0, 0x84, v12
	v_add_lshl_u32 v0, v0, v4, 4
	ds_read_b128 v[0:3], v0
	s_waitcnt lgkmcnt(0)
	v_xor_b32_e32 v3, 0x80000000, v3
	ds_write_b128 v15, v[0:3]
.LBB16_36:
	s_or_b64 exec, exec, s[2:3]
	v_or_b32_e32 v17, 1, v18
	v_cmp_ge_u32_e64 s[14:15], v18, v4
	v_mul_u32_u24_e32 v0, 33, v17
	s_and_saveexec_b64 s[2:3], s[14:15]
	s_xor_b64 s[2:3], exec, s[2:3]
	s_cbranch_execz .LBB16_38
; %bb.37:
	v_add_lshl_u32 v1, v0, v4, 4
	ds_read_b128 v[8:11], v1
	s_waitcnt lgkmcnt(0)
	v_xor_b32_e32 v11, 0x80000000, v11
	ds_write_b128 v15, v[8:11] offset:16
.LBB16_38:
	s_andn2_saveexec_b64 s[2:3], s[2:3]
	s_cbranch_execz .LBB16_42
; %bb.39:
	v_cmp_eq_u32_e32 vcc, v17, v4
	s_and_saveexec_b64 s[8:9], vcc
	s_cbranch_execz .LBB16_41
; %bb.40:
	v_mul_u32_u24_e32 v1, 34, v4
	v_mov_b32_e32 v2, 0
	v_lshlrev_b32_e32 v1, 4, v1
	v_mov_b32_e32 v3, v2
	ds_write_b64 v1, v[2:3] offset:8
.LBB16_41:
	s_or_b64 exec, exec, s[8:9]
.LBB16_42:
	s_or_b64 exec, exec, s[2:3]
	v_or_b32_e32 v19, 2, v18
	v_cmp_le_u32_e64 s[8:9], v19, v4
	s_and_saveexec_b64 s[2:3], s[8:9]
	s_xor_b64 s[2:3], exec, s[2:3]
	s_cbranch_execz .LBB16_46
; %bb.43:
	v_cmp_eq_u32_e32 vcc, v19, v4
	s_and_saveexec_b64 s[10:11], vcc
	s_cbranch_execz .LBB16_45
; %bb.44:
	v_mul_u32_u24_e32 v1, 34, v4
	v_mov_b32_e32 v2, 0
	v_lshlrev_b32_e32 v1, 4, v1
	v_mov_b32_e32 v3, v2
	ds_write_b64 v1, v[2:3] offset:8
.LBB16_45:
	s_or_b64 exec, exec, s[10:11]
.LBB16_46:
	s_andn2_saveexec_b64 s[2:3], s[2:3]
	s_cbranch_execz .LBB16_48
; %bb.47:
	v_mul_u32_u24_e32 v1, 33, v19
	v_add_lshl_u32 v1, v1, v4, 4
	ds_read_b128 v[8:11], v1
	s_waitcnt lgkmcnt(0)
	v_xor_b32_e32 v11, 0x80000000, v11
	ds_write_b128 v15, v[8:11] offset:32
.LBB16_48:
	s_or_b64 exec, exec, s[2:3]
	v_or_b32_e32 v20, 3, v18
	v_cmp_le_u32_e64 s[10:11], v20, v4
	s_and_saveexec_b64 s[2:3], s[10:11]
	s_xor_b64 s[2:3], exec, s[2:3]
	s_cbranch_execz .LBB16_52
; %bb.49:
	v_cmp_eq_u32_e32 vcc, v20, v4
	s_and_saveexec_b64 s[12:13], vcc
	s_cbranch_execz .LBB16_51
; %bb.50:
	v_mul_u32_u24_e32 v1, 34, v4
	v_mov_b32_e32 v2, 0
	v_lshlrev_b32_e32 v1, 4, v1
	v_mov_b32_e32 v3, v2
	ds_write_b64 v1, v[2:3] offset:8
.LBB16_51:
	s_or_b64 exec, exec, s[12:13]
.LBB16_52:
	s_andn2_saveexec_b64 s[2:3], s[2:3]
	s_cbranch_execz .LBB16_54
; %bb.53:
	v_mul_u32_u24_e32 v1, 33, v20
	v_add_lshl_u32 v1, v1, v4, 4
	ds_read_b128 v[8:11], v1
	s_waitcnt lgkmcnt(0)
	v_xor_b32_e32 v11, 0x80000000, v11
	ds_write_b128 v15, v[8:11] offset:48
.LBB16_54:
	s_or_b64 exec, exec, s[2:3]
	v_mul_u32_u24_e32 v1, 0x84, v12
	v_lshlrev_b32_e32 v21, 4, v18
	s_waitcnt lgkmcnt(0)
	s_barrier
	v_add_lshl_u32 v16, v1, v4, 4
	ds_read_b128 v[8:11], v21 offset:18176
	ds_read_b128 v[22:25], v21 offset:18192
	ds_read_b128 v[26:29], v16
	ds_read_b128 v[30:33], v21 offset:18208
	ds_read_b128 v[46:49], v21 offset:18224
	v_add_lshl_u32 v45, v0, v4, 4
	ds_read_b128 v[0:3], v45
	s_waitcnt lgkmcnt(3)
	v_mul_f64 v[34:35], v[10:11], v[28:29]
	v_fma_f64 v[34:35], v[8:9], v[26:27], -v[34:35]
	v_mul_f64 v[8:9], v[8:9], v[28:29]
	v_fmac_f64_e32 v[8:9], v[10:11], v[26:27]
	v_add_f64 v[28:29], v[8:9], 0
	s_waitcnt lgkmcnt(0)
	v_mul_f64 v[8:9], v[24:25], v[2:3]
	v_add_f64 v[26:27], v[34:35], 0
	v_fma_f64 v[34:35], v[22:23], v[0:1], -v[8:9]
	v_mul_f64 v[2:3], v[22:23], v[2:3]
	ds_read_b128 v[8:11], v45 offset:528
	v_fmac_f64_e32 v[2:3], v[24:25], v[0:1]
	v_add_f64 v[24:25], v[28:29], v[2:3]
	ds_read_b128 v[0:3], v45 offset:1056
	v_add_f64 v[22:23], v[26:27], v[34:35]
	s_waitcnt lgkmcnt(1)
	v_mul_f64 v[26:27], v[32:33], v[10:11]
	v_fma_f64 v[26:27], v[30:31], v[8:9], -v[26:27]
	v_mul_f64 v[10:11], v[30:31], v[10:11]
	v_fmac_f64_e32 v[10:11], v[32:33], v[8:9]
	v_add_f64 v[8:9], v[22:23], v[26:27]
	s_waitcnt lgkmcnt(0)
	v_mul_f64 v[22:23], v[48:49], v[2:3]
	v_mul_f64 v[2:3], v[46:47], v[2:3]
	v_add_f64 v[10:11], v[24:25], v[10:11]
	v_fma_f64 v[22:23], v[46:47], v[0:1], -v[22:23]
	v_fmac_f64_e32 v[2:3], v[48:49], v[0:1]
	v_add_f64 v[0:1], v[8:9], v[22:23]
	v_add_f64 v[2:3], v[10:11], v[2:3]
	v_add_lshl_u32 v44, v12, v14, 4
	s_barrier
	ds_write_b128 v44, v[0:3]
	v_pk_mov_b32 v[0:1], 0, 0
	v_cmp_gt_u32_e64 s[2:3], 32, v42
	v_lshlrev_b32_e32 v43, 4, v14
	v_pk_mov_b32 v[2:3], v[0:1], v[0:1] op_sel:[0,1]
	s_waitcnt lgkmcnt(0)
	s_barrier
	s_and_saveexec_b64 s[12:13], s[2:3]
	s_cbranch_execz .LBB16_56
; %bb.55:
	ds_read_b128 v[0:3], v43
	ds_read_b128 v[8:11], v43 offset:16
	ds_read_b128 v[22:25], v43 offset:32
	;; [unrolled: 1-line block ×3, first 2 shown]
	s_waitcnt lgkmcnt(2)
	v_add_f64 v[0:1], v[8:9], v[0:1]
	v_add_f64 v[8:9], v[10:11], v[2:3]
	s_waitcnt lgkmcnt(1)
	v_add_f64 v[10:11], v[0:1], v[22:23]
	ds_read_b128 v[0:3], v43 offset:64
	v_add_f64 v[8:9], v[8:9], v[24:25]
	s_waitcnt lgkmcnt(1)
	v_add_f64 v[22:23], v[10:11], v[26:27]
	v_add_f64 v[26:27], v[8:9], v[28:29]
	ds_read_b128 v[8:11], v43 offset:80
	s_waitcnt lgkmcnt(1)
	v_add_f64 v[28:29], v[22:23], v[0:1]
	ds_read_b128 v[22:25], v43 offset:96
	v_add_f64 v[26:27], v[26:27], v[2:3]
	ds_read_b128 v[0:3], v43 offset:112
	s_waitcnt lgkmcnt(2)
	v_add_f64 v[8:9], v[28:29], v[8:9]
	v_add_f64 v[10:11], v[26:27], v[10:11]
	s_waitcnt lgkmcnt(1)
	v_add_f64 v[8:9], v[8:9], v[22:23]
	v_add_f64 v[10:11], v[10:11], v[24:25]
	;; [unrolled: 3-line block ×3, first 2 shown]
.LBB16_56:
	s_or_b64 exec, exec, s[12:13]
	s_lshl_b64 s[12:13], s[16:17], 9
	v_mov_b32_e32 v8, s13
	v_add_co_u32_e32 v10, vcc, s12, v6
	v_addc_co_u32_e32 v11, vcc, v7, v8, vcc
	v_add_co_u32_e32 v8, vcc, 0x200, v10
	v_addc_co_u32_e32 v9, vcc, 0, v11, vcc
	s_and_b64 vcc, exec, s[26:27]
	s_barrier
	s_cbranch_vccz .LBB16_74
; %bb.57:
	v_sub_co_u32_e32 v7, vcc, v8, v13
	s_ashr_i32 s21, s20, 31
	v_subbrev_co_u32_e32 v22, vcc, 0, v9, vcc
	s_lshl_b64 s[28:29], s[20:21], 4
	v_mov_b32_e32 v23, s29
	v_add_co_u32_e32 v7, vcc, s28, v7
	v_addc_co_u32_e32 v22, vcc, v22, v23, vcc
	v_or_b32_e32 v6, 32, v4
	v_add_co_u32_e32 v23, vcc, 0xfffffdf0, v7
	v_addc_co_u32_e32 v7, vcc, -1, v22, vcc
	v_cmp_gt_i32_e64 s[12:13], s20, v6
	s_sub_i32 s21, s20, 32
	v_cndmask_b32_e64 v7, v7, v9, s[12:13]
	v_cndmask_b32_e64 v6, v23, v8, s[12:13]
	v_cmp_le_i32_e32 vcc, s21, v12
	v_add_lshl_u32 v22, v5, v4, 4
	s_and_saveexec_b64 s[30:31], vcc
	s_xor_b64 s[30:31], exec, s[30:31]
	s_cbranch_execz .LBB16_59
; %bb.58:
	v_mov_b32_e32 v24, 0
	v_mov_b32_e32 v25, v24
	;; [unrolled: 1-line block ×4, first 2 shown]
	ds_write_b128 v22, v[24:27]
.LBB16_59:
	s_andn2_saveexec_b64 s[30:31], s[30:31]
	s_cbranch_execz .LBB16_61
; %bb.60:
	global_load_dwordx4 v[24:27], v[6:7], off
	s_waitcnt vmcnt(0)
	ds_write2_b64 v22, v[24:25], v[26:27] offset1:1
.LBB16_61:
	s_or_b64 exec, exec, s[30:31]
	v_add_u32_e32 v23, 8, v12
	v_cmp_le_i32_e32 vcc, s21, v23
	s_and_saveexec_b64 s[30:31], vcc
	s_xor_b64 s[30:31], exec, s[30:31]
	s_cbranch_execz .LBB16_63
; %bb.62:
	v_mul_u32_u24_e32 v23, 33, v23
	v_mov_b32_e32 v24, 0
	v_add_lshl_u32 v23, v23, v4, 4
	v_mov_b32_e32 v25, v24
	v_mov_b32_e32 v26, v24
	;; [unrolled: 1-line block ×3, first 2 shown]
	ds_write_b128 v23, v[24:27]
.LBB16_63:
	s_andn2_saveexec_b64 s[30:31], s[30:31]
	s_cbranch_execz .LBB16_65
; %bb.64:
	s_lshl_b64 s[40:41], s[16:17], 7
	v_mov_b32_e32 v23, s41
	v_add_co_u32_e32 v24, vcc, s40, v6
	v_addc_co_u32_e32 v25, vcc, v7, v23, vcc
	global_load_dwordx4 v[24:27], v[24:25], off
	v_add_u32_e32 v23, 0x1080, v22
	s_waitcnt vmcnt(0)
	ds_write2_b64 v23, v[24:25], v[26:27] offset1:1
.LBB16_65:
	s_or_b64 exec, exec, s[30:31]
	v_add_u32_e32 v23, 16, v12
	v_cmp_le_i32_e32 vcc, s21, v23
	s_and_saveexec_b64 s[30:31], vcc
	s_xor_b64 s[30:31], exec, s[30:31]
	s_cbranch_execz .LBB16_67
; %bb.66:
	v_mov_b32_e32 v24, 0
	v_mov_b32_e32 v25, v24
	;; [unrolled: 1-line block ×4, first 2 shown]
	ds_write_b128 v22, v[24:27] offset:8448
.LBB16_67:
	s_andn2_saveexec_b64 s[30:31], s[30:31]
	s_cbranch_execz .LBB16_69
; %bb.68:
	s_lshl_b64 s[40:41], s[16:17], 8
	v_mov_b32_e32 v23, s41
	v_add_co_u32_e32 v24, vcc, s40, v6
	v_addc_co_u32_e32 v25, vcc, v7, v23, vcc
	global_load_dwordx4 v[24:27], v[24:25], off
	v_add_u32_e32 v23, 0x2100, v22
	s_waitcnt vmcnt(0)
	ds_write2_b64 v23, v[24:25], v[26:27] offset1:1
.LBB16_69:
	s_or_b64 exec, exec, s[30:31]
	v_add_u32_e32 v23, 24, v12
	v_cmp_le_i32_e32 vcc, s21, v23
	s_and_saveexec_b64 s[30:31], vcc
	s_xor_b64 s[30:31], exec, s[30:31]
	s_cbranch_execz .LBB16_71
; %bb.70:
	v_mov_b32_e32 v24, 0
	v_mov_b32_e32 v25, v24
	;; [unrolled: 1-line block ×4, first 2 shown]
	ds_write_b128 v22, v[24:27] offset:12672
                                        ; implicit-def: $vgpr22
.LBB16_71:
	s_andn2_saveexec_b64 s[30:31], s[30:31]
	s_cbranch_execz .LBB16_73
; %bb.72:
	v_mov_b32_e32 v23, 0x180
	v_mad_u64_u32 v[24:25], s[40:41], s16, v23, v[6:7]
	v_add_u32_e32 v25, s39, v25
	global_load_dwordx4 v[24:27], v[24:25], off
	v_add_u32_e32 v22, 0x3180, v22
	s_waitcnt vmcnt(0)
	ds_write2_b64 v22, v[24:25], v[26:27] offset1:1
.LBB16_73:
	s_or_b64 exec, exec, s[30:31]
	v_add_co_u32_e32 v6, vcc, v6, v13
	v_addc_co_u32_e32 v7, vcc, 0, v7, vcc
	v_mov_b32_e32 v22, s29
	v_subrev_co_u32_e32 v6, vcc, s28, v6
	v_subb_co_u32_e32 v7, vcc, v7, v22, vcc
	v_add_co_u32_e32 v6, vcc, 0x210, v6
	v_addc_co_u32_e32 v7, vcc, 0, v7, vcc
	v_cndmask_b32_e64 v7, v7, v9, s[12:13]
	v_cndmask_b32_e64 v6, v6, v8, s[12:13]
	s_branch .LBB16_76
.LBB16_74:
                                        ; implicit-def: $vgpr6_vgpr7
	s_cbranch_execz .LBB16_76
; %bb.75:
	s_lshl_b64 s[12:13], s[16:17], 7
	v_mov_b32_e32 v30, s13
	v_add_co_u32_e32 v6, vcc, s12, v10
	v_addc_co_u32_e32 v7, vcc, v11, v30, vcc
	global_load_dwordx4 v[22:25], v[8:9], off
	global_load_dwordx4 v[26:29], v[6:7], off offset:512
	v_add_co_u32_e32 v6, vcc, s12, v6
	v_addc_co_u32_e32 v7, vcc, v7, v30, vcc
	v_mov_b32_e32 v30, 0x180
	v_mad_u64_u32 v[10:11], s[12:13], s16, v30, v[10:11]
	v_add_u32_e32 v11, s39, v11
	global_load_dwordx4 v[30:33], v[6:7], off offset:512
	global_load_dwordx4 v[46:49], v[10:11], off offset:512
	v_add_lshl_u32 v6, v5, v4, 4
	v_add_u32_e32 v7, 0x1080, v6
	v_add_u32_e32 v10, 0x2100, v6
	;; [unrolled: 1-line block ×3, first 2 shown]
	s_waitcnt vmcnt(3)
	ds_write2_b64 v6, v[22:23], v[24:25] offset1:1
	s_waitcnt vmcnt(2)
	ds_write2_b64 v7, v[26:27], v[28:29] offset1:1
	;; [unrolled: 2-line block ×4, first 2 shown]
	v_pk_mov_b32 v[6:7], v[8:9], v[8:9] op_sel:[0,1]
.LBB16_76:
	s_waitcnt lgkmcnt(0)
	s_barrier
	s_and_saveexec_b64 s[12:13], s[4:5]
	s_xor_b64 s[4:5], exec, s[12:13]
	s_cbranch_execnz .LBB16_105
; %bb.77:
	s_andn2_saveexec_b64 s[4:5], s[4:5]
	s_cbranch_execnz .LBB16_108
.LBB16_78:
	s_or_b64 exec, exec, s[4:5]
	s_and_saveexec_b64 s[4:5], s[14:15]
	s_xor_b64 s[4:5], exec, s[4:5]
	s_cbranch_execnz .LBB16_109
.LBB16_79:
	s_andn2_saveexec_b64 s[4:5], s[4:5]
	s_cbranch_execnz .LBB16_110
.LBB16_80:
	s_or_b64 exec, exec, s[4:5]
	s_and_saveexec_b64 s[4:5], s[8:9]
	s_xor_b64 s[4:5], exec, s[4:5]
	s_cbranch_execnz .LBB16_113
.LBB16_81:
	s_andn2_saveexec_b64 s[4:5], s[4:5]
	s_cbranch_execnz .LBB16_116
.LBB16_82:
	s_or_b64 exec, exec, s[4:5]
	s_and_saveexec_b64 s[4:5], s[10:11]
	s_xor_b64 s[4:5], exec, s[4:5]
	s_cbranch_execnz .LBB16_117
.LBB16_83:
	s_or_saveexec_b64 s[4:5], s[4:5]
	v_add_u32_e32 v17, 0x4700, v21
	s_xor_b64 exec, exec, s[4:5]
	s_cbranch_execz .LBB16_85
.LBB16_84:
	ds_read_b128 v[8:11], v45 offset:1056
	s_waitcnt lgkmcnt(0)
	v_xor_b32_e32 v11, 0x80000000, v11
	ds_write_b128 v15, v[8:11] offset:48
.LBB16_85:
	s_or_b64 exec, exec, s[4:5]
	s_waitcnt lgkmcnt(0)
	s_barrier
	ds_read_b128 v[8:11], v17 offset:512
	ds_read_b128 v[18:21], v16
	ds_read_b128 v[22:25], v17 offset:528
	ds_read_b128 v[26:29], v17 offset:544
	v_cmp_eq_u32_e64 s[4:5], 1, v12
	s_waitcnt lgkmcnt(2)
	v_mul_f64 v[30:31], v[10:11], v[20:21]
	v_fma_f64 v[34:35], v[8:9], v[18:19], -v[30:31]
	ds_read_b128 v[30:33], v17 offset:560
	ds_read_b128 v[46:49], v45
	v_mul_f64 v[8:9], v[8:9], v[20:21]
	v_fmac_f64_e32 v[8:9], v[10:11], v[18:19]
	v_add_f64 v[20:21], v[8:9], 0
	v_add_f64 v[18:19], v[34:35], 0
	s_waitcnt lgkmcnt(0)
	v_mul_f64 v[8:9], v[24:25], v[48:49]
	v_fma_f64 v[34:35], v[22:23], v[46:47], -v[8:9]
	v_mul_f64 v[22:23], v[22:23], v[48:49]
	ds_read_b128 v[8:11], v45 offset:528
	v_fmac_f64_e32 v[22:23], v[24:25], v[46:47]
	v_add_f64 v[24:25], v[18:19], v[34:35]
	v_add_f64 v[22:23], v[20:21], v[22:23]
	ds_read_b128 v[18:21], v45 offset:1056
	s_waitcnt lgkmcnt(1)
	v_mul_f64 v[34:35], v[28:29], v[10:11]
	v_mul_f64 v[10:11], v[26:27], v[10:11]
	v_fmac_f64_e32 v[10:11], v[28:29], v[8:9]
	v_fma_f64 v[34:35], v[26:27], v[8:9], -v[34:35]
	v_add_f64 v[10:11], v[22:23], v[10:11]
	s_waitcnt lgkmcnt(0)
	v_mul_f64 v[22:23], v[32:33], v[20:21]
	v_mul_f64 v[20:21], v[30:31], v[20:21]
	v_add_f64 v[8:9], v[24:25], v[34:35]
	v_fma_f64 v[22:23], v[30:31], v[18:19], -v[22:23]
	v_fmac_f64_e32 v[20:21], v[32:33], v[18:19]
	v_add_f64 v[8:9], v[8:9], v[22:23]
	v_add_f64 v[10:11], v[10:11], v[20:21]
	s_barrier
	ds_write_b128 v44, v[8:11]
	s_waitcnt lgkmcnt(0)
	s_barrier
	s_and_saveexec_b64 s[8:9], s[4:5]
	s_cbranch_execz .LBB16_87
; %bb.86:
	ds_read_b128 v[0:3], v43
	ds_read_b128 v[8:11], v43 offset:16
	ds_read_b128 v[18:21], v43 offset:32
	ds_read_b128 v[22:25], v43 offset:48
	s_waitcnt lgkmcnt(2)
	v_add_f64 v[0:1], v[8:9], v[0:1]
	v_add_f64 v[8:9], v[10:11], v[2:3]
	s_waitcnt lgkmcnt(1)
	v_add_f64 v[10:11], v[0:1], v[18:19]
	ds_read_b128 v[0:3], v43 offset:64
	v_add_f64 v[8:9], v[8:9], v[20:21]
	s_waitcnt lgkmcnt(1)
	v_add_f64 v[18:19], v[10:11], v[22:23]
	v_add_f64 v[22:23], v[8:9], v[24:25]
	ds_read_b128 v[8:11], v43 offset:80
	s_waitcnt lgkmcnt(1)
	v_add_f64 v[24:25], v[18:19], v[0:1]
	ds_read_b128 v[18:21], v43 offset:96
	v_add_f64 v[22:23], v[22:23], v[2:3]
	ds_read_b128 v[0:3], v43 offset:112
	s_waitcnt lgkmcnt(2)
	v_add_f64 v[8:9], v[24:25], v[8:9]
	v_add_f64 v[10:11], v[22:23], v[10:11]
	s_waitcnt lgkmcnt(1)
	v_add_f64 v[8:9], v[8:9], v[18:19]
	v_add_f64 v[10:11], v[10:11], v[20:21]
	;; [unrolled: 3-line block ×3, first 2 shown]
.LBB16_87:
	s_or_b64 exec, exec, s[8:9]
	v_add_co_u32_e32 v8, vcc, 0xfffffe00, v6
	v_addc_co_u32_e32 v9, vcc, -1, v7, vcc
	s_and_b64 vcc, exec, s[26:27]
	s_barrier
	s_cbranch_vccz .LBB16_120
; %bb.88:
	v_sub_co_u32_e32 v10, vcc, v6, v13
	s_ashr_i32 s21, s20, 31
	v_subbrev_co_u32_e32 v11, vcc, 0, v7, vcc
	s_lshl_b64 s[10:11], s[20:21], 4
	v_mov_b32_e32 v15, s11
	v_add_co_u32_e32 v10, vcc, s10, v10
	v_addc_co_u32_e32 v11, vcc, v11, v15, vcc
	v_add_co_u32_e32 v10, vcc, 0xfffffdf0, v10
	v_addc_co_u32_e32 v11, vcc, -1, v11, vcc
	v_cmp_gt_i32_e32 vcc, s20, v4
	s_sub_i32 s14, s20, 32
	v_cndmask_b32_e32 v11, v11, v9, vcc
	v_cndmask_b32_e32 v10, v10, v8, vcc
	v_cmp_le_i32_e64 s[8:9], s14, v12
	v_add_lshl_u32 v20, v5, v4, 4
	s_and_saveexec_b64 s[12:13], s[8:9]
	s_xor_b64 s[8:9], exec, s[12:13]
	s_cbranch_execz .LBB16_90
; %bb.89:
	v_mov_b32_e32 v22, 0
	v_mov_b32_e32 v23, v22
	;; [unrolled: 1-line block ×4, first 2 shown]
	ds_write_b128 v20, v[22:25]
.LBB16_90:
	s_andn2_saveexec_b64 s[8:9], s[8:9]
	s_cbranch_execz .LBB16_92
; %bb.91:
	global_load_dwordx4 v[22:25], v[10:11], off
	s_waitcnt vmcnt(0)
	ds_write2_b64 v20, v[22:23], v[24:25] offset1:1
.LBB16_92:
	s_or_b64 exec, exec, s[8:9]
	v_add_u32_e32 v15, 8, v12
	v_cmp_le_i32_e64 s[8:9], s14, v15
	s_and_saveexec_b64 s[12:13], s[8:9]
	s_xor_b64 s[8:9], exec, s[12:13]
	s_cbranch_execz .LBB16_94
; %bb.93:
	v_mul_u32_u24_e32 v18, 33, v15
	v_mov_b32_e32 v22, 0
	v_add_lshl_u32 v18, v18, v4, 4
	v_mov_b32_e32 v23, v22
	v_mov_b32_e32 v24, v22
	;; [unrolled: 1-line block ×3, first 2 shown]
	ds_write_b128 v18, v[22:25]
.LBB16_94:
	s_andn2_saveexec_b64 s[12:13], s[8:9]
	s_cbranch_execz .LBB16_96
; %bb.95:
	s_lshl_b64 s[8:9], s[16:17], 7
	v_mov_b32_e32 v19, s9
	v_add_co_u32_e64 v18, s[8:9], s8, v10
	v_addc_co_u32_e64 v19, s[8:9], v11, v19, s[8:9]
	global_load_dwordx4 v[22:25], v[18:19], off
	v_add_u32_e32 v18, 0x1080, v20
	s_waitcnt vmcnt(0)
	ds_write2_b64 v18, v[22:23], v[24:25] offset1:1
.LBB16_96:
	s_or_b64 exec, exec, s[12:13]
	v_add_u32_e32 v18, 16, v12
	v_cmp_le_i32_e64 s[8:9], s14, v18
	s_and_saveexec_b64 s[12:13], s[8:9]
	s_xor_b64 s[8:9], exec, s[12:13]
	s_cbranch_execz .LBB16_98
; %bb.97:
	v_mov_b32_e32 v22, 0
	v_mov_b32_e32 v23, v22
	;; [unrolled: 1-line block ×4, first 2 shown]
	ds_write_b128 v20, v[22:25] offset:8448
.LBB16_98:
	s_andn2_saveexec_b64 s[12:13], s[8:9]
	s_cbranch_execz .LBB16_100
; %bb.99:
	s_lshl_b64 s[8:9], s[16:17], 8
	v_mov_b32_e32 v19, s9
	v_add_co_u32_e64 v22, s[8:9], s8, v10
	v_addc_co_u32_e64 v23, s[8:9], v11, v19, s[8:9]
	global_load_dwordx4 v[22:25], v[22:23], off
	v_add_u32_e32 v19, 0x2100, v20
	s_waitcnt vmcnt(0)
	ds_write2_b64 v19, v[22:23], v[24:25] offset1:1
.LBB16_100:
	s_or_b64 exec, exec, s[12:13]
	v_add_u32_e32 v19, 24, v12
	v_cmp_le_i32_e64 s[8:9], s14, v19
	s_and_saveexec_b64 s[12:13], s[8:9]
	s_xor_b64 s[8:9], exec, s[12:13]
	s_cbranch_execz .LBB16_102
; %bb.101:
	v_mov_b32_e32 v22, 0
	v_mov_b32_e32 v23, v22
	;; [unrolled: 1-line block ×4, first 2 shown]
	ds_write_b128 v20, v[22:25] offset:12672
                                        ; implicit-def: $vgpr20
.LBB16_102:
	s_andn2_saveexec_b64 s[8:9], s[8:9]
	s_cbranch_execz .LBB16_104
; %bb.103:
	v_mov_b32_e32 v21, 0x180
	v_mad_u64_u32 v[22:23], s[12:13], s16, v21, v[10:11]
	v_add_u32_e32 v23, s39, v23
	global_load_dwordx4 v[22:25], v[22:23], off
	v_add_u32_e32 v20, 0x3180, v20
	s_waitcnt vmcnt(0)
	ds_write2_b64 v20, v[22:23], v[24:25] offset1:1
.LBB16_104:
	s_or_b64 exec, exec, s[8:9]
	v_add_co_u32_e64 v10, s[8:9], v10, v13
	v_addc_co_u32_e64 v11, s[8:9], 0, v11, s[8:9]
	v_mov_b32_e32 v13, s11
	v_subrev_co_u32_e64 v10, s[8:9], s10, v10
	v_subb_co_u32_e64 v11, s[8:9], v11, v13, s[8:9]
	v_add_co_u32_e64 v10, s[8:9], 16, v10
	v_addc_co_u32_e64 v11, s[8:9], 0, v11, s[8:9]
	v_cndmask_b32_e32 v41, v11, v9, vcc
	v_cndmask_b32_e32 v40, v10, v8, vcc
	s_branch .LBB16_122
.LBB16_105:
	v_cmp_eq_u32_e32 vcc, v18, v4
	s_and_saveexec_b64 s[12:13], vcc
	s_cbranch_execz .LBB16_107
; %bb.106:
	v_mul_u32_u24_e32 v8, 34, v4
	v_lshlrev_b32_e32 v10, 4, v8
	v_mov_b32_e32 v8, 0
	v_mov_b32_e32 v9, v8
	ds_write_b64 v10, v[8:9] offset:8
.LBB16_107:
	s_or_b64 exec, exec, s[12:13]
	s_andn2_saveexec_b64 s[4:5], s[4:5]
	s_cbranch_execz .LBB16_78
.LBB16_108:
	ds_read_b128 v[8:11], v16
	s_waitcnt lgkmcnt(0)
	v_xor_b32_e32 v11, 0x80000000, v11
	ds_write_b128 v15, v[8:11]
	s_or_b64 exec, exec, s[4:5]
	s_and_saveexec_b64 s[4:5], s[14:15]
	s_xor_b64 s[4:5], exec, s[4:5]
	s_cbranch_execz .LBB16_79
.LBB16_109:
	ds_read_b128 v[8:11], v45
                                        ; implicit-def: $vgpr17
	s_waitcnt lgkmcnt(0)
	v_xor_b32_e32 v11, 0x80000000, v11
	ds_write_b128 v15, v[8:11] offset:16
	s_andn2_saveexec_b64 s[4:5], s[4:5]
	s_cbranch_execz .LBB16_80
.LBB16_110:
	v_cmp_eq_u32_e32 vcc, v17, v4
	s_and_saveexec_b64 s[12:13], vcc
	s_cbranch_execz .LBB16_112
; %bb.111:
	v_mul_u32_u24_e32 v8, 34, v4
	v_lshlrev_b32_e32 v10, 4, v8
	v_mov_b32_e32 v8, 0
	v_mov_b32_e32 v9, v8
	ds_write_b64 v10, v[8:9] offset:8
.LBB16_112:
	s_or_b64 exec, exec, s[12:13]
	s_or_b64 exec, exec, s[4:5]
	s_and_saveexec_b64 s[4:5], s[8:9]
	s_xor_b64 s[4:5], exec, s[4:5]
	s_cbranch_execz .LBB16_81
.LBB16_113:
	v_cmp_eq_u32_e32 vcc, v19, v4
	s_and_saveexec_b64 s[8:9], vcc
	s_cbranch_execz .LBB16_115
; %bb.114:
	v_mul_u32_u24_e32 v8, 34, v4
	v_lshlrev_b32_e32 v10, 4, v8
	v_mov_b32_e32 v8, 0
	v_mov_b32_e32 v9, v8
	ds_write_b64 v10, v[8:9] offset:8
.LBB16_115:
	s_or_b64 exec, exec, s[8:9]
	s_andn2_saveexec_b64 s[4:5], s[4:5]
	s_cbranch_execz .LBB16_82
.LBB16_116:
	ds_read_b128 v[8:11], v45 offset:528
	s_waitcnt lgkmcnt(0)
	v_xor_b32_e32 v11, 0x80000000, v11
	ds_write_b128 v15, v[8:11] offset:32
	s_or_b64 exec, exec, s[4:5]
	s_and_saveexec_b64 s[4:5], s[10:11]
	s_xor_b64 s[4:5], exec, s[4:5]
	s_cbranch_execz .LBB16_83
.LBB16_117:
	v_cmp_eq_u32_e32 vcc, v20, v4
	s_and_saveexec_b64 s[8:9], vcc
	s_cbranch_execz .LBB16_119
; %bb.118:
	v_mul_u32_u24_e32 v8, 34, v4
	v_lshlrev_b32_e32 v10, 4, v8
	v_mov_b32_e32 v8, 0
	v_mov_b32_e32 v9, v8
	ds_write_b64 v10, v[8:9] offset:8
.LBB16_119:
	s_or_b64 exec, exec, s[8:9]
                                        ; implicit-def: $vgpr15
	s_or_saveexec_b64 s[4:5], s[4:5]
	v_add_u32_e32 v17, 0x4700, v21
	s_xor_b64 exec, exec, s[4:5]
	s_cbranch_execnz .LBB16_84
	s_branch .LBB16_85
.LBB16_120:
                                        ; implicit-def: $vgpr40_vgpr41
                                        ; implicit-def: $vgpr15
                                        ; implicit-def: $vgpr18
                                        ; implicit-def: $vgpr19
	s_cbranch_execz .LBB16_122
; %bb.121:
	s_lshl_b64 s[8:9], s[16:17], 7
	v_mov_b32_e32 v13, s9
	v_add_co_u32_e32 v10, vcc, s8, v6
	v_addc_co_u32_e32 v11, vcc, v7, v13, vcc
	global_load_dwordx4 v[20:23], v[8:9], off
	global_load_dwordx4 v[24:27], v[10:11], off offset:-512
	v_add_co_u32_e32 v10, vcc, s8, v10
	v_addc_co_u32_e32 v11, vcc, v11, v13, vcc
	v_mov_b32_e32 v13, 0x180
	v_mad_u64_u32 v[6:7], s[8:9], s16, v13, v[6:7]
	v_add_u32_e32 v7, s39, v7
	global_load_dwordx4 v[28:31], v[10:11], off offset:-512
	global_load_dwordx4 v[32:35], v[6:7], off offset:-512
	v_add_lshl_u32 v4, v5, v4, 4
	v_add_u32_e32 v15, 8, v12
	v_add_u32_e32 v18, 16, v12
	;; [unrolled: 1-line block ×3, first 2 shown]
	v_pk_mov_b32 v[40:41], v[8:9], v[8:9] op_sel:[0,1]
	v_add_u32_e32 v5, 0x1080, v4
	v_add_u32_e32 v6, 0x2100, v4
	;; [unrolled: 1-line block ×3, first 2 shown]
	s_waitcnt vmcnt(3)
	ds_write2_b64 v4, v[20:21], v[22:23] offset1:1
	s_waitcnt vmcnt(2)
	ds_write2_b64 v5, v[24:25], v[26:27] offset1:1
	s_waitcnt vmcnt(1)
	ds_write2_b64 v6, v[28:29], v[30:31] offset1:1
	s_waitcnt vmcnt(0)
	ds_write2_b64 v7, v[32:33], v[34:35] offset1:1
.LBB16_122:
	v_lshlrev_b32_e32 v4, 4, v12
	s_waitcnt lgkmcnt(0)
	s_barrier
	ds_read_b128 v[46:49], v44
	ds_read_b128 v[50:53], v4 offset:18176
	v_add_lshl_u32 v4, v15, v14, 4
	v_lshlrev_b32_e32 v5, 4, v15
	ds_read_b128 v[54:57], v4
	ds_read_b128 v[58:61], v5 offset:18176
	s_waitcnt lgkmcnt(2)
	v_mul_f64 v[4:5], v[48:49], v[52:53]
	v_fmac_f64_e32 v[4:5], v[46:47], v[50:51]
	v_add_f64 v[4:5], v[4:5], 0
	s_waitcnt lgkmcnt(0)
	v_mul_f64 v[6:7], v[56:57], v[60:61]
	v_fmac_f64_e32 v[6:7], v[54:55], v[58:59]
	v_add_f64 v[4:5], v[4:5], v[6:7]
	v_add_lshl_u32 v6, v18, v14, 4
	v_mul_f64 v[70:71], v[48:49], v[50:51]
	v_mul_f64 v[72:73], v[56:57], v[58:59]
	v_lshlrev_b32_e32 v7, 4, v18
	ds_read_b128 v[48:51], v6
	ds_read_b128 v[56:59], v7 offset:18176
	v_add_lshl_u32 v6, v19, v14, 4
	v_lshlrev_b32_e32 v7, 4, v19
	ds_read_b128 v[62:65], v6
	ds_read_b128 v[66:69], v7 offset:18176
	v_fma_f64 v[46:47], v[46:47], v[52:53], -v[70:71]
	s_waitcnt lgkmcnt(2)
	v_mul_f64 v[6:7], v[50:51], v[58:59]
	v_fmac_f64_e32 v[6:7], v[48:49], v[56:57]
	v_add_f64 v[4:5], v[4:5], v[6:7]
	s_waitcnt lgkmcnt(0)
	v_mul_f64 v[6:7], v[64:65], v[68:69]
	v_fmac_f64_e32 v[6:7], v[62:63], v[66:67]
	v_mul_f64 v[56:57], v[50:51], v[56:57]
	v_add_f64 v[50:51], v[4:5], v[6:7]
	ds_read_b128 v[20:23], v17 offset:528
	ds_read_b128 v[12:15], v17 offset:544
	;; [unrolled: 1-line block ×3, first 2 shown]
	ds_read_b128 v[32:35], v16
	ds_read_b128 v[4:7], v17 offset:560
	ds_read_b128 v[24:27], v45
	ds_read_b128 v[16:19], v45 offset:528
	ds_read_b128 v[8:11], v45 offset:1056
	v_add_f64 v[46:47], v[46:47], 0
	v_fma_f64 v[52:53], v[54:55], v[60:61], -v[72:73]
	v_mul_f64 v[64:65], v[64:65], v[66:67]
	v_add_f64 v[46:47], v[46:47], v[52:53]
	v_fma_f64 v[48:49], v[48:49], v[58:59], -v[56:57]
	v_add_f64 v[46:47], v[46:47], v[48:49]
	v_fma_f64 v[48:49], v[62:63], v[68:69], -v[64:65]
	v_add_f64 v[52:53], v[46:47], v[48:49]
	s_waitcnt lgkmcnt(0)
	s_barrier
	ds_write_b128 v44, v[50:53]
	s_waitcnt lgkmcnt(0)
	s_barrier
	s_and_saveexec_b64 s[8:9], s[4:5]
	s_cbranch_execz .LBB16_124
; %bb.123:
	ds_read_b128 v[46:49], v43
	ds_read_b128 v[50:53], v43 offset:16
	ds_read_b128 v[54:57], v43 offset:32
	;; [unrolled: 1-line block ×3, first 2 shown]
	s_waitcnt lgkmcnt(3)
	v_add_f64 v[0:1], v[0:1], v[46:47]
	v_add_f64 v[2:3], v[2:3], v[48:49]
	s_waitcnt lgkmcnt(2)
	v_add_f64 v[0:1], v[0:1], v[50:51]
	v_add_f64 v[46:47], v[2:3], v[52:53]
	s_waitcnt lgkmcnt(1)
	v_add_f64 v[48:49], v[0:1], v[54:55]
	ds_read_b128 v[0:3], v43 offset:64
	v_add_f64 v[46:47], v[46:47], v[56:57]
	s_waitcnt lgkmcnt(1)
	v_add_f64 v[50:51], v[48:49], v[58:59]
	v_add_f64 v[54:55], v[46:47], v[60:61]
	ds_read_b128 v[46:49], v43 offset:80
	s_waitcnt lgkmcnt(1)
	v_add_f64 v[56:57], v[50:51], v[0:1]
	ds_read_b128 v[50:53], v43 offset:96
	v_add_f64 v[54:55], v[54:55], v[2:3]
	ds_read_b128 v[0:3], v43 offset:112
	s_waitcnt lgkmcnt(2)
	v_add_f64 v[46:47], v[56:57], v[46:47]
	v_add_f64 v[48:49], v[54:55], v[48:49]
	s_waitcnt lgkmcnt(1)
	v_add_f64 v[46:47], v[46:47], v[50:51]
	v_add_f64 v[48:49], v[48:49], v[52:53]
	;; [unrolled: 3-line block ×3, first 2 shown]
.LBB16_124:
	s_or_b64 exec, exec, s[8:9]
	v_mul_f64 v[46:47], v[30:31], v[34:35]
	v_fma_f64 v[46:47], v[28:29], v[32:33], -v[46:47]
	v_mul_f64 v[28:29], v[28:29], v[34:35]
	v_fmac_f64_e32 v[28:29], v[30:31], v[32:33]
	v_mul_f64 v[32:33], v[22:23], v[26:27]
	v_fma_f64 v[32:33], v[20:21], v[24:25], -v[32:33]
	v_mul_f64 v[20:21], v[20:21], v[26:27]
	v_fmac_f64_e32 v[20:21], v[22:23], v[24:25]
	v_mul_f64 v[24:25], v[14:15], v[18:19]
	v_add_f64 v[30:31], v[46:47], 0
	v_add_f64 v[28:29], v[28:29], 0
	v_fma_f64 v[24:25], v[12:13], v[16:17], -v[24:25]
	v_mul_f64 v[12:13], v[12:13], v[18:19]
	v_add_f64 v[22:23], v[30:31], v[32:33]
	v_add_f64 v[20:21], v[28:29], v[20:21]
	v_fmac_f64_e32 v[12:13], v[14:15], v[16:17]
	v_mul_f64 v[16:17], v[6:7], v[10:11]
	v_mul_f64 v[10:11], v[4:5], v[10:11]
	v_add_f64 v[14:15], v[22:23], v[24:25]
	v_add_f64 v[12:13], v[20:21], v[12:13]
	v_fma_f64 v[16:17], v[4:5], v[8:9], -v[16:17]
	v_fmac_f64_e32 v[10:11], v[6:7], v[8:9]
	v_add_f64 v[4:5], v[14:15], v[16:17]
	v_add_f64 v[6:7], v[12:13], v[10:11]
	s_barrier
	ds_write_b128 v44, v[4:7]
	s_waitcnt lgkmcnt(0)
	s_barrier
	s_and_saveexec_b64 s[4:5], s[2:3]
	s_cbranch_execz .LBB16_126
; %bb.125:
	ds_read_b128 v[4:7], v43
	ds_read_b128 v[8:11], v43 offset:16
	ds_read_b128 v[12:15], v43 offset:32
	;; [unrolled: 1-line block ×3, first 2 shown]
	s_waitcnt lgkmcnt(3)
	v_add_f64 v[0:1], v[0:1], v[4:5]
	v_add_f64 v[2:3], v[2:3], v[6:7]
	s_waitcnt lgkmcnt(2)
	v_add_f64 v[0:1], v[0:1], v[8:9]
	v_add_f64 v[4:5], v[2:3], v[10:11]
	s_waitcnt lgkmcnt(1)
	v_add_f64 v[6:7], v[0:1], v[12:13]
	ds_read_b128 v[0:3], v43 offset:64
	v_add_f64 v[4:5], v[4:5], v[14:15]
	s_waitcnt lgkmcnt(1)
	v_add_f64 v[8:9], v[6:7], v[16:17]
	v_add_f64 v[12:13], v[4:5], v[18:19]
	ds_read_b128 v[4:7], v43 offset:80
	s_waitcnt lgkmcnt(1)
	v_add_f64 v[14:15], v[8:9], v[0:1]
	ds_read_b128 v[8:11], v43 offset:96
	v_add_f64 v[12:13], v[12:13], v[2:3]
	ds_read_b128 v[0:3], v43 offset:112
	s_waitcnt lgkmcnt(2)
	v_add_f64 v[4:5], v[14:15], v[4:5]
	v_add_f64 v[6:7], v[12:13], v[6:7]
	s_waitcnt lgkmcnt(1)
	v_add_f64 v[4:5], v[4:5], v[8:9]
	v_add_f64 v[6:7], v[6:7], v[10:11]
	;; [unrolled: 3-line block ×3, first 2 shown]
.LBB16_126:
	s_or_b64 exec, exec, s[4:5]
	s_mul_hi_u32 s2, s37, s7
	s_mul_i32 s38, s38, s7
	s_add_i32 s2, s2, s38
	s_mul_i32 s4, s37, s7
	s_mul_i32 s2, s2, s33
	s_mul_hi_u32 s3, s4, s33
	s_add_i32 s3, s3, s2
	s_mul_i32 s2, s4, s33
	s_lshl_b64 s[2:3], s[2:3], 4
	s_add_u32 s4, s34, s2
	s_addc_u32 s5, s35, s3
	s_mul_hi_i32 s3, s37, s6
	s_mul_i32 s2, s37, s6
	s_lshl_b64 s[2:3], s[2:3], 4
	s_add_u32 s7, s4, s2
	s_addc_u32 s21, s5, s3
	s_add_i32 s2, s6, 1
	s_cmp_ge_u32 s2, s33
	v_lshlrev_b32_e32 v168, 4, v201
	s_barrier
	s_cbranch_scc1 .LBB16_184
; %bb.127:
	s_mul_i32 s2, s22, s25
	s_mul_hi_u32 s3, s22, s24
	s_add_i32 s2, s3, s2
	s_mul_i32 s3, s23, s24
	s_add_i32 s3, s2, s3
	s_mul_i32 s2, s22, s24
	s_lshl_b64 s[2:3], s[2:3], 4
	v_mov_b32_e32 v4, s3
	v_subrev_co_u32_e32 v204, vcc, s2, v38
	v_and_b32_e32 v6, 48, v201
	v_subb_co_u32_e32 v205, vcc, v39, v4, vcc
	v_and_b32_e32 v4, 15, v201
	v_lshlrev_b32_e32 v7, 4, v6
	s_movk_i32 s4, 0x430
	v_lshrrev_b32_e32 v5, 4, v42
	v_mad_u32_u24 v208, v4, s4, v7
	v_or_b32_e32 v7, 0xf0, v168
	v_mad_u32_u24 v209, v4, s4, v7
	v_lshlrev_b32_e32 v7, 6, v5
	v_lshlrev_b32_e32 v10, 6, v202
	v_mad_u32_u24 v210, v4, s4, v7
	s_movk_i32 s4, 0x10c0
	v_mul_i32_i24_e32 v11, 0xffffffd0, v5
	v_add_u32_e32 v5, 0x200, v10
	v_mad_u32_u24 v215, v202, s4, v168
	v_or_b32_e32 v228, v6, v4
	v_mad_u64_u32 v[6:7], s[4:5], s16, v5, 0
	v_mov_b32_e32 v8, v7
	v_mad_u64_u32 v[8:9], s[4:5], s17, v5, v[8:9]
	v_mov_b32_e32 v5, v8
	v_sub_co_u32_e32 v6, vcc, v6, v36
	v_subb_co_u32_e32 v5, vcc, v5, v37, vcc
	v_add_co_u32_e32 v6, vcc, v40, v6
	v_addc_co_u32_e32 v5, vcc, v41, v5, vcc
	v_add_co_u32_e32 v170, vcc, 8, v6
	v_addc_co_u32_e32 v169, vcc, 0, v5, vcc
	v_add_u32_e32 v5, 0x530, v10
	v_mad_u64_u32 v[6:7], s[4:5], s16, v5, 0
	v_mov_b32_e32 v8, v7
	v_mad_u64_u32 v[8:9], s[4:5], s17, v5, v[8:9]
	v_mov_b32_e32 v5, v8
	v_sub_co_u32_e32 v6, vcc, v6, v36
	v_subb_co_u32_e32 v5, vcc, v5, v37, vcc
	v_add_co_u32_e32 v172, vcc, v40, v6
	v_addc_co_u32_e32 v171, vcc, v41, v5, vcc
	v_add_u32_e32 v5, 0x220, v10
	v_mad_u64_u32 v[6:7], s[4:5], s16, v5, 0
	v_mov_b32_e32 v8, v7
	v_mad_u64_u32 v[8:9], s[4:5], s17, v5, v[8:9]
	v_mov_b32_e32 v5, v8
	v_sub_co_u32_e32 v6, vcc, v6, v36
	v_subb_co_u32_e32 v5, vcc, v5, v37, vcc
	;; [unrolled: 9-line block ×4, first 2 shown]
	v_add_co_u32_e32 v6, vcc, v40, v6
	v_addc_co_u32_e32 v5, vcc, v41, v5, vcc
	v_add_co_u32_e32 v178, vcc, 8, v6
	v_addc_co_u32_e32 v177, vcc, 0, v5, vcc
	v_add_u32_e32 v5, 0x510, v10
	v_mad_u64_u32 v[6:7], s[4:5], s16, v5, 0
	v_mov_b32_e32 v8, v7
	v_mad_u64_u32 v[8:9], s[4:5], s17, v5, v[8:9]
	v_mov_b32_e32 v5, v8
	v_sub_co_u32_e32 v6, vcc, v6, v36
	v_subb_co_u32_e32 v5, vcc, v5, v37, vcc
	v_add_co_u32_e32 v180, vcc, v40, v6
	v_addc_co_u32_e32 v179, vcc, v41, v5, vcc
	v_add_u32_e32 v5, 0x230, v10
	v_mad_u64_u32 v[6:7], s[4:5], s16, v5, 0
	v_mov_b32_e32 v8, v7
	v_mad_u64_u32 v[8:9], s[4:5], s17, v5, v[8:9]
	v_mov_b32_e32 v5, v8
	v_sub_co_u32_e32 v6, vcc, v6, v36
	v_subb_co_u32_e32 v5, vcc, v5, v37, vcc
	v_add_co_u32_e32 v6, vcc, v40, v6
	v_addc_co_u32_e32 v5, vcc, v41, v5, vcc
	v_add_co_u32_e32 v182, vcc, 8, v6
	v_addc_co_u32_e32 v181, vcc, 0, v5, vcc
	v_add_u32_e32 v5, 0x500, v10
	v_mad_u64_u32 v[6:7], s[4:5], s16, v5, 0
	v_mov_b32_e32 v8, v7
	v_mad_u64_u32 v[8:9], s[4:5], s17, v5, v[8:9]
	v_mov_b32_e32 v5, v8
	v_sub_co_u32_e32 v6, vcc, v6, v36
	v_subb_co_u32_e32 v5, vcc, v5, v37, vcc
	v_add_co_u32_e32 v184, vcc, v40, v6
	v_addc_co_u32_e32 v183, vcc, v41, v5, vcc
	v_add_u32_e32 v5, 0x300, v10
	v_mad_u64_u32 v[6:7], s[4:5], s16, v5, 0
	v_mov_b32_e32 v8, v7
	v_mad_u64_u32 v[8:9], s[4:5], s17, v5, v[8:9]
	v_mov_b32_e32 v5, v8
	v_sub_co_u32_e32 v6, vcc, v6, v36
	v_subb_co_u32_e32 v5, vcc, v5, v37, vcc
	v_add_co_u32_e32 v6, vcc, v40, v6
	v_addc_co_u32_e32 v5, vcc, v41, v5, vcc
	v_add_co_u32_e32 v186, vcc, 8, v6
	v_addc_co_u32_e32 v185, vcc, 0, v5, vcc
	v_add_u32_e32 v5, 0x430, v10
	v_mad_u64_u32 v[6:7], s[4:5], s16, v5, 0
	v_mov_b32_e32 v8, v7
	v_mad_u64_u32 v[8:9], s[4:5], s17, v5, v[8:9]
	v_mov_b32_e32 v5, v8
	v_sub_co_u32_e32 v6, vcc, v6, v36
	v_subb_co_u32_e32 v5, vcc, v5, v37, vcc
	v_add_co_u32_e32 v188, vcc, v40, v6
	v_addc_co_u32_e32 v187, vcc, v41, v5, vcc
	v_add_u32_e32 v5, 0x310, v10
	v_mad_u64_u32 v[6:7], s[4:5], s16, v5, 0
	v_mov_b32_e32 v8, v7
	v_mad_u64_u32 v[8:9], s[4:5], s17, v5, v[8:9]
	v_mov_b32_e32 v5, v8
	v_sub_co_u32_e32 v6, vcc, v6, v36
	v_subb_co_u32_e32 v5, vcc, v5, v37, vcc
	v_add_co_u32_e32 v6, vcc, v40, v6
	v_addc_co_u32_e32 v5, vcc, v41, v5, vcc
	v_add_co_u32_e32 v190, vcc, 8, v6
	v_addc_co_u32_e32 v189, vcc, 0, v5, vcc
	v_add_u32_e32 v5, 0x420, v10
	v_mad_u64_u32 v[6:7], s[4:5], s16, v5, 0
	v_mov_b32_e32 v8, v7
	v_mad_u64_u32 v[8:9], s[4:5], s17, v5, v[8:9]
	v_mov_b32_e32 v5, v8
	v_sub_co_u32_e32 v6, vcc, v6, v36
	v_subb_co_u32_e32 v5, vcc, v5, v37, vcc
	v_add_co_u32_e32 v192, vcc, v40, v6
	v_addc_co_u32_e32 v191, vcc, v41, v5, vcc
	v_add_u32_e32 v5, 0x320, v10
	v_mad_u64_u32 v[6:7], s[4:5], s16, v5, 0
	v_mov_b32_e32 v8, v7
	v_mad_u64_u32 v[8:9], s[4:5], s17, v5, v[8:9]
	v_mov_b32_e32 v5, v8
	v_sub_co_u32_e32 v6, vcc, v6, v36
	v_subb_co_u32_e32 v5, vcc, v5, v37, vcc
	v_add_co_u32_e32 v6, vcc, v40, v6
	v_addc_co_u32_e32 v5, vcc, v41, v5, vcc
	v_add_co_u32_e32 v194, vcc, 8, v6
	v_addc_co_u32_e32 v193, vcc, 0, v5, vcc
	v_add_u32_e32 v5, 0x410, v10
	v_mad_u64_u32 v[6:7], s[4:5], s16, v5, 0
	v_mov_b32_e32 v8, v7
	v_mad_u64_u32 v[8:9], s[4:5], s17, v5, v[8:9]
	v_mov_b32_e32 v5, v8
	v_sub_co_u32_e32 v6, vcc, v6, v36
	v_subb_co_u32_e32 v5, vcc, v5, v37, vcc
	v_add_co_u32_e32 v196, vcc, v40, v6
	v_addc_co_u32_e32 v195, vcc, v41, v5, vcc
	v_add_u32_e32 v5, 0x330, v10
	v_mad_u64_u32 v[6:7], s[4:5], s16, v5, 0
	v_mov_b32_e32 v8, v7
	v_mad_u64_u32 v[8:9], s[4:5], s17, v5, v[8:9]
	v_mov_b32_e32 v5, v8
	v_sub_co_u32_e32 v6, vcc, v6, v36
	v_subb_co_u32_e32 v5, vcc, v5, v37, vcc
	v_add_co_u32_e32 v6, vcc, v40, v6
	v_addc_co_u32_e32 v5, vcc, v41, v5, vcc
	v_add_co_u32_e32 v198, vcc, 8, v6
	v_addc_co_u32_e32 v197, vcc, 0, v5, vcc
	v_add_u32_e32 v5, 0x400, v10
	v_mad_u64_u32 v[6:7], s[4:5], s16, v5, 0
	v_mov_b32_e32 v8, v7
	v_mad_u64_u32 v[8:9], s[4:5], s17, v5, v[8:9]
	v_mov_b32_e32 v5, v8
	v_sub_co_u32_e32 v6, vcc, v6, v36
	v_subb_co_u32_e32 v5, vcc, v5, v37, vcc
	v_add_co_u32_e32 v6, vcc, v40, v6
	v_addc_co_u32_e32 v5, vcc, v41, v5, vcc
	v_lshlrev_b32_e32 v203, 2, v202
	v_add_co_u32_e32 v200, vcc, 8, v6
	s_add_i32 s23, s33, -2
	v_add_u32_e32 v206, 0x4300, v168
	v_add_u32_e32 v207, 0x4700, v168
	v_cmp_gt_u32_e64 s[2:3], 64, v42
	v_or_b32_e32 v211, 1, v203
	v_or_b32_e32 v212, 2, v203
	;; [unrolled: 1-line block ×3, first 2 shown]
	v_add_u32_e32 v214, 0x4300, v10
	v_add_u32_e32 v216, 16, v203
	v_add_u32_e32 v217, 17, v203
	v_add_u32_e32 v218, 18, v203
	v_add_u32_e32 v219, 19, v203
	v_add_u32_e32 v220, 32, v203
	v_add_u32_e32 v221, 33, v203
	v_add_u32_e32 v222, 34, v203
	v_add_u32_e32 v223, 35, v203
	v_add_u32_e32 v224, 48, v203
	v_add_u32_e32 v225, 49, v203
	v_add_u32_e32 v226, 50, v203
	v_add_u32_e32 v227, 51, v203
	s_add_i32 s22, s22, 64
	v_mov_b32_e32 v4, 0
	s_lshl_b64 s[10:11], s[16:17], 10
	v_addc_co_u32_e32 v199, vcc, 0, v5, vcc
	v_add_u32_e32 v229, v210, v11
	s_cmp_eq_u32 s23, s6
	s_cselect_b32 s26, s36, 0
	s_and_saveexec_b64 s[4:5], s[0:1]
	s_cbranch_execz .LBB16_132
.LBB16_128:
	s_cmp_lg_u32 s26, 0
	s_cselect_b64 s[8:9], -1, 0
	v_cmp_le_i32_e32 vcc, s26, v201
	s_and_b64 s[8:9], s[8:9], vcc
	s_and_saveexec_b64 s[12:13], s[8:9]
	s_xor_b64 s[8:9], exec, s[12:13]
	s_cbranch_execz .LBB16_130
; %bb.129:
	v_mov_b32_e32 v5, v4
	v_mov_b32_e32 v6, v4
	;; [unrolled: 1-line block ×3, first 2 shown]
	ds_write_b128 v206, v[4:7]
.LBB16_130:
	s_andn2_saveexec_b64 s[8:9], s[8:9]
	s_cbranch_execz .LBB16_132
; %bb.131:
	s_ashr_i32 s8, s22, 31
	s_mul_i32 s9, s22, s25
	s_mul_hi_u32 s12, s22, s24
	s_add_i32 s9, s12, s9
	s_mul_i32 s8, s8, s24
	s_add_i32 s9, s9, s8
	s_mul_i32 s8, s22, s24
	s_lshl_b64 s[8:9], s[8:9], 4
	v_mov_b32_e32 v5, s9
	v_add_co_u32_e32 v6, vcc, s8, v204
	v_addc_co_u32_e32 v7, vcc, v205, v5, vcc
	global_load_dwordx4 v[6:9], v[6:7], off
	s_waitcnt vmcnt(0)
	ds_write2_b64 v206, v[6:7], v[8:9] offset1:1
.LBB16_132:                             ; =>This Inner Loop Header: Depth=1
	s_or_b64 exec, exec, s[4:5]
	s_cmp_eq_u32 s26, 0
	v_add_co_u32_e32 v18, vcc, v170, v168
	s_cselect_b64 s[12:13], -1, 0
	s_cmp_lg_u32 s26, 0
	v_addc_co_u32_e32 v19, vcc, 0, v169, vcc
	s_cselect_b64 s[8:9], -1, 0
	s_and_b64 vcc, exec, s[8:9]
	s_waitcnt lgkmcnt(0)
	s_barrier
	s_cbranch_vccz .LBB16_140
; %bb.133:                              ;   in Loop: Header=BB16_132 Depth=1
	v_pk_mov_b32 v[10:11], 0, 0
	v_cmp_gt_i32_e32 vcc, s26, v203
	v_pk_mov_b32 v[6:7], v[10:11], v[10:11] op_sel:[0,1]
	v_pk_mov_b32 v[8:9], v[10:11], v[10:11] op_sel:[0,1]
	s_and_saveexec_b64 s[4:5], vcc
	s_cbranch_execz .LBB16_135
; %bb.134:                              ;   in Loop: Header=BB16_132 Depth=1
	global_load_dwordx4 v[6:9], v[18:19], off offset:-8
.LBB16_135:                             ;   in Loop: Header=BB16_132 Depth=1
	s_or_b64 exec, exec, s[4:5]
	v_cmp_gt_i32_e32 vcc, s26, v211
	v_pk_mov_b32 v[12:13], v[10:11], v[10:11] op_sel:[0,1]
	s_and_saveexec_b64 s[4:5], vcc
	s_cbranch_execz .LBB16_137
; %bb.136:                              ;   in Loop: Header=BB16_132 Depth=1
	v_add_co_u32_e32 v10, vcc, v178, v168
	v_addc_co_u32_e32 v11, vcc, 0, v177, vcc
	global_load_dwordx4 v[10:13], v[10:11], off offset:-8
.LBB16_137:                             ;   in Loop: Header=BB16_132 Depth=1
	s_or_b64 exec, exec, s[4:5]
	v_pk_mov_b32 v[14:15], 0, 0
	v_cmp_gt_i32_e32 vcc, s26, v212
	s_mov_b64 s[16:17], 0
	v_pk_mov_b32 v[16:17], v[14:15], v[14:15] op_sel:[0,1]
	s_and_saveexec_b64 s[4:5], vcc
	s_cbranch_execz .LBB16_139
; %bb.138:                              ;   in Loop: Header=BB16_132 Depth=1
	v_add_co_u32_e32 v14, vcc, v174, v168
	v_addc_co_u32_e32 v15, vcc, 0, v173, vcc
	global_load_dwordx4 v[14:17], v[14:15], off
.LBB16_139:                             ;   in Loop: Header=BB16_132 Depth=1
	s_or_b64 exec, exec, s[4:5]
	v_cmp_gt_i32_e64 s[4:5], s26, v213
	s_mov_b64 s[14:15], 0
	s_and_b64 vcc, exec, s[16:17]
	s_cbranch_vccnz .LBB16_141
	s_branch .LBB16_142
.LBB16_140:                             ;   in Loop: Header=BB16_132 Depth=1
	s_mov_b64 s[4:5], 0
                                        ; implicit-def: $sgpr14_sgpr15
                                        ; implicit-def: $vgpr16_vgpr17
                                        ; implicit-def: $vgpr12_vgpr13
                                        ; implicit-def: $vgpr8_vgpr9
	s_cbranch_execz .LBB16_142
.LBB16_141:                             ;   in Loop: Header=BB16_132 Depth=1
	s_waitcnt vmcnt(0)
	v_add_co_u32_e32 v10, vcc, v178, v168
	v_addc_co_u32_e32 v11, vcc, 0, v177, vcc
	v_add_co_u32_e32 v14, vcc, v174, v168
	v_addc_co_u32_e32 v15, vcc, 0, v173, vcc
	global_load_dwordx4 v[6:9], v[18:19], off offset:-8
	s_or_b64 s[4:5], s[4:5], exec
	global_load_dwordx4 v[10:13], v[10:11], off offset:-8
                                        ; implicit-def: $sgpr14_sgpr15
	s_nop 0
	global_load_dwordx4 v[14:17], v[14:15], off
.LBB16_142:                             ;   in Loop: Header=BB16_132 Depth=1
	v_pk_mov_b32 v[18:19], s[14:15], s[14:15] op_sel:[0,1]
	v_pk_mov_b32 v[20:21], s[14:15], s[14:15] op_sel:[0,1]
	s_and_saveexec_b64 s[14:15], s[4:5]
	s_cbranch_execz .LBB16_144
; %bb.143:                              ;   in Loop: Header=BB16_132 Depth=1
	v_add_co_u32_e32 v18, vcc, v182, v168
	v_addc_co_u32_e32 v19, vcc, 0, v181, vcc
	global_load_dwordx4 v[18:21], v[18:19], off offset:-8
.LBB16_144:                             ;   in Loop: Header=BB16_132 Depth=1
	s_or_b64 exec, exec, s[14:15]
	ds_read_b128 v[34:37], v207
	ds_read_b128 v[22:25], v214
	v_cndmask_b32_e64 v5, 0, 1, s[8:9]
	s_andn2_b64 vcc, exec, s[8:9]
	v_add_co_u32_e64 v50, s[8:9], v186, v168
	s_waitcnt vmcnt(0) lgkmcnt(1)
	v_mul_f64 v[26:27], v[8:9], v[36:37]
	v_mul_f64 v[28:29], v[8:9], v[34:35]
	;; [unrolled: 1-line block ×3, first 2 shown]
	v_fmac_f64_e32 v[26:27], v[6:7], v[34:35]
	v_fma_f64 v[28:29], v[6:7], v[36:37], -v[28:29]
	v_mul_f64 v[32:33], v[12:13], v[34:35]
	ds_write_b128 v215, v[26:29]
	v_fmac_f64_e32 v[30:31], v[10:11], v[34:35]
	v_fma_f64 v[32:33], v[10:11], v[36:37], -v[32:33]
	v_mul_f64 v[38:39], v[16:17], v[36:37]
	v_mul_f64 v[40:41], v[16:17], v[34:35]
	;; [unrolled: 1-line block ×3, first 2 shown]
	ds_read_b128 v[26:29], v214 offset:16
	ds_write_b128 v215, v[30:33] offset:1072
	v_fmac_f64_e32 v[38:39], v[14:15], v[34:35]
	v_fma_f64 v[40:41], v[14:15], v[36:37], -v[40:41]
	v_fmac_f64_e32 v[42:43], v[18:19], v[34:35]
	v_mul_f64 v[34:35], v[20:21], v[34:35]
	ds_read_b128 v[30:33], v214 offset:32
	ds_write_b128 v215, v[38:41] offset:2144
	v_fma_f64 v[44:45], v[18:19], v[36:37], -v[34:35]
	ds_read_b128 v[38:41], v214 offset:48
	ds_write_b128 v215, v[42:45] offset:3216
	s_waitcnt lgkmcnt(0)
	s_barrier
	ds_read_b128 v[94:97], v210
	ds_read_b128 v[90:93], v210 offset:16
	ds_read_b128 v[86:89], v210 offset:32
	ds_read_b128 v[82:85], v210 offset:48
	v_cmp_ne_u32_e64 s[4:5], 1, v5
	v_addc_co_u32_e64 v51, s[8:9], 0, v185, s[8:9]
	s_waitcnt lgkmcnt(0)
	s_barrier
	s_cbranch_vccnz .LBB16_152
; %bb.145:                              ;   in Loop: Header=BB16_132 Depth=1
	v_pk_mov_b32 v[42:43], 0, 0
	v_cmp_gt_i32_e32 vcc, s26, v216
	v_pk_mov_b32 v[34:35], v[42:43], v[42:43] op_sel:[0,1]
	v_pk_mov_b32 v[36:37], v[42:43], v[42:43] op_sel:[0,1]
	s_and_saveexec_b64 s[8:9], vcc
	s_cbranch_execz .LBB16_147
; %bb.146:                              ;   in Loop: Header=BB16_132 Depth=1
	global_load_dwordx4 v[34:37], v[50:51], off offset:-8
.LBB16_147:                             ;   in Loop: Header=BB16_132 Depth=1
	s_or_b64 exec, exec, s[8:9]
	v_cmp_gt_i32_e32 vcc, s26, v217
	v_pk_mov_b32 v[44:45], v[42:43], v[42:43] op_sel:[0,1]
	s_and_saveexec_b64 s[8:9], vcc
	s_cbranch_execz .LBB16_149
; %bb.148:                              ;   in Loop: Header=BB16_132 Depth=1
	v_add_co_u32_e32 v42, vcc, v190, v168
	v_addc_co_u32_e32 v43, vcc, 0, v189, vcc
	global_load_dwordx4 v[42:45], v[42:43], off offset:-8
.LBB16_149:                             ;   in Loop: Header=BB16_132 Depth=1
	s_or_b64 exec, exec, s[8:9]
	v_pk_mov_b32 v[46:47], 0, 0
	v_cmp_gt_i32_e32 vcc, s26, v218
	s_mov_b64 s[16:17], 0
	v_pk_mov_b32 v[48:49], v[46:47], v[46:47] op_sel:[0,1]
	s_and_saveexec_b64 s[8:9], vcc
	s_cbranch_execz .LBB16_151
; %bb.150:                              ;   in Loop: Header=BB16_132 Depth=1
	v_add_co_u32_e32 v46, vcc, v194, v168
	v_addc_co_u32_e32 v47, vcc, 0, v193, vcc
	global_load_dwordx4 v[46:49], v[46:47], off offset:-8
.LBB16_151:                             ;   in Loop: Header=BB16_132 Depth=1
	s_or_b64 exec, exec, s[8:9]
	v_cmp_gt_i32_e64 s[8:9], s26, v219
	s_mov_b64 s[14:15], 0
	s_and_b64 vcc, exec, s[16:17]
	s_cbranch_vccnz .LBB16_153
	s_branch .LBB16_154
.LBB16_152:                             ;   in Loop: Header=BB16_132 Depth=1
	s_mov_b64 s[8:9], 0
                                        ; implicit-def: $sgpr14_sgpr15
                                        ; implicit-def: $vgpr48_vgpr49
                                        ; implicit-def: $vgpr44_vgpr45
                                        ; implicit-def: $vgpr36_vgpr37
	s_cbranch_execz .LBB16_154
.LBB16_153:                             ;   in Loop: Header=BB16_132 Depth=1
	s_waitcnt vmcnt(0)
	v_add_co_u32_e32 v42, vcc, v190, v168
	v_addc_co_u32_e32 v43, vcc, 0, v189, vcc
	v_add_co_u32_e32 v46, vcc, v194, v168
	v_addc_co_u32_e32 v47, vcc, 0, v193, vcc
	global_load_dwordx4 v[34:37], v[50:51], off offset:-8
	s_or_b64 s[8:9], s[8:9], exec
	global_load_dwordx4 v[42:45], v[42:43], off offset:-8
                                        ; implicit-def: $sgpr14_sgpr15
	s_nop 0
	global_load_dwordx4 v[46:49], v[46:47], off offset:-8
.LBB16_154:                             ;   in Loop: Header=BB16_132 Depth=1
	v_pk_mov_b32 v[50:51], s[14:15], s[14:15] op_sel:[0,1]
	v_pk_mov_b32 v[52:53], s[14:15], s[14:15] op_sel:[0,1]
	s_and_saveexec_b64 s[14:15], s[8:9]
	s_cbranch_execz .LBB16_156
; %bb.155:                              ;   in Loop: Header=BB16_132 Depth=1
	v_add_co_u32_e32 v50, vcc, v198, v168
	v_addc_co_u32_e32 v51, vcc, 0, v197, vcc
	global_load_dwordx4 v[50:53], v[50:51], off offset:-8
.LBB16_156:                             ;   in Loop: Header=BB16_132 Depth=1
	s_or_b64 exec, exec, s[14:15]
	ds_read_b128 v[66:69], v207
	ds_read_b128 v[54:57], v214 offset:256
	v_add_co_u32_e64 v98, s[8:9], v200, v168
	s_and_b64 vcc, exec, s[4:5]
	s_waitcnt vmcnt(0) lgkmcnt(1)
	v_mul_f64 v[58:59], v[36:37], v[68:69]
	v_mul_f64 v[60:61], v[36:37], v[66:67]
	;; [unrolled: 1-line block ×3, first 2 shown]
	v_fmac_f64_e32 v[58:59], v[34:35], v[66:67]
	v_fma_f64 v[60:61], v[34:35], v[68:69], -v[60:61]
	v_mul_f64 v[64:65], v[44:45], v[66:67]
	ds_write_b128 v215, v[58:61]
	v_fmac_f64_e32 v[62:63], v[42:43], v[66:67]
	v_fma_f64 v[64:65], v[42:43], v[68:69], -v[64:65]
	v_mul_f64 v[70:71], v[48:49], v[68:69]
	v_mul_f64 v[72:73], v[48:49], v[66:67]
	;; [unrolled: 1-line block ×3, first 2 shown]
	ds_read_b128 v[58:61], v214 offset:272
	ds_write_b128 v215, v[62:65] offset:1072
	v_fmac_f64_e32 v[70:71], v[46:47], v[66:67]
	v_fma_f64 v[72:73], v[46:47], v[68:69], -v[72:73]
	v_fmac_f64_e32 v[74:75], v[50:51], v[66:67]
	v_mul_f64 v[66:67], v[52:53], v[66:67]
	ds_read_b128 v[62:65], v214 offset:288
	ds_write_b128 v215, v[70:73] offset:2144
	v_fma_f64 v[76:77], v[50:51], v[68:69], -v[66:67]
	ds_read_b128 v[70:73], v214 offset:304
	ds_write_b128 v215, v[74:77] offset:3216
	s_waitcnt lgkmcnt(0)
	s_barrier
	ds_read_b128 v[146:149], v210
	ds_read_b128 v[142:145], v210 offset:16
	ds_read_b128 v[138:141], v210 offset:32
	;; [unrolled: 1-line block ×3, first 2 shown]
	v_addc_co_u32_e64 v99, s[8:9], 0, v199, s[8:9]
	s_waitcnt lgkmcnt(0)
	s_barrier
	s_cbranch_vccnz .LBB16_164
; %bb.157:                              ;   in Loop: Header=BB16_132 Depth=1
	v_pk_mov_b32 v[74:75], 0, 0
	v_cmp_gt_i32_e32 vcc, s26, v220
	v_pk_mov_b32 v[66:67], v[74:75], v[74:75] op_sel:[0,1]
	v_pk_mov_b32 v[68:69], v[74:75], v[74:75] op_sel:[0,1]
	s_and_saveexec_b64 s[8:9], vcc
	s_cbranch_execz .LBB16_159
; %bb.158:                              ;   in Loop: Header=BB16_132 Depth=1
	global_load_dwordx4 v[66:69], v[98:99], off offset:-8
.LBB16_159:                             ;   in Loop: Header=BB16_132 Depth=1
	s_or_b64 exec, exec, s[8:9]
	v_cmp_gt_i32_e32 vcc, s26, v221
	v_pk_mov_b32 v[76:77], v[74:75], v[74:75] op_sel:[0,1]
	s_and_saveexec_b64 s[8:9], vcc
	s_cbranch_execz .LBB16_161
; %bb.160:                              ;   in Loop: Header=BB16_132 Depth=1
	v_add_co_u32_e32 v74, vcc, v196, v168
	v_addc_co_u32_e32 v75, vcc, 0, v195, vcc
	global_load_dwordx4 v[74:77], v[74:75], off
.LBB16_161:                             ;   in Loop: Header=BB16_132 Depth=1
	s_or_b64 exec, exec, s[8:9]
	v_pk_mov_b32 v[78:79], 0, 0
	v_cmp_gt_i32_e32 vcc, s26, v222
	s_mov_b64 s[16:17], 0
	v_pk_mov_b32 v[80:81], v[78:79], v[78:79] op_sel:[0,1]
	s_and_saveexec_b64 s[8:9], vcc
	s_cbranch_execz .LBB16_163
; %bb.162:                              ;   in Loop: Header=BB16_132 Depth=1
	v_add_co_u32_e32 v78, vcc, v192, v168
	v_addc_co_u32_e32 v79, vcc, 0, v191, vcc
	global_load_dwordx4 v[78:81], v[78:79], off
.LBB16_163:                             ;   in Loop: Header=BB16_132 Depth=1
	s_or_b64 exec, exec, s[8:9]
	v_cmp_gt_i32_e64 s[8:9], s26, v223
	s_mov_b64 s[14:15], 0
	s_and_b64 vcc, exec, s[16:17]
	s_cbranch_vccnz .LBB16_165
	s_branch .LBB16_166
.LBB16_164:                             ;   in Loop: Header=BB16_132 Depth=1
	s_mov_b64 s[8:9], 0
                                        ; implicit-def: $sgpr14_sgpr15
                                        ; implicit-def: $vgpr80_vgpr81
                                        ; implicit-def: $vgpr76_vgpr77
                                        ; implicit-def: $vgpr68_vgpr69
	s_cbranch_execz .LBB16_166
.LBB16_165:                             ;   in Loop: Header=BB16_132 Depth=1
	s_waitcnt vmcnt(0)
	v_add_co_u32_e32 v74, vcc, v196, v168
	v_addc_co_u32_e32 v75, vcc, 0, v195, vcc
	v_add_co_u32_e32 v78, vcc, v192, v168
	v_addc_co_u32_e32 v79, vcc, 0, v191, vcc
	global_load_dwordx4 v[66:69], v[98:99], off offset:-8
	s_or_b64 s[8:9], s[8:9], exec
	global_load_dwordx4 v[74:77], v[74:75], off
                                        ; implicit-def: $sgpr14_sgpr15
	s_nop 0
	global_load_dwordx4 v[78:81], v[78:79], off
.LBB16_166:                             ;   in Loop: Header=BB16_132 Depth=1
	v_pk_mov_b32 v[98:99], s[14:15], s[14:15] op_sel:[0,1]
	v_pk_mov_b32 v[100:101], s[14:15], s[14:15] op_sel:[0,1]
	s_and_saveexec_b64 s[14:15], s[8:9]
	s_cbranch_execz .LBB16_168
; %bb.167:                              ;   in Loop: Header=BB16_132 Depth=1
	v_add_co_u32_e32 v98, vcc, v188, v168
	v_addc_co_u32_e32 v99, vcc, 0, v187, vcc
	global_load_dwordx4 v[98:101], v[98:99], off
.LBB16_168:                             ;   in Loop: Header=BB16_132 Depth=1
	s_or_b64 exec, exec, s[14:15]
	ds_read_b128 v[114:117], v207
	ds_read_b128 v[102:105], v214 offset:512
	s_and_b64 vcc, exec, s[4:5]
	v_add_co_u32_e64 v130, s[4:5], v184, v168
	s_waitcnt vmcnt(0) lgkmcnt(1)
	v_mul_f64 v[106:107], v[68:69], v[116:117]
	v_mul_f64 v[108:109], v[68:69], v[114:115]
	;; [unrolled: 1-line block ×3, first 2 shown]
	v_fmac_f64_e32 v[106:107], v[66:67], v[114:115]
	v_fma_f64 v[108:109], v[66:67], v[116:117], -v[108:109]
	v_mul_f64 v[112:113], v[76:77], v[114:115]
	ds_write_b128 v215, v[106:109]
	v_fmac_f64_e32 v[110:111], v[74:75], v[114:115]
	v_fma_f64 v[112:113], v[74:75], v[116:117], -v[112:113]
	v_mul_f64 v[118:119], v[80:81], v[116:117]
	v_mul_f64 v[120:121], v[80:81], v[114:115]
	;; [unrolled: 1-line block ×3, first 2 shown]
	ds_read_b128 v[106:109], v214 offset:528
	ds_write_b128 v215, v[110:113] offset:1072
	v_fmac_f64_e32 v[118:119], v[78:79], v[114:115]
	v_fma_f64 v[120:121], v[78:79], v[116:117], -v[120:121]
	v_fmac_f64_e32 v[122:123], v[98:99], v[114:115]
	v_mul_f64 v[114:115], v[100:101], v[114:115]
	ds_read_b128 v[110:113], v214 offset:544
	ds_write_b128 v215, v[118:121] offset:2144
	v_fma_f64 v[124:125], v[98:99], v[116:117], -v[114:115]
	ds_read_b128 v[118:121], v214 offset:560
	ds_write_b128 v215, v[122:125] offset:3216
	s_waitcnt lgkmcnt(0)
	s_barrier
	ds_read_b128 v[162:165], v210
	ds_read_b128 v[158:161], v210 offset:16
	ds_read_b128 v[154:157], v210 offset:32
	;; [unrolled: 1-line block ×3, first 2 shown]
	v_addc_co_u32_e64 v131, s[4:5], 0, v183, s[4:5]
	s_waitcnt lgkmcnt(0)
	s_barrier
	s_cbranch_vccnz .LBB16_176
; %bb.169:                              ;   in Loop: Header=BB16_132 Depth=1
	v_pk_mov_b32 v[122:123], 0, 0
	v_cmp_gt_i32_e32 vcc, s26, v224
	v_pk_mov_b32 v[114:115], v[122:123], v[122:123] op_sel:[0,1]
	v_pk_mov_b32 v[116:117], v[122:123], v[122:123] op_sel:[0,1]
	s_and_saveexec_b64 s[4:5], vcc
	s_cbranch_execz .LBB16_171
; %bb.170:                              ;   in Loop: Header=BB16_132 Depth=1
	global_load_dwordx4 v[114:117], v[130:131], off
.LBB16_171:                             ;   in Loop: Header=BB16_132 Depth=1
	s_or_b64 exec, exec, s[4:5]
	v_cmp_gt_i32_e32 vcc, s26, v225
	v_pk_mov_b32 v[124:125], v[122:123], v[122:123] op_sel:[0,1]
	s_and_saveexec_b64 s[4:5], vcc
	s_cbranch_execz .LBB16_173
; %bb.172:                              ;   in Loop: Header=BB16_132 Depth=1
	v_add_co_u32_e32 v122, vcc, v180, v168
	v_addc_co_u32_e32 v123, vcc, 0, v179, vcc
	global_load_dwordx4 v[122:125], v[122:123], off
.LBB16_173:                             ;   in Loop: Header=BB16_132 Depth=1
	s_or_b64 exec, exec, s[4:5]
	v_pk_mov_b32 v[126:127], 0, 0
	v_cmp_gt_i32_e32 vcc, s26, v226
	s_mov_b64 s[14:15], 0
	v_pk_mov_b32 v[128:129], v[126:127], v[126:127] op_sel:[0,1]
	s_and_saveexec_b64 s[4:5], vcc
	s_cbranch_execz .LBB16_175
; %bb.174:                              ;   in Loop: Header=BB16_132 Depth=1
	v_add_co_u32_e32 v126, vcc, v176, v168
	v_addc_co_u32_e32 v127, vcc, 0, v175, vcc
	global_load_dwordx4 v[126:129], v[126:127], off
.LBB16_175:                             ;   in Loop: Header=BB16_132 Depth=1
	s_or_b64 exec, exec, s[4:5]
	v_cmp_gt_i32_e64 s[4:5], s26, v227
	s_mov_b64 s[8:9], 0
	s_and_b64 vcc, exec, s[14:15]
	s_cbranch_vccnz .LBB16_177
	s_branch .LBB16_178
.LBB16_176:                             ;   in Loop: Header=BB16_132 Depth=1
	s_mov_b64 s[4:5], 0
                                        ; implicit-def: $sgpr8_sgpr9
                                        ; implicit-def: $vgpr128_vgpr129
                                        ; implicit-def: $vgpr124_vgpr125
                                        ; implicit-def: $vgpr116_vgpr117
	s_cbranch_execz .LBB16_178
.LBB16_177:                             ;   in Loop: Header=BB16_132 Depth=1
	s_waitcnt vmcnt(0)
	v_add_co_u32_e32 v122, vcc, v180, v168
	v_addc_co_u32_e32 v123, vcc, 0, v179, vcc
	v_add_co_u32_e32 v126, vcc, v176, v168
	v_addc_co_u32_e32 v127, vcc, 0, v175, vcc
	global_load_dwordx4 v[114:117], v[130:131], off
	s_or_b64 s[4:5], s[4:5], exec
	global_load_dwordx4 v[122:125], v[122:123], off
                                        ; implicit-def: $sgpr8_sgpr9
	s_nop 0
	global_load_dwordx4 v[126:129], v[126:127], off
.LBB16_178:                             ;   in Loop: Header=BB16_132 Depth=1
	v_pk_mov_b32 v[130:131], s[8:9], s[8:9] op_sel:[0,1]
	v_pk_mov_b32 v[132:133], s[8:9], s[8:9] op_sel:[0,1]
	s_and_saveexec_b64 s[8:9], s[4:5]
	s_cbranch_execz .LBB16_180
; %bb.179:                              ;   in Loop: Header=BB16_132 Depth=1
	v_add_co_u32_e32 v130, vcc, v172, v168
	v_addc_co_u32_e32 v131, vcc, 0, v171, vcc
	global_load_dwordx4 v[130:133], v[130:131], off
.LBB16_180:                             ;   in Loop: Header=BB16_132 Depth=1
	s_or_b64 exec, exec, s[8:9]
	v_add_f64 v[146:147], v[146:147], 0
	v_add_f64 v[148:149], v[148:149], 0
	;; [unrolled: 1-line block ×6, first 2 shown]
	ds_read_b128 v[142:145], v207
	v_add_f64 v[162:163], v[162:163], 0
	v_add_f64 v[94:95], v[94:95], 0
	;; [unrolled: 1-line block ×11, first 2 shown]
	ds_read_b128 v[86:89], v214 offset:768
	s_waitcnt vmcnt(0) lgkmcnt(1)
	v_mul_f64 v[90:91], v[116:117], v[144:145]
	v_mul_f64 v[92:93], v[116:117], v[142:143]
	v_fmac_f64_e32 v[90:91], v[114:115], v[142:143]
	v_fma_f64 v[92:93], v[114:115], v[144:145], -v[92:93]
	v_mul_f64 v[94:95], v[124:125], v[144:145]
	v_mul_f64 v[96:97], v[124:125], v[142:143]
	v_add_f64 v[138:139], v[138:139], v[134:135]
	v_add_f64 v[140:141], v[140:141], v[136:137]
	ds_write_b128 v215, v[90:93]
	v_fmac_f64_e32 v[94:95], v[122:123], v[142:143]
	v_fma_f64 v[96:97], v[122:123], v[144:145], -v[96:97]
	v_mul_f64 v[134:135], v[128:129], v[144:145]
	v_mul_f64 v[136:137], v[128:129], v[142:143]
	;; [unrolled: 1-line block ×3, first 2 shown]
	ds_read_b128 v[90:93], v214 offset:784
	ds_write_b128 v215, v[94:97] offset:1072
	v_fmac_f64_e32 v[134:135], v[126:127], v[142:143]
	v_fma_f64 v[136:137], v[126:127], v[144:145], -v[136:137]
	v_fmac_f64_e32 v[146:147], v[130:131], v[142:143]
	v_mul_f64 v[142:143], v[132:133], v[142:143]
	ds_read_b128 v[94:97], v214 offset:800
	ds_write_b128 v215, v[134:137] offset:2144
	v_fma_f64 v[148:149], v[130:131], v[144:145], -v[142:143]
	v_add_f64 v[164:165], v[164:165], 0
	ds_read_b128 v[134:137], v214 offset:816
	ds_write_b128 v215, v[146:149] offset:3216
	s_waitcnt lgkmcnt(0)
	s_barrier
	ds_read_b128 v[142:145], v210
	v_add_f64 v[160:161], v[164:165], v[160:161]
	v_add_f64 v[156:157], v[160:161], v[156:157]
	;; [unrolled: 1-line block ×4, first 2 shown]
	ds_read_b128 v[146:149], v210 offset:16
	ds_read_b128 v[154:157], v210 offset:32
	ds_read_b128 v[158:161], v210 offset:48
	s_waitcnt lgkmcnt(3)
	v_add_f64 v[142:143], v[142:143], 0
	v_add_f64 v[144:145], v[144:145], 0
	v_cmp_gt_i32_e32 vcc, s26, v201
	s_waitcnt lgkmcnt(2)
	v_add_f64 v[142:143], v[142:143], v[146:147]
	v_add_f64 v[144:145], v[144:145], v[148:149]
	s_or_b64 s[4:5], s[12:13], vcc
	s_waitcnt lgkmcnt(1)
	v_add_f64 v[142:143], v[142:143], v[154:155]
	v_add_f64 v[144:145], v[144:145], v[156:157]
	s_and_b64 s[8:9], s[2:3], s[4:5]
	s_waitcnt lgkmcnt(0)
	v_add_f64 v[142:143], v[142:143], v[158:159]
	v_add_f64 v[144:145], v[144:145], v[160:161]
	s_barrier
	ds_write_b128 v229, v[82:85]
	ds_write_b128 v229, v[138:141] offset:256
	ds_write_b128 v229, v[150:153] offset:512
	;; [unrolled: 1-line block ×3, first 2 shown]
	s_waitcnt lgkmcnt(0)
	s_barrier
	s_and_saveexec_b64 s[4:5], s[8:9]
	s_cbranch_execz .LBB16_182
; %bb.181:                              ;   in Loop: Header=BB16_132 Depth=1
	ds_read_b128 v[82:85], v208
	ds_read_b128 v[138:141], v208 offset:16
	ds_read_b128 v[142:145], v208 offset:32
	;; [unrolled: 1-line block ×3, first 2 shown]
	v_mov_b32_e32 v5, s21
	s_waitcnt lgkmcnt(2)
	v_add_f64 v[82:83], v[138:139], v[82:83]
	v_add_f64 v[138:139], v[140:141], v[84:85]
	s_waitcnt lgkmcnt(1)
	v_add_f64 v[140:141], v[82:83], v[142:143]
	ds_read_b128 v[82:85], v208 offset:64
	v_add_f64 v[142:143], v[138:139], v[144:145]
	s_waitcnt lgkmcnt(1)
	v_add_f64 v[144:145], v[140:141], v[146:147]
	ds_read_b128 v[138:141], v208 offset:80
	v_add_f64 v[146:147], v[142:143], v[148:149]
	s_waitcnt lgkmcnt(1)
	v_add_f64 v[82:83], v[144:145], v[82:83]
	ds_read_b128 v[142:145], v208 offset:96
	v_add_f64 v[146:147], v[146:147], v[84:85]
	s_waitcnt lgkmcnt(1)
	v_add_f64 v[138:139], v[82:83], v[138:139]
	ds_read_b128 v[82:85], v208 offset:112
	v_add_f64 v[146:147], v[146:147], v[140:141]
	s_waitcnt lgkmcnt(1)
	v_add_f64 v[142:143], v[138:139], v[142:143]
	ds_read_b128 v[138:141], v208 offset:128
	v_add_f64 v[146:147], v[146:147], v[144:145]
	s_waitcnt lgkmcnt(1)
	v_add_f64 v[82:83], v[142:143], v[82:83]
	ds_read_b128 v[142:145], v208 offset:144
	v_add_f64 v[146:147], v[146:147], v[84:85]
	s_waitcnt lgkmcnt(1)
	v_add_f64 v[138:139], v[82:83], v[138:139]
	ds_read_b128 v[82:85], v208 offset:160
	v_add_f64 v[146:147], v[146:147], v[140:141]
	s_waitcnt lgkmcnt(1)
	v_add_f64 v[142:143], v[138:139], v[142:143]
	ds_read_b128 v[138:141], v208 offset:176
	v_add_f64 v[146:147], v[146:147], v[144:145]
	s_waitcnt lgkmcnt(1)
	v_add_f64 v[82:83], v[142:143], v[82:83]
	ds_read_b128 v[142:145], v208 offset:192
	v_add_f64 v[84:85], v[146:147], v[84:85]
	s_waitcnt lgkmcnt(1)
	v_add_f64 v[138:139], v[82:83], v[138:139]
	v_add_f64 v[146:147], v[84:85], v[140:141]
	ds_read_b128 v[82:85], v208 offset:208
	s_waitcnt lgkmcnt(1)
	v_add_f64 v[148:149], v[138:139], v[142:143]
	ds_read_b128 v[138:141], v208 offset:224
	v_add_f64 v[146:147], v[146:147], v[144:145]
	ds_read_b128 v[142:145], v209
	s_waitcnt lgkmcnt(2)
	v_add_f64 v[82:83], v[148:149], v[82:83]
	v_add_f64 v[84:85], v[146:147], v[84:85]
	s_waitcnt lgkmcnt(1)
	v_add_f64 v[82:83], v[82:83], v[138:139]
	v_add_u32_e32 v138, s22, v228
	v_ashrrev_i32_e32 v139, 31, v138
	v_lshlrev_b64 v[138:139], 4, v[138:139]
	v_add_f64 v[84:85], v[84:85], v[140:141]
	v_add_co_u32_e32 v138, vcc, s7, v138
	s_waitcnt lgkmcnt(0)
	v_add_f64 v[82:83], v[82:83], v[142:143]
	v_add_f64 v[84:85], v[84:85], v[144:145]
	v_addc_co_u32_e32 v139, vcc, v5, v139, vcc
	global_store_dwordx4 v[138:139], v[82:85], off
.LBB16_182:                             ;   in Loop: Header=BB16_132 Depth=1
	s_or_b64 exec, exec, s[4:5]
	v_mov_b32_e32 v5, s11
	v_add_co_u32_e32 v170, vcc, s10, v170
	v_mul_f64 v[82:83], v[8:9], v[24:25]
	v_addc_co_u32_e32 v169, vcc, v169, v5, vcc
	v_fma_f64 v[82:83], v[6:7], v[22:23], -v[82:83]
	v_mul_f64 v[6:7], v[6:7], v[24:25]
	v_mul_f64 v[24:25], v[12:13], v[28:29]
	v_add_co_u32_e32 v172, vcc, s10, v172
	v_add_f64 v[0:1], v[0:1], v[82:83]
	v_fma_f64 v[24:25], v[10:11], v[26:27], -v[24:25]
	v_addc_co_u32_e32 v171, vcc, v171, v5, vcc
	v_add_f64 v[0:1], v[0:1], v[24:25]
	v_mul_f64 v[24:25], v[16:17], v[32:33]
	v_add_co_u32_e32 v174, vcc, s10, v174
	v_fma_f64 v[24:25], v[14:15], v[30:31], -v[24:25]
	v_addc_co_u32_e32 v173, vcc, v173, v5, vcc
	v_add_f64 v[0:1], v[0:1], v[24:25]
	v_mul_f64 v[24:25], v[20:21], v[40:41]
	v_fmac_f64_e32 v[6:7], v[8:9], v[22:23]
	v_add_co_u32_e32 v176, vcc, s10, v176
	v_fma_f64 v[24:25], v[18:19], v[38:39], -v[24:25]
	v_add_f64 v[2:3], v[2:3], v[6:7]
	v_mul_f64 v[6:7], v[36:37], v[56:57]
	v_addc_co_u32_e32 v175, vcc, v175, v5, vcc
	v_add_f64 v[0:1], v[0:1], v[24:25]
	v_fma_f64 v[6:7], v[34:35], v[54:55], -v[6:7]
	v_add_co_u32_e32 v178, vcc, s10, v178
	v_add_f64 v[0:1], v[0:1], v[6:7]
	v_mul_f64 v[6:7], v[44:45], v[60:61]
	v_addc_co_u32_e32 v177, vcc, v177, v5, vcc
	v_fma_f64 v[6:7], v[42:43], v[58:59], -v[6:7]
	v_add_co_u32_e32 v180, vcc, s10, v180
	v_add_f64 v[0:1], v[0:1], v[6:7]
	v_mul_f64 v[6:7], v[48:49], v[64:65]
	v_addc_co_u32_e32 v179, vcc, v179, v5, vcc
	;; [unrolled: 5-line block ×3, first 2 shown]
	v_fma_f64 v[6:7], v[50:51], v[70:71], -v[6:7]
	v_add_co_u32_e32 v184, vcc, s10, v184
	v_mul_f64 v[10:11], v[10:11], v[28:29]
	v_add_f64 v[0:1], v[0:1], v[6:7]
	v_mul_f64 v[6:7], v[68:69], v[104:105]
	v_addc_co_u32_e32 v183, vcc, v183, v5, vcc
	v_mul_f64 v[14:15], v[14:15], v[32:33]
	v_fmac_f64_e32 v[10:11], v[12:13], v[26:27]
	v_fma_f64 v[6:7], v[66:67], v[102:103], -v[6:7]
	v_add_co_u32_e32 v186, vcc, s10, v186
	v_mul_f64 v[18:19], v[18:19], v[40:41]
	v_add_f64 v[2:3], v[2:3], v[10:11]
	v_fmac_f64_e32 v[14:15], v[16:17], v[30:31]
	v_add_f64 v[0:1], v[0:1], v[6:7]
	v_mul_f64 v[6:7], v[76:77], v[108:109]
	v_addc_co_u32_e32 v185, vcc, v185, v5, vcc
	v_add_f64 v[2:3], v[2:3], v[14:15]
	v_fmac_f64_e32 v[18:19], v[20:21], v[38:39]
	v_mul_f64 v[8:9], v[34:35], v[56:57]
	v_fma_f64 v[6:7], v[74:75], v[106:107], -v[6:7]
	v_add_co_u32_e32 v188, vcc, s10, v188
	v_add_f64 v[2:3], v[2:3], v[18:19]
	v_mul_f64 v[10:11], v[42:43], v[60:61]
	v_fmac_f64_e32 v[8:9], v[36:37], v[54:55]
	v_add_f64 v[0:1], v[0:1], v[6:7]
	v_mul_f64 v[6:7], v[80:81], v[112:113]
	v_addc_co_u32_e32 v187, vcc, v187, v5, vcc
	v_mul_f64 v[12:13], v[46:47], v[64:65]
	v_add_f64 v[2:3], v[2:3], v[8:9]
	v_fmac_f64_e32 v[10:11], v[44:45], v[58:59]
	v_fma_f64 v[6:7], v[78:79], v[110:111], -v[6:7]
	v_add_co_u32_e32 v190, vcc, s10, v190
	v_mul_f64 v[14:15], v[50:51], v[72:73]
	v_add_f64 v[2:3], v[2:3], v[10:11]
	v_fmac_f64_e32 v[12:13], v[48:49], v[62:63]
	v_add_f64 v[0:1], v[0:1], v[6:7]
	v_mul_f64 v[6:7], v[100:101], v[120:121]
	v_addc_co_u32_e32 v189, vcc, v189, v5, vcc
	v_add_f64 v[2:3], v[2:3], v[12:13]
	v_fmac_f64_e32 v[14:15], v[52:53], v[70:71]
	v_mul_f64 v[8:9], v[66:67], v[104:105]
	v_fma_f64 v[6:7], v[98:99], v[118:119], -v[6:7]
	v_add_co_u32_e32 v192, vcc, s10, v192
	v_add_f64 v[2:3], v[2:3], v[14:15]
	v_mul_f64 v[10:11], v[74:75], v[108:109]
	v_add_f64 v[0:1], v[0:1], v[6:7]
	v_fmac_f64_e32 v[8:9], v[68:69], v[102:103]
	v_mul_f64 v[6:7], v[116:117], v[88:89]
	v_addc_co_u32_e32 v191, vcc, v191, v5, vcc
	v_mul_f64 v[12:13], v[78:79], v[112:113]
	v_add_f64 v[2:3], v[2:3], v[8:9]
	v_fmac_f64_e32 v[10:11], v[76:77], v[106:107]
	v_fma_f64 v[6:7], v[114:115], v[86:87], -v[6:7]
	v_add_co_u32_e32 v194, vcc, s10, v194
	v_mul_f64 v[14:15], v[98:99], v[120:121]
	v_add_f64 v[2:3], v[2:3], v[10:11]
	v_fmac_f64_e32 v[12:13], v[80:81], v[110:111]
	v_add_f64 v[0:1], v[0:1], v[6:7]
	v_mul_f64 v[6:7], v[124:125], v[92:93]
	v_addc_co_u32_e32 v193, vcc, v193, v5, vcc
	v_add_f64 v[2:3], v[2:3], v[12:13]
	v_fmac_f64_e32 v[14:15], v[100:101], v[118:119]
	v_mul_f64 v[8:9], v[114:115], v[88:89]
	v_fma_f64 v[6:7], v[122:123], v[90:91], -v[6:7]
	v_add_co_u32_e32 v196, vcc, s10, v196
	v_add_f64 v[2:3], v[2:3], v[14:15]
	v_mul_f64 v[10:11], v[122:123], v[92:93]
	v_add_f64 v[0:1], v[0:1], v[6:7]
	v_mul_f64 v[6:7], v[128:129], v[96:97]
	v_fmac_f64_e32 v[8:9], v[116:117], v[86:87]
	v_addc_co_u32_e32 v195, vcc, v195, v5, vcc
	v_fma_f64 v[6:7], v[126:127], v[94:95], -v[6:7]
	v_mul_f64 v[12:13], v[126:127], v[96:97]
	v_fmac_f64_e32 v[10:11], v[124:125], v[90:91]
	v_add_f64 v[2:3], v[2:3], v[8:9]
	v_add_co_u32_e32 v198, vcc, s10, v198
	v_add_f64 v[0:1], v[0:1], v[6:7]
	v_mul_f64 v[6:7], v[132:133], v[136:137]
	v_mul_f64 v[14:15], v[130:131], v[136:137]
	v_fmac_f64_e32 v[12:13], v[128:129], v[94:95]
	v_add_f64 v[2:3], v[2:3], v[10:11]
	v_addc_co_u32_e32 v197, vcc, v197, v5, vcc
	v_fma_f64 v[6:7], v[130:131], v[134:135], -v[6:7]
	v_fmac_f64_e32 v[14:15], v[132:133], v[134:135]
	v_add_f64 v[2:3], v[2:3], v[12:13]
	s_add_i32 s4, s6, 1
	s_add_i32 s22, s22, 64
	;; [unrolled: 1-line block ×3, first 2 shown]
	v_add_co_u32_e32 v200, vcc, s10, v200
	v_add_f64 v[0:1], v[0:1], v[6:7]
	v_add_f64 v[2:3], v[2:3], v[14:15]
	s_cmp_ge_u32 s5, s33
	v_addc_co_u32_e32 v199, vcc, v199, v5, vcc
	s_barrier
	s_cbranch_scc1 .LBB16_184
; %bb.183:                              ;   in Loop: Header=BB16_132 Depth=1
	s_mov_b32 s6, s4
	s_cmp_eq_u32 s23, s6
	s_cselect_b32 s26, s36, 0
	s_and_saveexec_b64 s[4:5], s[0:1]
	s_cbranch_execnz .LBB16_128
	s_branch .LBB16_132
.LBB16_184:
	s_movk_i32 s2, 0x430
	v_cmp_gt_i32_e32 vcc, s20, v201
	v_mad_u32_u24 v4, v202, s2, v168
	s_or_b64 s[2:3], s[18:19], vcc
	s_and_b64 s[0:1], s[0:1], s[2:3]
	ds_write_b128 v4, v[0:3]
	s_waitcnt lgkmcnt(0)
	s_barrier
	s_and_saveexec_b64 s[2:3], s[0:1]
	s_cbranch_execz .LBB16_186
; %bb.185:
	ds_read_b128 v[0:3], v168 offset:1072
	ds_read_b128 v[4:7], v168
	ds_read_b128 v[8:11], v168 offset:2144
	ds_read_b128 v[12:15], v168 offset:3216
	s_waitcnt lgkmcnt(2)
	v_add_f64 v[0:1], v[0:1], v[4:5]
	v_add_f64 v[2:3], v[2:3], v[6:7]
	v_lshlrev_b64 v[4:5], 4, v[166:167]
	s_waitcnt lgkmcnt(1)
	v_add_f64 v[0:1], v[0:1], v[8:9]
	v_add_f64 v[2:3], v[2:3], v[10:11]
	v_mov_b32_e32 v6, s21
	v_add_co_u32_e32 v4, vcc, s7, v4
	s_waitcnt lgkmcnt(0)
	v_add_f64 v[0:1], v[0:1], v[12:13]
	v_add_f64 v[2:3], v[2:3], v[14:15]
	v_addc_co_u32_e32 v5, vcc, v6, v5, vcc
	global_store_dwordx4 v[4:5], v[0:3], off
.LBB16_186:
	s_endpgm
	.section	.rodata,"a",@progbits
	.p2align	6, 0x0
	.amdhsa_kernel _ZL26rocblas_hemvn_kernel_upperILb1ELi64ELi4ELi33ELi32ELi16ElPK19rocblas_complex_numIdES3_PS1_EviT6_lT7_lT5_lS6_lS7_lS5_lT8_i
		.amdhsa_group_segment_fixed_size 19200
		.amdhsa_private_segment_fixed_size 0
		.amdhsa_kernarg_size 376
		.amdhsa_user_sgpr_count 6
		.amdhsa_user_sgpr_private_segment_buffer 1
		.amdhsa_user_sgpr_dispatch_ptr 0
		.amdhsa_user_sgpr_queue_ptr 0
		.amdhsa_user_sgpr_kernarg_segment_ptr 1
		.amdhsa_user_sgpr_dispatch_id 0
		.amdhsa_user_sgpr_flat_scratch_init 0
		.amdhsa_user_sgpr_kernarg_preload_length 0
		.amdhsa_user_sgpr_kernarg_preload_offset 0
		.amdhsa_user_sgpr_private_segment_size 0
		.amdhsa_uses_dynamic_stack 0
		.amdhsa_system_sgpr_private_segment_wavefront_offset 0
		.amdhsa_system_sgpr_workgroup_id_x 1
		.amdhsa_system_sgpr_workgroup_id_y 0
		.amdhsa_system_sgpr_workgroup_id_z 1
		.amdhsa_system_sgpr_workgroup_info 0
		.amdhsa_system_vgpr_workitem_id 1
		.amdhsa_next_free_vgpr 230
		.amdhsa_next_free_sgpr 42
		.amdhsa_accum_offset 232
		.amdhsa_reserve_vcc 1
		.amdhsa_reserve_flat_scratch 0
		.amdhsa_float_round_mode_32 0
		.amdhsa_float_round_mode_16_64 0
		.amdhsa_float_denorm_mode_32 3
		.amdhsa_float_denorm_mode_16_64 3
		.amdhsa_dx10_clamp 1
		.amdhsa_ieee_mode 1
		.amdhsa_fp16_overflow 0
		.amdhsa_tg_split 0
		.amdhsa_exception_fp_ieee_invalid_op 0
		.amdhsa_exception_fp_denorm_src 0
		.amdhsa_exception_fp_ieee_div_zero 0
		.amdhsa_exception_fp_ieee_overflow 0
		.amdhsa_exception_fp_ieee_underflow 0
		.amdhsa_exception_fp_ieee_inexact 0
		.amdhsa_exception_int_div_zero 0
	.end_amdhsa_kernel
	.section	.text._ZL26rocblas_hemvn_kernel_upperILb1ELi64ELi4ELi33ELi32ELi16ElPK19rocblas_complex_numIdES3_PS1_EviT6_lT7_lT5_lS6_lS7_lS5_lT8_i,"axG",@progbits,_ZL26rocblas_hemvn_kernel_upperILb1ELi64ELi4ELi33ELi32ELi16ElPK19rocblas_complex_numIdES3_PS1_EviT6_lT7_lT5_lS6_lS7_lS5_lT8_i,comdat
.Lfunc_end16:
	.size	_ZL26rocblas_hemvn_kernel_upperILb1ELi64ELi4ELi33ELi32ELi16ElPK19rocblas_complex_numIdES3_PS1_EviT6_lT7_lT5_lS6_lS7_lS5_lT8_i, .Lfunc_end16-_ZL26rocblas_hemvn_kernel_upperILb1ELi64ELi4ELi33ELi32ELi16ElPK19rocblas_complex_numIdES3_PS1_EviT6_lT7_lT5_lS6_lS7_lS5_lT8_i
                                        ; -- End function
	.section	.AMDGPU.csdata,"",@progbits
; Kernel info:
; codeLenInByte = 11272
; NumSgprs: 46
; NumVgprs: 230
; NumAgprs: 0
; TotalNumVgprs: 230
; ScratchSize: 0
; MemoryBound: 1
; FloatMode: 240
; IeeeMode: 1
; LDSByteSize: 19200 bytes/workgroup (compile time only)
; SGPRBlocks: 5
; VGPRBlocks: 28
; NumSGPRsForWavesPerEU: 46
; NumVGPRsForWavesPerEU: 230
; AccumOffset: 232
; Occupancy: 2
; WaveLimiterHint : 0
; COMPUTE_PGM_RSRC2:SCRATCH_EN: 0
; COMPUTE_PGM_RSRC2:USER_SGPR: 6
; COMPUTE_PGM_RSRC2:TRAP_HANDLER: 0
; COMPUTE_PGM_RSRC2:TGID_X_EN: 1
; COMPUTE_PGM_RSRC2:TGID_Y_EN: 0
; COMPUTE_PGM_RSRC2:TGID_Z_EN: 1
; COMPUTE_PGM_RSRC2:TIDIG_COMP_CNT: 1
; COMPUTE_PGM_RSRC3_GFX90A:ACCUM_OFFSET: 57
; COMPUTE_PGM_RSRC3_GFX90A:TG_SPLIT: 0
	.section	.text._ZL36rocblas_hemvn_kernel_upper_block_sumILi64ElPK19rocblas_complex_numIdEPS1_S1_EviT1_lS5_lT2_lT0_lPT3_i,"axG",@progbits,_ZL36rocblas_hemvn_kernel_upper_block_sumILi64ElPK19rocblas_complex_numIdEPS1_S1_EviT1_lS5_lT2_lT0_lPT3_i,comdat
	.globl	_ZL36rocblas_hemvn_kernel_upper_block_sumILi64ElPK19rocblas_complex_numIdEPS1_S1_EviT1_lS5_lT2_lT0_lPT3_i ; -- Begin function _ZL36rocblas_hemvn_kernel_upper_block_sumILi64ElPK19rocblas_complex_numIdEPS1_S1_EviT1_lS5_lT2_lT0_lPT3_i
	.p2align	8
	.type	_ZL36rocblas_hemvn_kernel_upper_block_sumILi64ElPK19rocblas_complex_numIdEPS1_S1_EviT1_lS5_lT2_lT0_lPT3_i,@function
_ZL36rocblas_hemvn_kernel_upper_block_sumILi64ElPK19rocblas_complex_numIdEPS1_S1_EviT1_lS5_lT2_lT0_lPT3_i: ; @_ZL36rocblas_hemvn_kernel_upper_block_sumILi64ElPK19rocblas_complex_numIdEPS1_S1_EviT1_lS5_lT2_lT0_lPT3_i
; %bb.0:
	s_load_dwordx8 s[8:15], s[4:5], 0x8
	s_waitcnt lgkmcnt(0)
	s_mul_i32 s0, s7, s11
	s_mul_hi_u32 s1, s7, s10
	s_add_i32 s1, s1, s0
	s_mul_i32 s0, s7, s10
	s_lshl_b64 s[0:1], s[0:1], 4
	s_add_u32 s0, s8, s0
	s_addc_u32 s1, s9, s1
	s_load_dwordx4 s[20:23], s[0:1], 0x0
	s_mul_i32 s0, s7, s15
	s_mul_hi_u32 s1, s7, s14
	s_add_i32 s1, s1, s0
	s_mul_i32 s0, s7, s14
	s_lshl_b64 s[0:1], s[0:1], 4
	s_add_u32 s0, s12, s0
	s_addc_u32 s1, s13, s1
	s_load_dwordx4 s[16:19], s[0:1], 0x0
	s_waitcnt lgkmcnt(0)
	v_cmp_neq_f64_e64 s[0:1], s[20:21], 0
	v_cmp_neq_f64_e64 s[2:3], s[22:23], 0
	s_or_b64 s[0:1], s[0:1], s[2:3]
	s_mov_b64 s[2:3], -1
	s_and_b64 vcc, exec, s[0:1]
	s_cbranch_vccnz .LBB17_2
; %bb.1:
	v_cmp_neq_f64_e64 s[2:3], s[16:17], 1.0
	v_cmp_neq_f64_e64 s[8:9], s[18:19], 0
	s_or_b64 s[2:3], s[2:3], s[8:9]
.LBB17_2:
	s_andn2_b64 vcc, exec, s[2:3]
	s_cbranch_vccnz .LBB17_22
; %bb.3:
	s_load_dwordx8 s[8:15], s[4:5], 0x30
	s_load_dwordx2 s[2:3], s[4:5], 0x28
	s_load_dword s24, s[4:5], 0x0
	s_xor_b64 s[0:1], s[0:1], -1
	v_lshl_or_b32 v4, s6, 6, v0
	s_waitcnt lgkmcnt(0)
	s_mul_i32 s13, s7, s13
	s_mul_hi_u32 s25, s7, s12
	s_mul_i32 s12, s7, s12
	s_add_i32 s13, s25, s13
	s_lshl_b64 s[12:13], s[12:13], 4
	s_add_u32 s12, s2, s12
	s_addc_u32 s13, s3, s13
	s_lshl_b64 s[2:3], s[8:9], 4
	s_add_u32 s26, s12, s2
	s_addc_u32 s27, s13, s3
	s_andn2_b64 vcc, exec, s[0:1]
	v_cmp_gt_i32_e64 s[0:1], s24, v4
	s_cbranch_vccnz .LBB17_8
; %bb.4:
	s_mov_b64 s[8:9], 0
	s_mov_b64 s[2:3], 0
                                        ; implicit-def: $vgpr2_vgpr3
                                        ; implicit-def: $vgpr6_vgpr7
	s_and_saveexec_b64 s[12:13], s[0:1]
	s_cbranch_execz .LBB17_9
; %bb.5:
	v_cmp_neq_f64_e64 s[0:1], s[16:17], 0
	v_cmp_neq_f64_e64 s[2:3], s[18:19], 0
	v_ashrrev_i32_e32 v0, 31, v4
	v_pk_mov_b32 v[2:3], 0, 0
	v_mul_lo_u32 v1, v4, s11
	v_mul_lo_u32 v0, v0, s10
	v_mad_u64_u32 v[6:7], s[28:29], v4, s10, 0
	s_or_b64 s[0:1], s[0:1], s[2:3]
	v_add3_u32 v7, v7, v1, v0
	s_andn2_b64 vcc, exec, s[0:1]
	v_pk_mov_b32 v[0:1], v[2:3], v[2:3] op_sel:[0,1]
	s_cbranch_vccnz .LBB17_7
; %bb.6:
	v_lshlrev_b64 v[0:1], 4, v[6:7]
	v_mov_b32_e32 v2, s27
	v_add_co_u32_e32 v0, vcc, s26, v0
	v_addc_co_u32_e32 v1, vcc, v2, v1, vcc
	global_load_dwordx4 v[8:11], v[0:1], off
	s_waitcnt vmcnt(0)
	v_mul_f64 v[0:1], s[18:19], v[10:11]
	v_mul_f64 v[2:3], s[16:17], v[10:11]
	v_fma_f64 v[0:1], s[16:17], v[8:9], -v[0:1]
	v_fmac_f64_e32 v[2:3], s[18:19], v[8:9]
.LBB17_7:
	s_mov_b64 s[2:3], exec
	s_or_b64 exec, exec, s[12:13]
	s_and_b64 vcc, exec, s[8:9]
	s_cbranch_vccnz .LBB17_10
	s_branch .LBB17_20
.LBB17_8:
	s_mov_b64 s[2:3], 0
                                        ; implicit-def: $vgpr2_vgpr3
                                        ; implicit-def: $vgpr6_vgpr7
	s_cbranch_execnz .LBB17_10
	s_branch .LBB17_20
.LBB17_9:
	s_or_b64 exec, exec, s[12:13]
	s_and_b64 vcc, exec, s[8:9]
	s_cbranch_vccz .LBB17_20
.LBB17_10:
	v_cmp_gt_i32_e32 vcc, s24, v4
                                        ; implicit-def: $vgpr2_vgpr3
                                        ; implicit-def: $vgpr6_vgpr7
	s_and_saveexec_b64 s[0:1], vcc
	s_cbranch_execz .LBB17_19
; %bb.11:
	v_pk_mov_b32 v[0:1], 0, 0
	v_ashrrev_i32_e32 v5, 31, v4
	s_cmp_lt_i32 s6, 0
	v_pk_mov_b32 v[6:7], v[0:1], v[0:1] op_sel:[0,1]
	s_cbranch_scc1 .LBB17_14
; %bb.12:
	s_load_dword s4, s[4:5], 0x58
	s_ashr_i32 s25, s24, 31
	s_mul_hi_u32 s5, s24, s7
	s_mul_i32 s8, s25, s7
	s_add_i32 s5, s5, s8
	s_mul_i32 s7, s24, s7
	s_waitcnt lgkmcnt(0)
	s_mul_i32 s5, s5, s4
	s_mul_hi_u32 s8, s7, s4
	s_add_i32 s5, s8, s5
	s_mul_i32 s4, s7, s4
	s_add_i32 s6, s6, 1
	s_lshl_b64 s[4:5], s[4:5], 4
	s_add_u32 s4, s14, s4
	v_lshlrev_b64 v[0:1], 4, v[4:5]
	s_addc_u32 s5, s15, s5
	v_mov_b32_e32 v2, s5
	v_add_co_u32_e32 v0, vcc, s4, v0
	v_addc_co_u32_e32 v1, vcc, v2, v1, vcc
	v_add_co_u32_e32 v2, vcc, 8, v0
	v_addc_co_u32_e32 v3, vcc, 0, v1, vcc
	s_lshl_b64 s[4:5], s[24:25], 4
	v_pk_mov_b32 v[0:1], 0, 0
	v_mov_b32_e32 v8, s5
	v_pk_mov_b32 v[6:7], v[0:1], v[0:1] op_sel:[0,1]
.LBB17_13:                              ; =>This Inner Loop Header: Depth=1
	global_load_dwordx4 v[10:13], v[2:3], off offset:-8
	s_add_i32 s6, s6, -1
	v_add_co_u32_e32 v2, vcc, s4, v2
	v_addc_co_u32_e32 v3, vcc, v3, v8, vcc
	s_cmp_eq_u32 s6, 0
	s_waitcnt vmcnt(0)
	v_add_f64 v[6:7], v[6:7], v[10:11]
	v_add_f64 v[0:1], v[0:1], v[12:13]
	s_cbranch_scc0 .LBB17_13
.LBB17_14:
	v_cmp_neq_f64_e64 s[6:7], s[16:17], 0
	v_cmp_neq_f64_e64 s[8:9], s[18:19], 0
	s_or_b64 s[6:7], s[6:7], s[8:9]
	v_mul_f64 v[8:9], s[22:23], v[0:1]
	v_mul_f64 v[2:3], s[20:21], v[0:1]
	s_mov_b64 s[4:5], 0
	s_andn2_b64 vcc, exec, s[6:7]
	v_fma_f64 v[0:1], s[20:21], v[6:7], -v[8:9]
	v_fmac_f64_e32 v[2:3], s[22:23], v[6:7]
	v_mul_lo_u32 v5, v5, s10
	v_mul_lo_u32 v8, v4, s11
	s_cbranch_vccz .LBB17_16
; %bb.15:
	v_mad_u64_u32 v[6:7], s[6:7], v4, s10, 0
	v_add3_u32 v7, v7, v8, v5
	s_andn2_b64 vcc, exec, s[4:5]
	s_cbranch_vccz .LBB17_17
	s_branch .LBB17_18
.LBB17_16:
                                        ; implicit-def: $vgpr6_vgpr7
.LBB17_17:
	v_mad_u64_u32 v[6:7], s[4:5], v4, s10, 0
	v_add3_u32 v7, v7, v8, v5
	v_lshlrev_b64 v[4:5], 4, v[6:7]
	v_mov_b32_e32 v8, s27
	v_add_co_u32_e32 v4, vcc, s26, v4
	v_addc_co_u32_e32 v5, vcc, v8, v5, vcc
	global_load_dwordx4 v[8:11], v[4:5], off
	s_waitcnt vmcnt(0)
	v_mul_f64 v[4:5], s[18:19], v[10:11]
	v_mul_f64 v[10:11], s[16:17], v[10:11]
	v_fma_f64 v[4:5], s[16:17], v[8:9], -v[4:5]
	v_fmac_f64_e32 v[10:11], s[18:19], v[8:9]
	v_add_f64 v[0:1], v[0:1], v[4:5]
	v_add_f64 v[2:3], v[2:3], v[10:11]
.LBB17_18:
	s_or_b64 s[2:3], s[2:3], exec
.LBB17_19:
	s_or_b64 exec, exec, s[0:1]
.LBB17_20:
	s_and_saveexec_b64 s[0:1], s[2:3]
	s_cbranch_execz .LBB17_22
; %bb.21:
	v_lshlrev_b64 v[4:5], 4, v[6:7]
	v_mov_b32_e32 v6, s27
	v_add_co_u32_e32 v4, vcc, s26, v4
	v_addc_co_u32_e32 v5, vcc, v6, v5, vcc
	global_store_dwordx4 v[4:5], v[0:3], off
.LBB17_22:
	s_endpgm
	.section	.rodata,"a",@progbits
	.p2align	6, 0x0
	.amdhsa_kernel _ZL36rocblas_hemvn_kernel_upper_block_sumILi64ElPK19rocblas_complex_numIdEPS1_S1_EviT1_lS5_lT2_lT0_lPT3_i
		.amdhsa_group_segment_fixed_size 0
		.amdhsa_private_segment_fixed_size 0
		.amdhsa_kernarg_size 344
		.amdhsa_user_sgpr_count 6
		.amdhsa_user_sgpr_private_segment_buffer 1
		.amdhsa_user_sgpr_dispatch_ptr 0
		.amdhsa_user_sgpr_queue_ptr 0
		.amdhsa_user_sgpr_kernarg_segment_ptr 1
		.amdhsa_user_sgpr_dispatch_id 0
		.amdhsa_user_sgpr_flat_scratch_init 0
		.amdhsa_user_sgpr_kernarg_preload_length 0
		.amdhsa_user_sgpr_kernarg_preload_offset 0
		.amdhsa_user_sgpr_private_segment_size 0
		.amdhsa_uses_dynamic_stack 0
		.amdhsa_system_sgpr_private_segment_wavefront_offset 0
		.amdhsa_system_sgpr_workgroup_id_x 1
		.amdhsa_system_sgpr_workgroup_id_y 0
		.amdhsa_system_sgpr_workgroup_id_z 1
		.amdhsa_system_sgpr_workgroup_info 0
		.amdhsa_system_vgpr_workitem_id 0
		.amdhsa_next_free_vgpr 14
		.amdhsa_next_free_sgpr 30
		.amdhsa_accum_offset 16
		.amdhsa_reserve_vcc 1
		.amdhsa_reserve_flat_scratch 0
		.amdhsa_float_round_mode_32 0
		.amdhsa_float_round_mode_16_64 0
		.amdhsa_float_denorm_mode_32 3
		.amdhsa_float_denorm_mode_16_64 3
		.amdhsa_dx10_clamp 1
		.amdhsa_ieee_mode 1
		.amdhsa_fp16_overflow 0
		.amdhsa_tg_split 0
		.amdhsa_exception_fp_ieee_invalid_op 0
		.amdhsa_exception_fp_denorm_src 0
		.amdhsa_exception_fp_ieee_div_zero 0
		.amdhsa_exception_fp_ieee_overflow 0
		.amdhsa_exception_fp_ieee_underflow 0
		.amdhsa_exception_fp_ieee_inexact 0
		.amdhsa_exception_int_div_zero 0
	.end_amdhsa_kernel
	.section	.text._ZL36rocblas_hemvn_kernel_upper_block_sumILi64ElPK19rocblas_complex_numIdEPS1_S1_EviT1_lS5_lT2_lT0_lPT3_i,"axG",@progbits,_ZL36rocblas_hemvn_kernel_upper_block_sumILi64ElPK19rocblas_complex_numIdEPS1_S1_EviT1_lS5_lT2_lT0_lPT3_i,comdat
.Lfunc_end17:
	.size	_ZL36rocblas_hemvn_kernel_upper_block_sumILi64ElPK19rocblas_complex_numIdEPS1_S1_EviT1_lS5_lT2_lT0_lPT3_i, .Lfunc_end17-_ZL36rocblas_hemvn_kernel_upper_block_sumILi64ElPK19rocblas_complex_numIdEPS1_S1_EviT1_lS5_lT2_lT0_lPT3_i
                                        ; -- End function
	.section	.AMDGPU.csdata,"",@progbits
; Kernel info:
; codeLenInByte = 892
; NumSgprs: 34
; NumVgprs: 14
; NumAgprs: 0
; TotalNumVgprs: 14
; ScratchSize: 0
; MemoryBound: 0
; FloatMode: 240
; IeeeMode: 1
; LDSByteSize: 0 bytes/workgroup (compile time only)
; SGPRBlocks: 4
; VGPRBlocks: 1
; NumSGPRsForWavesPerEU: 34
; NumVGPRsForWavesPerEU: 14
; AccumOffset: 16
; Occupancy: 8
; WaveLimiterHint : 0
; COMPUTE_PGM_RSRC2:SCRATCH_EN: 0
; COMPUTE_PGM_RSRC2:USER_SGPR: 6
; COMPUTE_PGM_RSRC2:TRAP_HANDLER: 0
; COMPUTE_PGM_RSRC2:TGID_X_EN: 1
; COMPUTE_PGM_RSRC2:TGID_Y_EN: 0
; COMPUTE_PGM_RSRC2:TGID_Z_EN: 1
; COMPUTE_PGM_RSRC2:TIDIG_COMP_CNT: 0
; COMPUTE_PGM_RSRC3_GFX90A:ACCUM_OFFSET: 3
; COMPUTE_PGM_RSRC3_GFX90A:TG_SPLIT: 0
	.section	.text._ZL26rocblas_hemvn_kernel_upperILb1ELi64ELi4ELi33ELi32ELi16EiPK19rocblas_complex_numIdES3_PS1_EviT6_lT7_lT5_lS6_lS7_lS5_lT8_i,"axG",@progbits,_ZL26rocblas_hemvn_kernel_upperILb1ELi64ELi4ELi33ELi32ELi16EiPK19rocblas_complex_numIdES3_PS1_EviT6_lT7_lT5_lS6_lS7_lS5_lT8_i,comdat
	.globl	_ZL26rocblas_hemvn_kernel_upperILb1ELi64ELi4ELi33ELi32ELi16EiPK19rocblas_complex_numIdES3_PS1_EviT6_lT7_lT5_lS6_lS7_lS5_lT8_i ; -- Begin function _ZL26rocblas_hemvn_kernel_upperILb1ELi64ELi4ELi33ELi32ELi16EiPK19rocblas_complex_numIdES3_PS1_EviT6_lT7_lT5_lS6_lS7_lS5_lT8_i
	.p2align	8
	.type	_ZL26rocblas_hemvn_kernel_upperILb1ELi64ELi4ELi33ELi32ELi16EiPK19rocblas_complex_numIdES3_PS1_EviT6_lT7_lT5_lS6_lS7_lS5_lT8_i,@function
_ZL26rocblas_hemvn_kernel_upperILb1ELi64ELi4ELi33ELi32ELi16EiPK19rocblas_complex_numIdES3_PS1_EviT6_lT7_lT5_lS6_lS7_lS5_lT8_i: ; @_ZL26rocblas_hemvn_kernel_upperILb1ELi64ELi4ELi33ELi32ELi16EiPK19rocblas_complex_numIdES3_PS1_EviT6_lT7_lT5_lS6_lS7_lS5_lT8_i
; %bb.0:
	s_load_dwordx2 s[2:3], s[4:5], 0x84
	s_add_u32 s0, s4, 0x78
	s_addc_u32 s1, s5, 0
	s_waitcnt lgkmcnt(0)
	s_lshr_b32 s8, s2, 16
	s_and_b32 s2, s2, 0xffff
	s_and_b32 s3, s3, 0xffff
	s_mul_i32 s2, s8, s2
	s_mul_i32 s2, s2, s3
	s_cmpk_lg_i32 s2, 0x100
	s_cbranch_scc1 .LBB18_186
; %bb.1:
	s_load_dwordx8 s[16:23], s[4:5], 0x8
	s_waitcnt lgkmcnt(0)
	s_mul_i32 s3, s7, s19
	s_mul_hi_u32 s8, s7, s18
	s_mul_i32 s2, s7, s18
	s_add_i32 s3, s8, s3
	s_lshl_b64 s[2:3], s[2:3], 4
	s_add_u32 s2, s16, s2
	s_addc_u32 s3, s17, s3
	s_load_dwordx4 s[8:11], s[2:3], 0x0
	s_load_dwordx8 s[12:19], s[4:5], 0x50
	s_waitcnt lgkmcnt(0)
	v_cmp_neq_f64_e64 s[2:3], s[8:9], 0
	v_cmp_neq_f64_e64 s[8:9], s[10:11], 0
	s_or_b64 s[2:3], s[2:3], s[8:9]
	s_mov_b64 s[8:9], -1
	s_and_b64 vcc, exec, s[2:3]
	s_cbranch_vccnz .LBB18_3
; %bb.2:
	s_mul_i32 s8, s7, s17
	s_mul_hi_u32 s9, s7, s16
	s_add_i32 s9, s9, s8
	s_mul_i32 s8, s7, s16
	s_lshl_b64 s[8:9], s[8:9], 4
	s_add_u32 s8, s14, s8
	s_addc_u32 s9, s15, s9
	s_load_dwordx4 s[8:11], s[8:9], 0x0
	s_waitcnt lgkmcnt(0)
	v_cmp_neq_f64_e64 s[8:9], s[8:9], 1.0
	v_cmp_neq_f64_e64 s[10:11], s[10:11], 0
	s_or_b64 s[8:9], s[8:9], s[10:11]
.LBB18_3:
	s_andn2_b64 vcc, exec, s[8:9]
	s_cbranch_vccnz .LBB18_186
; %bb.4:
	s_andn2_b64 vcc, exec, s[2:3]
	s_cbranch_vccnz .LBB18_186
; %bb.5:
	s_load_dword s33, s[0:1], 0x0
	s_load_dword s40, s[4:5], 0x0
	s_load_dwordx4 s[8:11], s[4:5], 0x30
	s_load_dwordx2 s[2:3], s[4:5], 0x40
	s_load_dword s39, s[4:5], 0x48
	s_mul_i32 s0, s7, s13
	s_mul_hi_u32 s1, s7, s12
	s_add_i32 s1, s1, s0
	s_mul_i32 s0, s7, s12
	s_lshl_b64 s[0:1], s[0:1], 4
	s_waitcnt lgkmcnt(0)
	s_add_u32 s10, s10, s0
	s_addc_u32 s11, s11, s1
	s_lshl_b64 s[0:1], s[2:3], 4
	s_add_u32 s0, s10, s0
	s_addc_u32 s1, s11, s1
	v_and_b32_e32 v168, 0x3ff, v0
	s_lshl_b32 s24, s6, 6
	s_ashr_i32 s41, s40, 31
	s_lshr_b32 s3, s41, 26
	v_add_u32_e32 v166, s24, v168
	v_bfe_u32 v209, v0, 10, 10
	s_add_i32 s3, s40, s3
	v_mul_lo_u32 v0, v166, s39
	s_andn2_b32 s3, s3, 63
	v_ashrrev_i32_e32 v1, 31, v0
	s_add_i32 s2, s33, -1
	s_sub_i32 s38, s40, s3
	v_lshlrev_b64 v[0:1], 4, v[0:1]
	s_cmp_eq_u32 s6, s2
	v_mov_b32_e32 v2, s1
	v_add_co_u32_e32 v36, vcc, s0, v0
	s_cselect_b32 s16, s38, 0
	v_addc_co_u32_e32 v37, vcc, v2, v1, vcc
	v_cmp_eq_u32_e64 s[0:1], 0, v209
	s_and_saveexec_b64 s[2:3], s[0:1]
	s_cbranch_execz .LBB18_10
; %bb.6:
	s_cmp_lg_u32 s16, 0
	s_cselect_b64 s[10:11], -1, 0
	v_cmp_le_i32_e32 vcc, s16, v168
	v_mov_b32_e32 v0, 0x4700
	s_and_b64 s[10:11], s[10:11], vcc
	v_lshl_add_u32 v0, v168, 4, v0
	s_and_saveexec_b64 s[12:13], s[10:11]
	s_xor_b64 s[10:11], exec, s[12:13]
	s_cbranch_execz .LBB18_8
; %bb.7:
	v_mov_b32_e32 v2, 0
	v_mov_b32_e32 v3, v2
	;; [unrolled: 1-line block ×4, first 2 shown]
	ds_write_b128 v0, v[2:5]
                                        ; implicit-def: $vgpr0
.LBB18_8:
	s_andn2_saveexec_b64 s[10:11], s[10:11]
	s_cbranch_execz .LBB18_10
; %bb.9:
	global_load_dwordx4 v[2:5], v[36:37], off
	s_waitcnt vmcnt(0)
	ds_write2_b64 v0, v[2:3], v[4:5] offset1:1
.LBB18_10:
	s_or_b64 exec, exec, s[2:3]
	s_mul_i32 s2, s7, s9
	s_mul_hi_u32 s3, s7, s8
	s_add_i32 s3, s3, s2
	s_mul_i32 s2, s7, s8
	s_lshl_b64 s[2:3], s[2:3], 4
	s_add_u32 s8, s20, s2
	s_addc_u32 s9, s21, s3
	s_lshl_b64 s[2:3], s[22:23], 4
	s_load_dword s22, s[4:5], 0x28
	s_add_u32 s8, s8, s2
	s_addc_u32 s9, s9, s3
	s_ashr_i32 s25, s24, 31
	v_lshl_add_u32 v42, v209, 6, v168
	s_lshl_b64 s[2:3], s[24:25], 4
	v_and_b32_e32 v4, 31, v168
	v_lshrrev_b32_e32 v5, 5, v42
	s_add_u32 s4, s8, s2
	s_addc_u32 s5, s9, s3
	s_waitcnt lgkmcnt(0)
	v_mad_u64_u32 v[0:1], s[2:3], v5, s22, v[4:5]
	s_mul_i32 s2, s24, s22
	s_ashr_i32 s3, s2, 31
	s_lshl_b64 s[2:3], s[2:3], 4
	s_add_u32 s2, s2, s4
	v_ashrrev_i32_e32 v1, 31, v0
	s_addc_u32 s3, s3, s5
	v_lshlrev_b64 v[38:39], 4, v[0:1]
	s_cmp_eq_u32 s16, 0
	v_mov_b32_e32 v1, s3
	v_add_co_u32_e32 v0, vcc, s2, v38
	s_cselect_b64 s[20:21], -1, 0
	s_cmp_lg_u32 s16, 0
	v_addc_co_u32_e32 v1, vcc, v1, v39, vcc
	s_cselect_b64 s[30:31], -1, 0
	s_and_b64 vcc, exec, s[30:31]
	v_cmp_gt_i32_e64 s[2:3], s16, v4
	v_lshlrev_b32_e32 v13, 4, v4
	v_mul_u32_u24_e32 v12, 33, v5
	s_cbranch_vccz .LBB18_28
; %bb.11:
	v_sub_co_u32_e32 v2, vcc, v0, v13
	s_ashr_i32 s17, s16, 31
	v_subbrev_co_u32_e32 v3, vcc, 0, v1, vcc
	s_lshl_b64 s[4:5], s[16:17], 4
	v_mov_b32_e32 v6, s5
	v_add_co_u32_e32 v2, vcc, s4, v2
	v_addc_co_u32_e32 v3, vcc, v3, v6, vcc
	v_add_co_u32_e32 v2, vcc, -16, v2
	v_addc_co_u32_e32 v3, vcc, -1, v3, vcc
	v_cndmask_b32_e64 v3, v3, v1, s[2:3]
	v_cndmask_b32_e64 v2, v2, v0, s[2:3]
	v_cmp_le_i32_e32 vcc, s16, v5
	v_add_lshl_u32 v6, v12, v4, 4
	s_and_saveexec_b64 s[8:9], vcc
	s_xor_b64 s[8:9], exec, s[8:9]
	s_cbranch_execz .LBB18_13
; %bb.12:
	v_mov_b32_e32 v8, 0
	v_mov_b32_e32 v9, v8
	;; [unrolled: 1-line block ×4, first 2 shown]
	ds_write_b128 v6, v[8:11]
.LBB18_13:
	s_andn2_saveexec_b64 s[8:9], s[8:9]
	s_cbranch_execz .LBB18_15
; %bb.14:
	global_load_dwordx4 v[8:11], v[2:3], off
	s_waitcnt vmcnt(0)
	ds_write2_b64 v6, v[8:9], v[10:11] offset1:1
.LBB18_15:
	s_or_b64 exec, exec, s[8:9]
	v_add_u32_e32 v7, 8, v5
	v_cmp_le_i32_e32 vcc, s16, v7
	s_and_saveexec_b64 s[8:9], vcc
	s_xor_b64 s[8:9], exec, s[8:9]
	s_cbranch_execz .LBB18_17
; %bb.16:
	v_mul_u32_u24_e32 v7, 33, v7
	v_mov_b32_e32 v8, 0
	v_add_lshl_u32 v7, v7, v4, 4
	v_mov_b32_e32 v9, v8
	v_mov_b32_e32 v10, v8
	;; [unrolled: 1-line block ×3, first 2 shown]
	ds_write_b128 v7, v[8:11]
.LBB18_17:
	s_andn2_saveexec_b64 s[8:9], s[8:9]
	s_cbranch_execz .LBB18_19
; %bb.18:
	s_lshl_b32 s10, s22, 3
	s_ashr_i32 s11, s10, 31
	s_lshl_b64 s[10:11], s[10:11], 4
	v_mov_b32_e32 v7, s11
	v_add_co_u32_e32 v8, vcc, s10, v2
	v_addc_co_u32_e32 v9, vcc, v3, v7, vcc
	global_load_dwordx4 v[8:11], v[8:9], off
	v_add_u32_e32 v7, 0x1080, v6
	s_waitcnt vmcnt(0)
	ds_write2_b64 v7, v[8:9], v[10:11] offset1:1
.LBB18_19:
	s_or_b64 exec, exec, s[8:9]
	v_add_u32_e32 v7, 16, v5
	v_cmp_le_i32_e32 vcc, s16, v7
	s_and_saveexec_b64 s[8:9], vcc
	s_xor_b64 s[8:9], exec, s[8:9]
	s_cbranch_execz .LBB18_21
; %bb.20:
	v_mul_u32_u24_e32 v7, 33, v7
	v_mov_b32_e32 v8, 0
	v_add_lshl_u32 v7, v7, v4, 4
	v_mov_b32_e32 v9, v8
	v_mov_b32_e32 v10, v8
	;; [unrolled: 1-line block ×3, first 2 shown]
	ds_write_b128 v7, v[8:11]
.LBB18_21:
	s_andn2_saveexec_b64 s[8:9], s[8:9]
	s_cbranch_execz .LBB18_23
; %bb.22:
	s_lshl_b32 s10, s22, 4
	s_ashr_i32 s11, s10, 31
	s_lshl_b64 s[10:11], s[10:11], 4
	v_mov_b32_e32 v7, s11
	v_add_co_u32_e32 v8, vcc, s10, v2
	v_addc_co_u32_e32 v9, vcc, v3, v7, vcc
	global_load_dwordx4 v[8:11], v[8:9], off
	v_add_u32_e32 v7, 0x2100, v6
	s_waitcnt vmcnt(0)
	ds_write2_b64 v7, v[8:9], v[10:11] offset1:1
.LBB18_23:
	s_or_b64 exec, exec, s[8:9]
	v_add_u32_e32 v7, 24, v5
	v_cmp_le_i32_e32 vcc, s16, v7
	s_and_saveexec_b64 s[8:9], vcc
	s_xor_b64 s[8:9], exec, s[8:9]
	s_cbranch_execz .LBB18_25
; %bb.24:
	v_mov_b32_e32 v8, 0
	v_mov_b32_e32 v9, v8
	;; [unrolled: 1-line block ×4, first 2 shown]
	ds_write_b128 v6, v[8:11] offset:12672
                                        ; implicit-def: $vgpr6
.LBB18_25:
	s_andn2_saveexec_b64 s[8:9], s[8:9]
	s_cbranch_execz .LBB18_27
; %bb.26:
	s_mul_i32 s10, s22, 24
	s_ashr_i32 s11, s10, 31
	s_lshl_b64 s[10:11], s[10:11], 4
	v_mov_b32_e32 v7, s11
	v_add_co_u32_e32 v8, vcc, s10, v2
	v_addc_co_u32_e32 v9, vcc, v3, v7, vcc
	global_load_dwordx4 v[8:11], v[8:9], off
	v_add_u32_e32 v6, 0x3180, v6
	s_waitcnt vmcnt(0)
	ds_write2_b64 v6, v[8:9], v[10:11] offset1:1
.LBB18_27:
	s_or_b64 exec, exec, s[8:9]
	v_add_co_u32_e32 v2, vcc, v2, v13
	v_addc_co_u32_e32 v3, vcc, 0, v3, vcc
	v_mov_b32_e32 v6, s5
	v_subrev_co_u32_e32 v2, vcc, s4, v2
	v_subb_co_u32_e32 v3, vcc, v3, v6, vcc
	v_add_co_u32_e32 v2, vcc, 16, v2
	v_addc_co_u32_e32 v3, vcc, 0, v3, vcc
	v_cndmask_b32_e64 v7, v3, v1, s[2:3]
	v_cndmask_b32_e64 v6, v2, v0, s[2:3]
	s_branch .LBB18_30
.LBB18_28:
                                        ; implicit-def: $vgpr6_vgpr7
	s_cbranch_execz .LBB18_30
; %bb.29:
	s_lshl_b32 s2, s22, 3
	s_ashr_i32 s3, s2, 31
	s_lshl_b64 s[2:3], s[2:3], 4
	v_mov_b32_e32 v3, s3
	v_add_co_u32_e32 v2, vcc, s2, v0
	s_ashr_i32 s23, s22, 31
	v_addc_co_u32_e32 v3, vcc, v1, v3, vcc
	s_lshl_b64 s[2:3], s[22:23], 7
	global_load_dwordx4 v[6:9], v[0:1], off
	global_load_dwordx4 v[14:17], v[2:3], off
	v_mov_b32_e32 v10, s3
	v_add_co_u32_e32 v2, vcc, s2, v2
	v_addc_co_u32_e32 v3, vcc, v3, v10, vcc
	global_load_dwordx4 v[18:21], v[2:3], off
	v_add_co_u32_e32 v2, vcc, s2, v2
	v_addc_co_u32_e32 v3, vcc, v3, v10, vcc
	global_load_dwordx4 v[22:25], v[2:3], off
	v_add_lshl_u32 v2, v12, v4, 4
	v_add_u32_e32 v3, 0x1080, v2
	v_add_u32_e32 v10, 0x2100, v2
	;; [unrolled: 1-line block ×3, first 2 shown]
	s_waitcnt vmcnt(3)
	ds_write2_b64 v2, v[6:7], v[8:9] offset1:1
	s_waitcnt vmcnt(2)
	ds_write2_b64 v3, v[14:15], v[16:17] offset1:1
	;; [unrolled: 2-line block ×4, first 2 shown]
	v_pk_mov_b32 v[6:7], v[0:1], v[0:1] op_sel:[0,1]
.LBB18_30:
	v_lshlrev_b32_e32 v15, 2, v5
	v_cmp_le_u32_e64 s[4:5], v15, v4
	s_waitcnt lgkmcnt(0)
	s_barrier
	s_and_saveexec_b64 s[2:3], s[4:5]
	s_xor_b64 s[2:3], exec, s[2:3]
	s_cbranch_execz .LBB18_34
; %bb.31:
	v_cmp_eq_u32_e32 vcc, v15, v4
	s_and_saveexec_b64 s[8:9], vcc
	s_cbranch_execz .LBB18_33
; %bb.32:
	v_mul_u32_u24_e32 v0, 34, v4
	v_lshlrev_b32_e32 v2, 4, v0
	v_mov_b32_e32 v0, 0
	v_mov_b32_e32 v1, v0
	ds_write_b64 v2, v[0:1] offset:8
.LBB18_33:
	s_or_b64 exec, exec, s[8:9]
.LBB18_34:
	s_or_saveexec_b64 s[2:3], s[2:3]
	v_mul_u32_u24_e32 v14, 33, v4
	v_add_lshl_u32 v10, v15, v14, 4
	s_xor_b64 exec, exec, s[2:3]
	s_cbranch_execz .LBB18_36
; %bb.35:
	v_mul_u32_u24_e32 v0, 0x84, v5
	v_add_lshl_u32 v0, v0, v4, 4
	ds_read_b128 v[0:3], v0
	s_waitcnt lgkmcnt(0)
	v_xor_b32_e32 v3, 0x80000000, v3
	ds_write_b128 v10, v[0:3]
.LBB18_36:
	s_or_b64 exec, exec, s[2:3]
	v_or_b32_e32 v11, 1, v15
	v_cmp_ge_u32_e64 s[14:15], v15, v4
	v_mul_u32_u24_e32 v0, 33, v11
	s_and_saveexec_b64 s[2:3], s[14:15]
	s_xor_b64 s[2:3], exec, s[2:3]
	s_cbranch_execz .LBB18_38
; %bb.37:
	v_add_lshl_u32 v1, v0, v4, 4
	ds_read_b128 v[16:19], v1
	s_waitcnt lgkmcnt(0)
	v_xor_b32_e32 v19, 0x80000000, v19
	ds_write_b128 v10, v[16:19] offset:16
.LBB18_38:
	s_andn2_saveexec_b64 s[2:3], s[2:3]
	s_cbranch_execz .LBB18_42
; %bb.39:
	v_cmp_eq_u32_e32 vcc, v11, v4
	s_and_saveexec_b64 s[8:9], vcc
	s_cbranch_execz .LBB18_41
; %bb.40:
	v_mul_u32_u24_e32 v1, 34, v4
	v_mov_b32_e32 v2, 0
	v_lshlrev_b32_e32 v1, 4, v1
	v_mov_b32_e32 v3, v2
	ds_write_b64 v1, v[2:3] offset:8
.LBB18_41:
	s_or_b64 exec, exec, s[8:9]
.LBB18_42:
	s_or_b64 exec, exec, s[2:3]
	v_or_b32_e32 v17, 2, v15
	v_cmp_le_u32_e64 s[8:9], v17, v4
	s_and_saveexec_b64 s[2:3], s[8:9]
	s_xor_b64 s[2:3], exec, s[2:3]
	s_cbranch_execz .LBB18_46
; %bb.43:
	v_cmp_eq_u32_e32 vcc, v17, v4
	s_and_saveexec_b64 s[10:11], vcc
	s_cbranch_execz .LBB18_45
; %bb.44:
	v_mul_u32_u24_e32 v1, 34, v4
	v_mov_b32_e32 v2, 0
	v_lshlrev_b32_e32 v1, 4, v1
	v_mov_b32_e32 v3, v2
	ds_write_b64 v1, v[2:3] offset:8
.LBB18_45:
	s_or_b64 exec, exec, s[10:11]
.LBB18_46:
	s_andn2_saveexec_b64 s[2:3], s[2:3]
	s_cbranch_execz .LBB18_48
; %bb.47:
	v_mul_u32_u24_e32 v1, 33, v17
	v_add_lshl_u32 v1, v1, v4, 4
	ds_read_b128 v[18:21], v1
	s_waitcnt lgkmcnt(0)
	v_xor_b32_e32 v21, 0x80000000, v21
	ds_write_b128 v10, v[18:21] offset:32
.LBB18_48:
	s_or_b64 exec, exec, s[2:3]
	v_or_b32_e32 v18, 3, v15
	v_cmp_le_u32_e64 s[10:11], v18, v4
	s_and_saveexec_b64 s[2:3], s[10:11]
	s_xor_b64 s[2:3], exec, s[2:3]
	s_cbranch_execz .LBB18_52
; %bb.49:
	v_cmp_eq_u32_e32 vcc, v18, v4
	s_and_saveexec_b64 s[12:13], vcc
	s_cbranch_execz .LBB18_51
; %bb.50:
	v_mul_u32_u24_e32 v1, 34, v4
	v_mov_b32_e32 v2, 0
	v_lshlrev_b32_e32 v1, 4, v1
	v_mov_b32_e32 v3, v2
	ds_write_b64 v1, v[2:3] offset:8
.LBB18_51:
	s_or_b64 exec, exec, s[12:13]
.LBB18_52:
	s_andn2_saveexec_b64 s[2:3], s[2:3]
	s_cbranch_execz .LBB18_54
; %bb.53:
	v_mul_u32_u24_e32 v1, 33, v18
	v_add_lshl_u32 v1, v1, v4, 4
	ds_read_b128 v[20:23], v1
	s_waitcnt lgkmcnt(0)
	v_xor_b32_e32 v23, 0x80000000, v23
	ds_write_b128 v10, v[20:23] offset:48
.LBB18_54:
	s_or_b64 exec, exec, s[2:3]
	v_mul_u32_u24_e32 v1, 0x84, v5
	v_lshlrev_b32_e32 v19, 4, v15
	s_waitcnt lgkmcnt(0)
	s_barrier
	v_add_lshl_u32 v16, v1, v4, 4
	ds_read_b128 v[20:23], v19 offset:18176
	ds_read_b128 v[24:27], v19 offset:18192
	ds_read_b128 v[28:31], v16
	ds_read_b128 v[32:35], v19 offset:18208
	ds_read_b128 v[46:49], v19 offset:18224
	v_add_lshl_u32 v45, v0, v4, 4
	ds_read_b128 v[0:3], v45
	s_waitcnt lgkmcnt(3)
	v_mul_f64 v[8:9], v[22:23], v[30:31]
	v_fma_f64 v[8:9], v[20:21], v[28:29], -v[8:9]
	v_mul_f64 v[20:21], v[20:21], v[30:31]
	v_fmac_f64_e32 v[20:21], v[22:23], v[28:29]
	v_add_f64 v[28:29], v[20:21], 0
	s_waitcnt lgkmcnt(0)
	v_mul_f64 v[20:21], v[26:27], v[2:3]
	v_fma_f64 v[30:31], v[24:25], v[0:1], -v[20:21]
	v_mul_f64 v[2:3], v[24:25], v[2:3]
	ds_read_b128 v[20:23], v45 offset:528
	v_fmac_f64_e32 v[2:3], v[26:27], v[0:1]
	v_add_f64 v[24:25], v[28:29], v[2:3]
	ds_read_b128 v[0:3], v45 offset:1056
	v_add_f64 v[8:9], v[8:9], 0
	s_waitcnt lgkmcnt(1)
	v_mul_f64 v[26:27], v[34:35], v[22:23]
	v_mul_f64 v[22:23], v[32:33], v[22:23]
	v_fmac_f64_e32 v[22:23], v[34:35], v[20:21]
	v_add_f64 v[8:9], v[8:9], v[30:31]
	v_fma_f64 v[26:27], v[32:33], v[20:21], -v[26:27]
	v_add_f64 v[20:21], v[24:25], v[22:23]
	s_waitcnt lgkmcnt(0)
	v_mul_f64 v[22:23], v[48:49], v[2:3]
	v_mul_f64 v[2:3], v[46:47], v[2:3]
	v_add_f64 v[8:9], v[8:9], v[26:27]
	v_fma_f64 v[22:23], v[46:47], v[0:1], -v[22:23]
	v_fmac_f64_e32 v[2:3], v[48:49], v[0:1]
	v_add_f64 v[0:1], v[8:9], v[22:23]
	v_add_f64 v[2:3], v[20:21], v[2:3]
	v_add_lshl_u32 v44, v5, v14, 4
	s_barrier
	ds_write_b128 v44, v[0:3]
	v_pk_mov_b32 v[0:1], 0, 0
	v_cmp_gt_u32_e64 s[2:3], 32, v42
	v_lshlrev_b32_e32 v43, 4, v14
	v_pk_mov_b32 v[2:3], v[0:1], v[0:1] op_sel:[0,1]
	s_waitcnt lgkmcnt(0)
	s_barrier
	s_and_saveexec_b64 s[12:13], s[2:3]
	s_cbranch_execz .LBB18_56
; %bb.55:
	ds_read_b128 v[0:3], v43
	ds_read_b128 v[20:23], v43 offset:16
	ds_read_b128 v[24:27], v43 offset:32
	;; [unrolled: 1-line block ×3, first 2 shown]
	s_waitcnt lgkmcnt(2)
	v_add_f64 v[0:1], v[20:21], v[0:1]
	v_add_f64 v[8:9], v[22:23], v[2:3]
	s_waitcnt lgkmcnt(1)
	v_add_f64 v[20:21], v[0:1], v[24:25]
	ds_read_b128 v[0:3], v43 offset:64
	v_add_f64 v[8:9], v[8:9], v[26:27]
	s_waitcnt lgkmcnt(1)
	v_add_f64 v[24:25], v[20:21], v[28:29]
	ds_read_b128 v[20:23], v43 offset:80
	;; [unrolled: 4-line block ×3, first 2 shown]
	v_add_f64 v[8:9], v[8:9], v[2:3]
	ds_read_b128 v[0:3], v43 offset:112
	s_waitcnt lgkmcnt(2)
	v_add_f64 v[20:21], v[28:29], v[20:21]
	v_add_f64 v[8:9], v[8:9], v[22:23]
	s_waitcnt lgkmcnt(1)
	v_add_f64 v[20:21], v[20:21], v[24:25]
	v_add_f64 v[8:9], v[8:9], v[26:27]
	;; [unrolled: 3-line block ×3, first 2 shown]
.LBB18_56:
	s_or_b64 exec, exec, s[12:13]
	s_lshl_b32 s28, s22, 5
	s_ashr_i32 s29, s28, 31
	s_lshl_b64 s[26:27], s[28:29], 4
	v_mov_b32_e32 v8, s27
	v_add_co_u32_e32 v20, vcc, s26, v6
	v_addc_co_u32_e32 v21, vcc, v7, v8, vcc
	v_add_co_u32_e32 v8, vcc, 0x200, v20
	v_addc_co_u32_e32 v9, vcc, 0, v21, vcc
	s_and_b64 vcc, exec, s[30:31]
	s_barrier
	s_cbranch_vccz .LBB18_74
; %bb.57:
	v_sub_co_u32_e32 v7, vcc, v8, v13
	s_ashr_i32 s17, s16, 31
	v_subbrev_co_u32_e32 v22, vcc, 0, v9, vcc
	s_lshl_b64 s[34:35], s[16:17], 4
	v_mov_b32_e32 v23, s35
	v_add_co_u32_e32 v7, vcc, s34, v7
	v_addc_co_u32_e32 v22, vcc, v22, v23, vcc
	v_or_b32_e32 v6, 32, v4
	v_add_co_u32_e32 v23, vcc, 0xfffffdf0, v7
	v_addc_co_u32_e32 v7, vcc, -1, v22, vcc
	v_cmp_gt_i32_e64 s[12:13], s16, v6
	s_sub_i32 s17, s16, 32
	v_cndmask_b32_e64 v7, v7, v9, s[12:13]
	v_cndmask_b32_e64 v6, v23, v8, s[12:13]
	v_cmp_le_i32_e32 vcc, s17, v5
	v_add_lshl_u32 v22, v12, v4, 4
	s_and_saveexec_b64 s[36:37], vcc
	s_xor_b64 s[36:37], exec, s[36:37]
	s_cbranch_execz .LBB18_59
; %bb.58:
	v_mov_b32_e32 v24, 0
	v_mov_b32_e32 v25, v24
	v_mov_b32_e32 v26, v24
	v_mov_b32_e32 v27, v24
	ds_write_b128 v22, v[24:27]
.LBB18_59:
	s_andn2_saveexec_b64 s[36:37], s[36:37]
	s_cbranch_execz .LBB18_61
; %bb.60:
	global_load_dwordx4 v[24:27], v[6:7], off
	s_waitcnt vmcnt(0)
	ds_write2_b64 v22, v[24:25], v[26:27] offset1:1
.LBB18_61:
	s_or_b64 exec, exec, s[36:37]
	v_add_u32_e32 v23, 8, v5
	v_cmp_le_i32_e32 vcc, s17, v23
	s_and_saveexec_b64 s[36:37], vcc
	s_xor_b64 s[36:37], exec, s[36:37]
	s_cbranch_execz .LBB18_63
; %bb.62:
	v_mul_u32_u24_e32 v23, 33, v23
	v_mov_b32_e32 v24, 0
	v_add_lshl_u32 v23, v23, v4, 4
	v_mov_b32_e32 v25, v24
	v_mov_b32_e32 v26, v24
	;; [unrolled: 1-line block ×3, first 2 shown]
	ds_write_b128 v23, v[24:27]
.LBB18_63:
	s_andn2_saveexec_b64 s[36:37], s[36:37]
	s_cbranch_execz .LBB18_65
; %bb.64:
	s_lshl_b32 s42, s22, 3
	s_ashr_i32 s43, s42, 31
	s_lshl_b64 s[42:43], s[42:43], 4
	v_mov_b32_e32 v23, s43
	v_add_co_u32_e32 v24, vcc, s42, v6
	v_addc_co_u32_e32 v25, vcc, v7, v23, vcc
	global_load_dwordx4 v[24:27], v[24:25], off
	v_add_u32_e32 v23, 0x1080, v22
	s_waitcnt vmcnt(0)
	ds_write2_b64 v23, v[24:25], v[26:27] offset1:1
.LBB18_65:
	s_or_b64 exec, exec, s[36:37]
	v_add_u32_e32 v23, 16, v5
	v_cmp_le_i32_e32 vcc, s17, v23
	s_and_saveexec_b64 s[36:37], vcc
	s_xor_b64 s[36:37], exec, s[36:37]
	s_cbranch_execz .LBB18_67
; %bb.66:
	v_mul_u32_u24_e32 v23, 33, v23
	v_mov_b32_e32 v24, 0
	v_add_lshl_u32 v23, v23, v4, 4
	v_mov_b32_e32 v25, v24
	v_mov_b32_e32 v26, v24
	;; [unrolled: 1-line block ×3, first 2 shown]
	ds_write_b128 v23, v[24:27]
.LBB18_67:
	s_andn2_saveexec_b64 s[36:37], s[36:37]
	s_cbranch_execz .LBB18_69
; %bb.68:
	s_lshl_b32 s42, s22, 4
	s_ashr_i32 s43, s42, 31
	s_lshl_b64 s[42:43], s[42:43], 4
	v_mov_b32_e32 v23, s43
	v_add_co_u32_e32 v24, vcc, s42, v6
	v_addc_co_u32_e32 v25, vcc, v7, v23, vcc
	global_load_dwordx4 v[24:27], v[24:25], off
	v_add_u32_e32 v23, 0x2100, v22
	s_waitcnt vmcnt(0)
	ds_write2_b64 v23, v[24:25], v[26:27] offset1:1
.LBB18_69:
	s_or_b64 exec, exec, s[36:37]
	v_add_u32_e32 v23, 24, v5
	v_cmp_le_i32_e32 vcc, s17, v23
	s_and_saveexec_b64 s[36:37], vcc
	s_xor_b64 s[36:37], exec, s[36:37]
	s_cbranch_execz .LBB18_71
; %bb.70:
	v_mov_b32_e32 v24, 0
	v_mov_b32_e32 v25, v24
	;; [unrolled: 1-line block ×4, first 2 shown]
	ds_write_b128 v22, v[24:27] offset:12672
                                        ; implicit-def: $vgpr22
.LBB18_71:
	s_andn2_saveexec_b64 s[36:37], s[36:37]
	s_cbranch_execz .LBB18_73
; %bb.72:
	s_mul_i32 s42, s22, 24
	s_ashr_i32 s43, s42, 31
	s_lshl_b64 s[42:43], s[42:43], 4
	v_mov_b32_e32 v23, s43
	v_add_co_u32_e32 v24, vcc, s42, v6
	v_addc_co_u32_e32 v25, vcc, v7, v23, vcc
	global_load_dwordx4 v[24:27], v[24:25], off
	v_add_u32_e32 v22, 0x3180, v22
	s_waitcnt vmcnt(0)
	ds_write2_b64 v22, v[24:25], v[26:27] offset1:1
.LBB18_73:
	s_or_b64 exec, exec, s[36:37]
	v_add_co_u32_e32 v6, vcc, v6, v13
	v_addc_co_u32_e32 v7, vcc, 0, v7, vcc
	v_mov_b32_e32 v22, s35
	v_subrev_co_u32_e32 v6, vcc, s34, v6
	v_subb_co_u32_e32 v7, vcc, v7, v22, vcc
	v_add_co_u32_e32 v6, vcc, 0x210, v6
	v_addc_co_u32_e32 v7, vcc, 0, v7, vcc
	v_cndmask_b32_e64 v7, v7, v9, s[12:13]
	v_cndmask_b32_e64 v6, v6, v8, s[12:13]
	s_branch .LBB18_76
.LBB18_74:
                                        ; implicit-def: $vgpr6_vgpr7
	s_cbranch_execz .LBB18_76
; %bb.75:
	s_lshl_b32 s12, s22, 3
	s_ashr_i32 s13, s12, 31
	s_lshl_b64 s[12:13], s[12:13], 4
	v_mov_b32_e32 v7, s13
	v_add_co_u32_e32 v6, vcc, s12, v20
	s_ashr_i32 s23, s22, 31
	v_addc_co_u32_e32 v7, vcc, v21, v7, vcc
	s_lshl_b64 s[12:13], s[22:23], 7
	global_load_dwordx4 v[20:23], v[8:9], off
	global_load_dwordx4 v[24:27], v[6:7], off offset:512
	v_mov_b32_e32 v28, s13
	v_add_co_u32_e32 v6, vcc, s12, v6
	v_addc_co_u32_e32 v7, vcc, v7, v28, vcc
	v_add_co_u32_e32 v40, vcc, s12, v6
	v_addc_co_u32_e32 v41, vcc, v7, v28, vcc
	global_load_dwordx4 v[28:31], v[6:7], off offset:512
	global_load_dwordx4 v[32:35], v[40:41], off offset:512
	v_add_lshl_u32 v6, v12, v4, 4
	v_add_u32_e32 v7, 0x1080, v6
	v_add_u32_e32 v40, 0x2100, v6
	;; [unrolled: 1-line block ×3, first 2 shown]
	s_waitcnt vmcnt(3)
	ds_write2_b64 v6, v[20:21], v[22:23] offset1:1
	s_waitcnt vmcnt(2)
	ds_write2_b64 v7, v[24:25], v[26:27] offset1:1
	;; [unrolled: 2-line block ×4, first 2 shown]
	v_pk_mov_b32 v[6:7], v[8:9], v[8:9] op_sel:[0,1]
.LBB18_76:
	s_waitcnt lgkmcnt(0)
	s_barrier
	s_and_saveexec_b64 s[12:13], s[4:5]
	s_xor_b64 s[4:5], exec, s[12:13]
	s_cbranch_execnz .LBB18_105
; %bb.77:
	s_andn2_saveexec_b64 s[4:5], s[4:5]
	s_cbranch_execnz .LBB18_108
.LBB18_78:
	s_or_b64 exec, exec, s[4:5]
	s_and_saveexec_b64 s[4:5], s[14:15]
	s_xor_b64 s[4:5], exec, s[4:5]
	s_cbranch_execnz .LBB18_109
.LBB18_79:
	s_andn2_saveexec_b64 s[4:5], s[4:5]
	s_cbranch_execnz .LBB18_110
.LBB18_80:
	s_or_b64 exec, exec, s[4:5]
	s_and_saveexec_b64 s[4:5], s[8:9]
	s_xor_b64 s[4:5], exec, s[4:5]
	s_cbranch_execnz .LBB18_113
.LBB18_81:
	s_andn2_saveexec_b64 s[4:5], s[4:5]
	s_cbranch_execnz .LBB18_116
.LBB18_82:
	s_or_b64 exec, exec, s[4:5]
	s_and_saveexec_b64 s[4:5], s[10:11]
	s_xor_b64 s[4:5], exec, s[4:5]
	s_cbranch_execnz .LBB18_117
.LBB18_83:
	s_or_saveexec_b64 s[4:5], s[4:5]
	v_add_u32_e32 v17, 0x4700, v19
	s_xor_b64 exec, exec, s[4:5]
	s_cbranch_execz .LBB18_85
.LBB18_84:
	ds_read_b128 v[18:21], v45 offset:1056
	s_waitcnt lgkmcnt(0)
	v_xor_b32_e32 v21, 0x80000000, v21
	ds_write_b128 v10, v[18:21] offset:48
.LBB18_85:
	s_or_b64 exec, exec, s[4:5]
	s_waitcnt lgkmcnt(0)
	s_barrier
	ds_read_b128 v[8:11], v17 offset:512
	ds_read_b128 v[18:21], v16
	ds_read_b128 v[22:25], v17 offset:528
	ds_read_b128 v[26:29], v17 offset:544
	v_cmp_eq_u32_e64 s[4:5], 1, v5
	s_waitcnt lgkmcnt(2)
	v_mul_f64 v[30:31], v[10:11], v[20:21]
	v_fma_f64 v[34:35], v[8:9], v[18:19], -v[30:31]
	ds_read_b128 v[30:33], v17 offset:560
	ds_read_b128 v[46:49], v45
	v_mul_f64 v[8:9], v[8:9], v[20:21]
	v_fmac_f64_e32 v[8:9], v[10:11], v[18:19]
	v_add_f64 v[20:21], v[8:9], 0
	v_add_f64 v[18:19], v[34:35], 0
	s_waitcnt lgkmcnt(0)
	v_mul_f64 v[8:9], v[24:25], v[48:49]
	v_fma_f64 v[34:35], v[22:23], v[46:47], -v[8:9]
	v_mul_f64 v[22:23], v[22:23], v[48:49]
	ds_read_b128 v[8:11], v45 offset:528
	v_fmac_f64_e32 v[22:23], v[24:25], v[46:47]
	v_add_f64 v[24:25], v[18:19], v[34:35]
	v_add_f64 v[22:23], v[20:21], v[22:23]
	ds_read_b128 v[18:21], v45 offset:1056
	s_waitcnt lgkmcnt(1)
	v_mul_f64 v[34:35], v[28:29], v[10:11]
	v_mul_f64 v[10:11], v[26:27], v[10:11]
	v_fmac_f64_e32 v[10:11], v[28:29], v[8:9]
	v_fma_f64 v[34:35], v[26:27], v[8:9], -v[34:35]
	v_add_f64 v[10:11], v[22:23], v[10:11]
	s_waitcnt lgkmcnt(0)
	v_mul_f64 v[22:23], v[32:33], v[20:21]
	v_mul_f64 v[20:21], v[30:31], v[20:21]
	v_add_f64 v[8:9], v[24:25], v[34:35]
	v_fma_f64 v[22:23], v[30:31], v[18:19], -v[22:23]
	v_fmac_f64_e32 v[20:21], v[32:33], v[18:19]
	v_add_f64 v[8:9], v[8:9], v[22:23]
	v_add_f64 v[10:11], v[10:11], v[20:21]
	s_barrier
	ds_write_b128 v44, v[8:11]
	s_waitcnt lgkmcnt(0)
	s_barrier
	s_and_saveexec_b64 s[8:9], s[4:5]
	s_cbranch_execz .LBB18_87
; %bb.86:
	ds_read_b128 v[0:3], v43
	ds_read_b128 v[8:11], v43 offset:16
	ds_read_b128 v[18:21], v43 offset:32
	;; [unrolled: 1-line block ×3, first 2 shown]
	s_waitcnt lgkmcnt(2)
	v_add_f64 v[0:1], v[8:9], v[0:1]
	v_add_f64 v[8:9], v[10:11], v[2:3]
	s_waitcnt lgkmcnt(1)
	v_add_f64 v[10:11], v[0:1], v[18:19]
	ds_read_b128 v[0:3], v43 offset:64
	v_add_f64 v[8:9], v[8:9], v[20:21]
	s_waitcnt lgkmcnt(1)
	v_add_f64 v[18:19], v[10:11], v[22:23]
	v_add_f64 v[22:23], v[8:9], v[24:25]
	ds_read_b128 v[8:11], v43 offset:80
	s_waitcnt lgkmcnt(1)
	v_add_f64 v[24:25], v[18:19], v[0:1]
	ds_read_b128 v[18:21], v43 offset:96
	v_add_f64 v[22:23], v[22:23], v[2:3]
	ds_read_b128 v[0:3], v43 offset:112
	s_waitcnt lgkmcnt(2)
	v_add_f64 v[8:9], v[24:25], v[8:9]
	v_add_f64 v[10:11], v[22:23], v[10:11]
	s_waitcnt lgkmcnt(1)
	v_add_f64 v[8:9], v[8:9], v[18:19]
	v_add_f64 v[10:11], v[10:11], v[20:21]
	;; [unrolled: 3-line block ×3, first 2 shown]
.LBB18_87:
	s_or_b64 exec, exec, s[8:9]
	v_add_co_u32_e32 v8, vcc, 0xfffffe00, v6
	v_addc_co_u32_e32 v9, vcc, -1, v7, vcc
	s_and_b64 vcc, exec, s[30:31]
	s_barrier
	s_cbranch_vccz .LBB18_120
; %bb.88:
	v_sub_co_u32_e32 v10, vcc, v6, v13
	s_ashr_i32 s17, s16, 31
	v_subbrev_co_u32_e32 v11, vcc, 0, v7, vcc
	s_lshl_b64 s[10:11], s[16:17], 4
	v_mov_b32_e32 v15, s11
	v_add_co_u32_e32 v10, vcc, s10, v10
	v_addc_co_u32_e32 v11, vcc, v11, v15, vcc
	v_add_co_u32_e32 v10, vcc, 0xfffffdf0, v10
	v_addc_co_u32_e32 v11, vcc, -1, v11, vcc
	v_cmp_gt_i32_e32 vcc, s16, v4
	s_sub_i32 s14, s16, 32
	v_cndmask_b32_e32 v11, v11, v9, vcc
	v_cndmask_b32_e32 v10, v10, v8, vcc
	v_cmp_le_i32_e64 s[8:9], s14, v5
	v_add_lshl_u32 v20, v12, v4, 4
	s_and_saveexec_b64 s[12:13], s[8:9]
	s_xor_b64 s[8:9], exec, s[12:13]
	s_cbranch_execz .LBB18_90
; %bb.89:
	v_mov_b32_e32 v22, 0
	v_mov_b32_e32 v23, v22
	;; [unrolled: 1-line block ×4, first 2 shown]
	ds_write_b128 v20, v[22:25]
.LBB18_90:
	s_andn2_saveexec_b64 s[8:9], s[8:9]
	s_cbranch_execz .LBB18_92
; %bb.91:
	global_load_dwordx4 v[22:25], v[10:11], off
	s_waitcnt vmcnt(0)
	ds_write2_b64 v20, v[22:23], v[24:25] offset1:1
.LBB18_92:
	s_or_b64 exec, exec, s[8:9]
	v_add_u32_e32 v15, 8, v5
	v_cmp_le_i32_e64 s[8:9], s14, v15
	s_and_saveexec_b64 s[12:13], s[8:9]
	s_xor_b64 s[8:9], exec, s[12:13]
	s_cbranch_execz .LBB18_94
; %bb.93:
	v_mul_u32_u24_e32 v18, 33, v15
	v_mov_b32_e32 v22, 0
	v_add_lshl_u32 v18, v18, v4, 4
	v_mov_b32_e32 v23, v22
	v_mov_b32_e32 v24, v22
	;; [unrolled: 1-line block ×3, first 2 shown]
	ds_write_b128 v18, v[22:25]
.LBB18_94:
	s_andn2_saveexec_b64 s[12:13], s[8:9]
	s_cbranch_execz .LBB18_96
; %bb.95:
	s_lshl_b32 s8, s22, 3
	s_ashr_i32 s9, s8, 31
	s_lshl_b64 s[8:9], s[8:9], 4
	v_mov_b32_e32 v19, s9
	v_add_co_u32_e64 v18, s[8:9], s8, v10
	v_addc_co_u32_e64 v19, s[8:9], v11, v19, s[8:9]
	global_load_dwordx4 v[22:25], v[18:19], off
	v_add_u32_e32 v18, 0x1080, v20
	s_waitcnt vmcnt(0)
	ds_write2_b64 v18, v[22:23], v[24:25] offset1:1
.LBB18_96:
	s_or_b64 exec, exec, s[12:13]
	v_add_u32_e32 v18, 16, v5
	v_cmp_le_i32_e64 s[8:9], s14, v18
	s_and_saveexec_b64 s[12:13], s[8:9]
	s_xor_b64 s[8:9], exec, s[12:13]
	s_cbranch_execz .LBB18_98
; %bb.97:
	v_mul_u32_u24_e32 v19, 33, v18
	v_mov_b32_e32 v22, 0
	v_add_lshl_u32 v19, v19, v4, 4
	v_mov_b32_e32 v23, v22
	v_mov_b32_e32 v24, v22
	v_mov_b32_e32 v25, v22
	ds_write_b128 v19, v[22:25]
.LBB18_98:
	s_andn2_saveexec_b64 s[12:13], s[8:9]
	s_cbranch_execz .LBB18_100
; %bb.99:
	s_lshl_b32 s8, s22, 4
	s_ashr_i32 s9, s8, 31
	s_lshl_b64 s[8:9], s[8:9], 4
	v_mov_b32_e32 v19, s9
	v_add_co_u32_e64 v22, s[8:9], s8, v10
	v_addc_co_u32_e64 v23, s[8:9], v11, v19, s[8:9]
	global_load_dwordx4 v[22:25], v[22:23], off
	v_add_u32_e32 v19, 0x2100, v20
	s_waitcnt vmcnt(0)
	ds_write2_b64 v19, v[22:23], v[24:25] offset1:1
.LBB18_100:
	s_or_b64 exec, exec, s[12:13]
	v_add_u32_e32 v19, 24, v5
	v_cmp_le_i32_e64 s[8:9], s14, v19
	s_and_saveexec_b64 s[12:13], s[8:9]
	s_xor_b64 s[8:9], exec, s[12:13]
	s_cbranch_execz .LBB18_102
; %bb.101:
	v_mov_b32_e32 v22, 0
	v_mov_b32_e32 v23, v22
	;; [unrolled: 1-line block ×4, first 2 shown]
	ds_write_b128 v20, v[22:25] offset:12672
                                        ; implicit-def: $vgpr20
.LBB18_102:
	s_andn2_saveexec_b64 s[12:13], s[8:9]
	s_cbranch_execz .LBB18_104
; %bb.103:
	s_mul_i32 s8, s22, 24
	s_ashr_i32 s9, s8, 31
	s_lshl_b64 s[8:9], s[8:9], 4
	v_mov_b32_e32 v21, s9
	v_add_co_u32_e64 v22, s[8:9], s8, v10
	v_addc_co_u32_e64 v23, s[8:9], v11, v21, s[8:9]
	global_load_dwordx4 v[22:25], v[22:23], off
	v_add_u32_e32 v20, 0x3180, v20
	s_waitcnt vmcnt(0)
	ds_write2_b64 v20, v[22:23], v[24:25] offset1:1
.LBB18_104:
	s_or_b64 exec, exec, s[12:13]
	v_add_co_u32_e64 v10, s[8:9], v10, v13
	v_addc_co_u32_e64 v11, s[8:9], 0, v11, s[8:9]
	v_mov_b32_e32 v13, s11
	v_subrev_co_u32_e64 v10, s[8:9], s10, v10
	v_subb_co_u32_e64 v11, s[8:9], v11, v13, s[8:9]
	v_add_co_u32_e64 v10, s[8:9], 16, v10
	v_addc_co_u32_e64 v11, s[8:9], 0, v11, s[8:9]
	v_cndmask_b32_e32 v41, v11, v9, vcc
	v_cndmask_b32_e32 v40, v10, v8, vcc
	s_branch .LBB18_122
.LBB18_105:
	v_cmp_eq_u32_e32 vcc, v15, v4
	s_and_saveexec_b64 s[12:13], vcc
	s_cbranch_execz .LBB18_107
; %bb.106:
	v_mul_u32_u24_e32 v8, 34, v4
	v_lshlrev_b32_e32 v15, 4, v8
	v_mov_b32_e32 v8, 0
	v_mov_b32_e32 v9, v8
	ds_write_b64 v15, v[8:9] offset:8
.LBB18_107:
	s_or_b64 exec, exec, s[12:13]
	s_andn2_saveexec_b64 s[4:5], s[4:5]
	s_cbranch_execz .LBB18_78
.LBB18_108:
	ds_read_b128 v[20:23], v16
	s_waitcnt lgkmcnt(0)
	v_xor_b32_e32 v23, 0x80000000, v23
	ds_write_b128 v10, v[20:23]
	s_or_b64 exec, exec, s[4:5]
	s_and_saveexec_b64 s[4:5], s[14:15]
	s_xor_b64 s[4:5], exec, s[4:5]
	s_cbranch_execz .LBB18_79
.LBB18_109:
	ds_read_b128 v[20:23], v45
                                        ; implicit-def: $vgpr11
	s_waitcnt lgkmcnt(0)
	v_xor_b32_e32 v23, 0x80000000, v23
	ds_write_b128 v10, v[20:23] offset:16
	s_andn2_saveexec_b64 s[4:5], s[4:5]
	s_cbranch_execz .LBB18_80
.LBB18_110:
	v_cmp_eq_u32_e32 vcc, v11, v4
	s_and_saveexec_b64 s[12:13], vcc
	s_cbranch_execz .LBB18_112
; %bb.111:
	v_mul_u32_u24_e32 v8, 34, v4
	v_lshlrev_b32_e32 v11, 4, v8
	v_mov_b32_e32 v8, 0
	v_mov_b32_e32 v9, v8
	ds_write_b64 v11, v[8:9] offset:8
.LBB18_112:
	s_or_b64 exec, exec, s[12:13]
	s_or_b64 exec, exec, s[4:5]
	s_and_saveexec_b64 s[4:5], s[8:9]
	s_xor_b64 s[4:5], exec, s[4:5]
	s_cbranch_execz .LBB18_81
.LBB18_113:
	v_cmp_eq_u32_e32 vcc, v17, v4
	s_and_saveexec_b64 s[8:9], vcc
	s_cbranch_execz .LBB18_115
; %bb.114:
	v_mul_u32_u24_e32 v8, 34, v4
	v_lshlrev_b32_e32 v11, 4, v8
	v_mov_b32_e32 v8, 0
	v_mov_b32_e32 v9, v8
	ds_write_b64 v11, v[8:9] offset:8
.LBB18_115:
	s_or_b64 exec, exec, s[8:9]
	s_andn2_saveexec_b64 s[4:5], s[4:5]
	s_cbranch_execz .LBB18_82
.LBB18_116:
	ds_read_b128 v[20:23], v45 offset:528
	s_waitcnt lgkmcnt(0)
	v_xor_b32_e32 v23, 0x80000000, v23
	ds_write_b128 v10, v[20:23] offset:32
	s_or_b64 exec, exec, s[4:5]
	s_and_saveexec_b64 s[4:5], s[10:11]
	s_xor_b64 s[4:5], exec, s[4:5]
	s_cbranch_execz .LBB18_83
.LBB18_117:
	v_cmp_eq_u32_e32 vcc, v18, v4
	s_and_saveexec_b64 s[8:9], vcc
	s_cbranch_execz .LBB18_119
; %bb.118:
	v_mul_u32_u24_e32 v8, 34, v4
	v_lshlrev_b32_e32 v10, 4, v8
	v_mov_b32_e32 v8, 0
	v_mov_b32_e32 v9, v8
	ds_write_b64 v10, v[8:9] offset:8
.LBB18_119:
	s_or_b64 exec, exec, s[8:9]
                                        ; implicit-def: $vgpr10
	s_or_saveexec_b64 s[4:5], s[4:5]
	v_add_u32_e32 v17, 0x4700, v19
	s_xor_b64 exec, exec, s[4:5]
	s_cbranch_execnz .LBB18_84
	s_branch .LBB18_85
.LBB18_120:
                                        ; implicit-def: $vgpr40_vgpr41
                                        ; implicit-def: $vgpr15
                                        ; implicit-def: $vgpr18
                                        ; implicit-def: $vgpr19
	s_cbranch_execz .LBB18_122
; %bb.121:
	s_lshl_b32 s8, s22, 3
	s_ashr_i32 s9, s8, 31
	s_lshl_b64 s[8:9], s[8:9], 4
	v_mov_b32_e32 v10, s9
	v_add_co_u32_e32 v6, vcc, s8, v6
	s_ashr_i32 s23, s22, 31
	v_addc_co_u32_e32 v7, vcc, v7, v10, vcc
	s_lshl_b64 s[8:9], s[22:23], 7
	global_load_dwordx4 v[20:23], v[8:9], off
	global_load_dwordx4 v[24:27], v[6:7], off offset:-512
	v_mov_b32_e32 v11, s9
	v_add_co_u32_e32 v6, vcc, s8, v6
	v_addc_co_u32_e32 v7, vcc, v7, v11, vcc
	v_add_co_u32_e32 v10, vcc, s8, v6
	v_addc_co_u32_e32 v11, vcc, v7, v11, vcc
	global_load_dwordx4 v[28:31], v[6:7], off offset:-512
	global_load_dwordx4 v[32:35], v[10:11], off offset:-512
	v_add_lshl_u32 v4, v12, v4, 4
	v_add_u32_e32 v15, 8, v5
	v_add_u32_e32 v18, 16, v5
	;; [unrolled: 1-line block ×3, first 2 shown]
	v_pk_mov_b32 v[40:41], v[8:9], v[8:9] op_sel:[0,1]
	v_add_u32_e32 v6, 0x1080, v4
	v_add_u32_e32 v7, 0x2100, v4
	;; [unrolled: 1-line block ×3, first 2 shown]
	s_waitcnt vmcnt(3)
	ds_write2_b64 v4, v[20:21], v[22:23] offset1:1
	s_waitcnt vmcnt(2)
	ds_write2_b64 v6, v[24:25], v[26:27] offset1:1
	;; [unrolled: 2-line block ×4, first 2 shown]
.LBB18_122:
	v_lshlrev_b32_e32 v4, 4, v5
	s_waitcnt lgkmcnt(0)
	s_barrier
	ds_read_b128 v[46:49], v44
	ds_read_b128 v[50:53], v4 offset:18176
	v_add_lshl_u32 v4, v15, v14, 4
	v_lshlrev_b32_e32 v5, 4, v15
	ds_read_b128 v[54:57], v4
	ds_read_b128 v[58:61], v5 offset:18176
	s_waitcnt lgkmcnt(2)
	v_mul_f64 v[4:5], v[48:49], v[52:53]
	v_fmac_f64_e32 v[4:5], v[46:47], v[50:51]
	v_add_f64 v[4:5], v[4:5], 0
	s_waitcnt lgkmcnt(0)
	v_mul_f64 v[6:7], v[56:57], v[60:61]
	v_fmac_f64_e32 v[6:7], v[54:55], v[58:59]
	v_add_f64 v[4:5], v[4:5], v[6:7]
	v_add_lshl_u32 v6, v18, v14, 4
	v_mul_f64 v[70:71], v[48:49], v[50:51]
	v_mul_f64 v[72:73], v[56:57], v[58:59]
	v_lshlrev_b32_e32 v7, 4, v18
	ds_read_b128 v[48:51], v6
	ds_read_b128 v[56:59], v7 offset:18176
	v_add_lshl_u32 v6, v19, v14, 4
	v_lshlrev_b32_e32 v7, 4, v19
	ds_read_b128 v[62:65], v6
	ds_read_b128 v[66:69], v7 offset:18176
	v_fma_f64 v[46:47], v[46:47], v[52:53], -v[70:71]
	s_waitcnt lgkmcnt(2)
	v_mul_f64 v[6:7], v[50:51], v[58:59]
	v_fmac_f64_e32 v[6:7], v[48:49], v[56:57]
	v_add_f64 v[4:5], v[4:5], v[6:7]
	s_waitcnt lgkmcnt(0)
	v_mul_f64 v[6:7], v[64:65], v[68:69]
	v_fmac_f64_e32 v[6:7], v[62:63], v[66:67]
	v_mul_f64 v[56:57], v[50:51], v[56:57]
	v_add_f64 v[50:51], v[4:5], v[6:7]
	ds_read_b128 v[20:23], v17 offset:528
	ds_read_b128 v[12:15], v17 offset:544
	;; [unrolled: 1-line block ×3, first 2 shown]
	ds_read_b128 v[32:35], v16
	ds_read_b128 v[4:7], v17 offset:560
	ds_read_b128 v[24:27], v45
	ds_read_b128 v[16:19], v45 offset:528
	ds_read_b128 v[8:11], v45 offset:1056
	v_add_f64 v[46:47], v[46:47], 0
	v_fma_f64 v[52:53], v[54:55], v[60:61], -v[72:73]
	v_mul_f64 v[64:65], v[64:65], v[66:67]
	v_add_f64 v[46:47], v[46:47], v[52:53]
	v_fma_f64 v[48:49], v[48:49], v[58:59], -v[56:57]
	v_add_f64 v[46:47], v[46:47], v[48:49]
	v_fma_f64 v[48:49], v[62:63], v[68:69], -v[64:65]
	v_add_f64 v[52:53], v[46:47], v[48:49]
	s_waitcnt lgkmcnt(0)
	s_barrier
	ds_write_b128 v44, v[50:53]
	s_waitcnt lgkmcnt(0)
	s_barrier
	s_and_saveexec_b64 s[8:9], s[4:5]
	s_cbranch_execz .LBB18_124
; %bb.123:
	ds_read_b128 v[46:49], v43
	ds_read_b128 v[50:53], v43 offset:16
	ds_read_b128 v[54:57], v43 offset:32
	;; [unrolled: 1-line block ×3, first 2 shown]
	s_waitcnt lgkmcnt(3)
	v_add_f64 v[0:1], v[0:1], v[46:47]
	v_add_f64 v[2:3], v[2:3], v[48:49]
	s_waitcnt lgkmcnt(2)
	v_add_f64 v[0:1], v[0:1], v[50:51]
	v_add_f64 v[46:47], v[2:3], v[52:53]
	s_waitcnt lgkmcnt(1)
	v_add_f64 v[48:49], v[0:1], v[54:55]
	ds_read_b128 v[0:3], v43 offset:64
	v_add_f64 v[46:47], v[46:47], v[56:57]
	s_waitcnt lgkmcnt(1)
	v_add_f64 v[50:51], v[48:49], v[58:59]
	v_add_f64 v[54:55], v[46:47], v[60:61]
	ds_read_b128 v[46:49], v43 offset:80
	s_waitcnt lgkmcnt(1)
	v_add_f64 v[56:57], v[50:51], v[0:1]
	ds_read_b128 v[50:53], v43 offset:96
	v_add_f64 v[54:55], v[54:55], v[2:3]
	ds_read_b128 v[0:3], v43 offset:112
	s_waitcnt lgkmcnt(2)
	v_add_f64 v[46:47], v[56:57], v[46:47]
	v_add_f64 v[48:49], v[54:55], v[48:49]
	s_waitcnt lgkmcnt(1)
	v_add_f64 v[46:47], v[46:47], v[50:51]
	v_add_f64 v[48:49], v[48:49], v[52:53]
	;; [unrolled: 3-line block ×3, first 2 shown]
.LBB18_124:
	s_or_b64 exec, exec, s[8:9]
	v_mul_f64 v[46:47], v[30:31], v[34:35]
	v_fma_f64 v[46:47], v[28:29], v[32:33], -v[46:47]
	v_mul_f64 v[28:29], v[28:29], v[34:35]
	v_fmac_f64_e32 v[28:29], v[30:31], v[32:33]
	v_mul_f64 v[32:33], v[22:23], v[26:27]
	v_fma_f64 v[32:33], v[20:21], v[24:25], -v[32:33]
	v_mul_f64 v[20:21], v[20:21], v[26:27]
	v_fmac_f64_e32 v[20:21], v[22:23], v[24:25]
	v_mul_f64 v[24:25], v[14:15], v[18:19]
	v_add_f64 v[30:31], v[46:47], 0
	v_add_f64 v[28:29], v[28:29], 0
	v_fma_f64 v[24:25], v[12:13], v[16:17], -v[24:25]
	v_mul_f64 v[12:13], v[12:13], v[18:19]
	v_add_f64 v[22:23], v[30:31], v[32:33]
	v_add_f64 v[20:21], v[28:29], v[20:21]
	v_fmac_f64_e32 v[12:13], v[14:15], v[16:17]
	v_mul_f64 v[16:17], v[6:7], v[10:11]
	v_mul_f64 v[10:11], v[4:5], v[10:11]
	v_add_f64 v[14:15], v[22:23], v[24:25]
	v_add_f64 v[12:13], v[20:21], v[12:13]
	v_fma_f64 v[16:17], v[4:5], v[8:9], -v[16:17]
	v_fmac_f64_e32 v[10:11], v[6:7], v[8:9]
	v_add_f64 v[4:5], v[14:15], v[16:17]
	v_add_f64 v[6:7], v[12:13], v[10:11]
	s_barrier
	ds_write_b128 v44, v[4:7]
	s_waitcnt lgkmcnt(0)
	s_barrier
	s_and_saveexec_b64 s[4:5], s[2:3]
	s_cbranch_execz .LBB18_126
; %bb.125:
	ds_read_b128 v[4:7], v43
	ds_read_b128 v[8:11], v43 offset:16
	ds_read_b128 v[12:15], v43 offset:32
	;; [unrolled: 1-line block ×3, first 2 shown]
	s_waitcnt lgkmcnt(3)
	v_add_f64 v[0:1], v[0:1], v[4:5]
	v_add_f64 v[2:3], v[2:3], v[6:7]
	s_waitcnt lgkmcnt(2)
	v_add_f64 v[0:1], v[0:1], v[8:9]
	v_add_f64 v[4:5], v[2:3], v[10:11]
	s_waitcnt lgkmcnt(1)
	v_add_f64 v[6:7], v[0:1], v[12:13]
	ds_read_b128 v[0:3], v43 offset:64
	v_add_f64 v[4:5], v[4:5], v[14:15]
	s_waitcnt lgkmcnt(1)
	v_add_f64 v[8:9], v[6:7], v[16:17]
	v_add_f64 v[12:13], v[4:5], v[18:19]
	ds_read_b128 v[4:7], v43 offset:80
	s_waitcnt lgkmcnt(1)
	v_add_f64 v[14:15], v[8:9], v[0:1]
	ds_read_b128 v[8:11], v43 offset:96
	v_add_f64 v[12:13], v[12:13], v[2:3]
	ds_read_b128 v[0:3], v43 offset:112
	s_waitcnt lgkmcnt(2)
	v_add_f64 v[4:5], v[14:15], v[4:5]
	v_add_f64 v[6:7], v[12:13], v[6:7]
	s_waitcnt lgkmcnt(1)
	v_add_f64 v[4:5], v[4:5], v[8:9]
	v_add_f64 v[6:7], v[6:7], v[10:11]
	;; [unrolled: 3-line block ×3, first 2 shown]
.LBB18_126:
	s_or_b64 exec, exec, s[4:5]
	s_mul_hi_u32 s2, s40, s7
	s_mul_i32 s41, s41, s7
	s_add_i32 s2, s2, s41
	s_mul_i32 s4, s40, s7
	s_mul_i32 s2, s2, s33
	s_mul_hi_u32 s3, s4, s33
	s_add_i32 s3, s3, s2
	s_mul_i32 s2, s4, s33
	s_lshl_b64 s[2:3], s[2:3], 4
	s_add_u32 s4, s18, s2
	s_addc_u32 s5, s19, s3
	s_mul_hi_i32 s3, s40, s6
	s_mul_i32 s2, s40, s6
	s_lshl_b64 s[2:3], s[2:3], 4
	s_add_u32 s7, s4, s2
	s_addc_u32 s17, s5, s3
	s_add_i32 s8, s6, 1
	s_cmp_ge_u32 s8, s33
	v_lshlrev_b32_e32 v211, 4, v168
	s_barrier
	s_cbranch_scc1 .LBB18_184
; %bb.127:
	s_mul_i32 s2, s24, s39
	s_ashr_i32 s3, s2, 31
	s_lshl_b64 s[2:3], s[2:3], 4
	v_and_b32_e32 v8, 48, v168
	v_lshlrev_b32_e32 v212, 2, v209
	v_mov_b32_e32 v4, s3
	v_subrev_co_u32_e32 v213, vcc, s2, v36
	v_and_b32_e32 v6, 15, v168
	v_lshlrev_b32_e32 v9, 4, v8
	s_movk_i32 s4, 0x430
	v_subb_co_u32_e32 v214, vcc, v37, v4, vcc
	v_lshrrev_b32_e32 v7, 4, v42
	v_mad_u64_u32 v[4:5], s[2:3], v212, s22, v[168:169]
	v_mad_u32_u24 v217, v6, s4, v9
	v_or_b32_e32 v9, 0xf0, v211
	v_ashrrev_i32_e32 v5, 31, v4
	v_mad_u32_u24 v218, v6, s4, v9
	v_lshlrev_b32_e32 v9, 6, v7
	v_mul_i32_i24_e32 v10, 0xffffffd0, v7
	v_add_u32_e32 v7, s24, v8
	v_sub_co_u32_e32 v237, vcc, 0, v38
	v_mad_u32_u24 v219, v6, s4, v9
	v_mov_b32_e32 v9, 0x4300
	v_add3_u32 v170, v7, v6, 64
	v_subb_co_u32_e32 v238, vcc, 0, v39, vcc
	v_lshlrev_b64 v[6:7], 4, v[4:5]
	v_lshl_add_u32 v223, v209, 6, v9
	v_mov_b32_e32 v8, s27
	v_add_co_u32_e32 v9, vcc, s26, v6
	v_addc_co_u32_e32 v8, vcc, v8, v7, vcc
	v_add_co_u32_e32 v9, vcc, v9, v40
	v_addc_co_u32_e32 v8, vcc, v8, v41, vcc
	;; [unrolled: 2-line block ×3, first 2 shown]
	v_mov_b32_e32 v8, s29
	v_add_co_u32_e32 v4, vcc, s28, v4
	v_addc_co_u32_e32 v5, vcc, v8, v5, vcc
	s_lshl_b32 s14, s22, 4
	s_mul_i32 s34, s22, 3
	v_lshlrev_b64 v[4:5], 4, v[4:5]
	s_lshl_b32 s30, s39, 6
	s_ashr_i32 s35, s34, 31
	s_mul_i32 s39, s39, s8
	v_mad_i64_i32 v[8:9], s[8:9], s14, 48, v[4:5]
	s_lshl_b64 s[8:9], s[34:35], 4
	s_ashr_i32 s15, s14, 31
	s_ashr_i32 s23, s22, 31
	s_lshl_b32 s18, s22, 1
	s_movk_i32 s4, 0x10c0
	v_mov_b32_e32 v11, s9
	v_add_co_u32_e32 v12, vcc, s8, v8
	s_add_i32 s25, s33, -2
	s_ashr_i32 s19, s18, 31
	v_mad_u32_u24 v224, v209, s4, v211
	s_lshl_b64 s[4:5], s[22:23], 4
	s_lshl_b32 s10, s39, 6
	s_lshl_b64 s[12:13], s[14:15], 6
	s_mul_i32 s11, s22, 0x300
	v_addc_co_u32_e32 v11, vcc, v9, v11, vcc
	s_lshl_b64 s[22:23], s[22:23], 5
	v_add_co_u32_e32 v174, vcc, v40, v12
	s_add_u32 s28, s22, s26
	v_addc_co_u32_e32 v169, vcc, v41, v11, vcc
	s_addc_u32 s29, s23, s27
	v_mov_b32_e32 v11, s29
	v_add_co_u32_e32 v12, vcc, s28, v6
	v_addc_co_u32_e32 v11, vcc, v11, v7, vcc
	s_mul_hi_i32 s24, s14, 48
	v_add_co_u32_e32 v176, vcc, v40, v12
	s_add_u32 s11, s11, s22
	v_addc_co_u32_e32 v173, vcc, v41, v11, vcc
	s_addc_u32 s22, s24, s23
	v_mov_b32_e32 v11, s22
	v_add_co_u32_e32 v4, vcc, s11, v4
	v_addc_co_u32_e32 v5, vcc, v11, v5, vcc
	v_add_co_u32_e32 v4, vcc, v4, v40
	v_addc_co_u32_e32 v5, vcc, v5, v41, vcc
	v_add_co_u32_e32 v178, vcc, 8, v4
	s_add_u32 s11, s4, s26
	v_addc_co_u32_e32 v175, vcc, 0, v5, vcc
	s_addc_u32 s24, s5, s27
	v_mov_b32_e32 v4, s24
	v_add_co_u32_e32 v5, vcc, s11, v6
	v_addc_co_u32_e32 v4, vcc, v4, v7, vcc
	v_add_co_u32_e32 v5, vcc, v5, v40
	v_addc_co_u32_e32 v4, vcc, v4, v41, vcc
	;; [unrolled: 2-line block ×3, first 2 shown]
	s_lshl_b64 s[18:19], s[18:19], 4
	v_mov_b32_e32 v4, s19
	v_add_co_u32_e32 v5, vcc, s18, v8
	v_addc_co_u32_e32 v4, vcc, v9, v4, vcc
	v_add_co_u32_e32 v182, vcc, v40, v5
	s_add_u32 s22, s26, s18
	v_addc_co_u32_e32 v179, vcc, v41, v4, vcc
	s_addc_u32 s23, s27, s19
	v_mov_b32_e32 v4, s23
	v_add_co_u32_e32 v5, vcc, s22, v6
	v_addc_co_u32_e32 v4, vcc, v4, v7, vcc
	v_add_co_u32_e32 v5, vcc, v5, v40
	v_addc_co_u32_e32 v4, vcc, v4, v41, vcc
	;; [unrolled: 2-line block ×3, first 2 shown]
	v_mov_b32_e32 v4, s5
	v_add_co_u32_e32 v5, vcc, s4, v8
	v_addc_co_u32_e32 v4, vcc, v9, v4, vcc
	v_add_co_u32_e32 v186, vcc, v40, v5
	s_add_u32 s22, s26, s8
	v_addc_co_u32_e32 v183, vcc, v41, v4, vcc
	s_addc_u32 s23, s27, s9
	v_mov_b32_e32 v4, s23
	v_add_co_u32_e32 v5, vcc, s22, v6
	v_addc_co_u32_e32 v4, vcc, v4, v7, vcc
	v_add_co_u32_e32 v5, vcc, v5, v40
	v_addc_co_u32_e32 v4, vcc, v4, v41, vcc
	;; [unrolled: 2-line block ×3, first 2 shown]
	s_lshl_b64 s[22:23], s[14:15], 4
	v_add_co_u32_e32 v190, vcc, v40, v8
	s_add_u32 s31, s26, s22
	v_addc_co_u32_e32 v187, vcc, v41, v9, vcc
	s_addc_u32 s34, s27, s23
	v_mov_b32_e32 v4, s34
	v_add_co_u32_e32 v5, vcc, s31, v6
	v_addc_co_u32_e32 v4, vcc, v4, v7, vcc
	s_lshl_b64 s[14:15], s[14:15], 5
	v_add_co_u32_e32 v5, vcc, v5, v40
	s_add_u32 s26, s14, s26
	v_addc_co_u32_e32 v4, vcc, v4, v41, vcc
	s_addc_u32 s27, s15, s27
	v_add_co_u32_e32 v192, vcc, 8, v5
	s_add_u32 s35, s26, s8
	v_addc_co_u32_e32 v189, vcc, 0, v4, vcc
	s_addc_u32 s36, s27, s9
	v_mov_b32_e32 v4, s36
	v_add_co_u32_e32 v5, vcc, s35, v6
	v_addc_co_u32_e32 v4, vcc, v4, v7, vcc
	v_add_co_u32_e32 v194, vcc, v40, v5
	s_add_u32 s11, s11, s22
	v_addc_co_u32_e32 v191, vcc, v41, v4, vcc
	s_addc_u32 s24, s24, s23
	v_mov_b32_e32 v4, s24
	v_add_co_u32_e32 v5, vcc, s11, v6
	v_addc_co_u32_e32 v4, vcc, v4, v7, vcc
	v_add_co_u32_e32 v5, vcc, v5, v40
	v_addc_co_u32_e32 v4, vcc, v4, v41, vcc
	v_add_co_u32_e32 v196, vcc, 8, v5
	s_add_u32 s11, s28, s14
	v_addc_co_u32_e32 v193, vcc, 0, v4, vcc
	s_addc_u32 s14, s29, s15
	v_mov_b32_e32 v4, s14
	v_add_co_u32_e32 v5, vcc, s11, v6
	v_addc_co_u32_e32 v4, vcc, v4, v7, vcc
	;; [unrolled: 9-line block ×4, first 2 shown]
	v_add_co_u32_e32 v202, vcc, v40, v5
	s_add_u32 s11, s28, s22
	v_addc_co_u32_e32 v199, vcc, v41, v4, vcc
	s_addc_u32 s14, s29, s23
	v_mov_b32_e32 v4, s14
	v_add_co_u32_e32 v5, vcc, s11, v6
	v_addc_co_u32_e32 v4, vcc, v4, v7, vcc
	v_add_co_u32_e32 v204, vcc, v40, v5
	s_add_u32 s4, s26, s4
	v_addc_co_u32_e32 v201, vcc, v41, v4, vcc
	s_addc_u32 s5, s27, s5
	v_mov_b32_e32 v4, s5
	v_add_co_u32_e32 v5, vcc, s4, v6
	v_addc_co_u32_e32 v4, vcc, v4, v7, vcc
	;; [unrolled: 7-line block ×3, first 2 shown]
	v_add_co_u32_e32 v5, vcc, v5, v40
	v_addc_co_u32_e32 v4, vcc, v4, v41, vcc
	v_add_co_u32_e32 v208, vcc, 8, v5
	v_addc_co_u32_e32 v205, vcc, 0, v4, vcc
	v_mov_b32_e32 v4, s27
	v_add_co_u32_e32 v5, vcc, s26, v6
	v_addc_co_u32_e32 v4, vcc, v4, v7, vcc
	v_add_co_u32_e32 v5, vcc, v5, v40
	v_addc_co_u32_e32 v4, vcc, v4, v41, vcc
	v_add_co_u32_e32 v210, vcc, 8, v5
	v_add_u32_e32 v215, 0x4300, v211
	v_add_u32_e32 v216, 0x4700, v211
	v_cmp_gt_u32_e64 s[2:3], 64, v42
	v_or_b32_e32 v220, 1, v212
	v_or_b32_e32 v221, 2, v212
	;; [unrolled: 1-line block ×3, first 2 shown]
	v_add_u32_e32 v225, 16, v212
	v_add_u32_e32 v226, 17, v212
	;; [unrolled: 1-line block ×12, first 2 shown]
	v_addc_co_u32_e32 v207, vcc, 0, v4, vcc
	v_add_u32_e32 v239, v219, v10
	v_mov_b32_e32 v4, 0
	s_cmp_eq_u32 s25, s6
	s_cselect_b32 s24, s38, 0
	s_and_saveexec_b64 s[4:5], s[0:1]
	s_cbranch_execz .LBB18_132
.LBB18_128:
	s_cmp_lg_u32 s24, 0
	s_cselect_b64 s[8:9], -1, 0
	v_cmp_le_i32_e32 vcc, s24, v168
	s_and_b64 s[8:9], s[8:9], vcc
	s_and_saveexec_b64 s[14:15], s[8:9]
	s_xor_b64 s[8:9], exec, s[14:15]
	s_cbranch_execz .LBB18_130
; %bb.129:
	v_mov_b32_e32 v5, v4
	v_mov_b32_e32 v6, v4
	;; [unrolled: 1-line block ×3, first 2 shown]
	ds_write_b128 v215, v[4:7]
.LBB18_130:
	s_andn2_saveexec_b64 s[8:9], s[8:9]
	s_cbranch_execz .LBB18_132
; %bb.131:
	s_ashr_i32 s11, s10, 31
	s_lshl_b64 s[8:9], s[10:11], 4
	v_mov_b32_e32 v5, s9
	v_add_co_u32_e32 v6, vcc, s8, v213
	v_addc_co_u32_e32 v7, vcc, v214, v5, vcc
	global_load_dwordx4 v[6:9], v[6:7], off
	s_waitcnt vmcnt(0)
	ds_write2_b64 v215, v[6:7], v[8:9] offset1:1
.LBB18_132:                             ; =>This Inner Loop Header: Depth=1
	s_or_b64 exec, exec, s[4:5]
	s_cmp_eq_u32 s24, 0
	v_add_co_u32_e32 v18, vcc, v172, v237
	s_cselect_b64 s[14:15], -1, 0
	s_cmp_lg_u32 s24, 0
	v_addc_co_u32_e32 v19, vcc, v167, v238, vcc
	s_cselect_b64 s[8:9], -1, 0
	s_and_b64 vcc, exec, s[8:9]
	s_waitcnt lgkmcnt(0)
	s_barrier
	s_cbranch_vccz .LBB18_140
; %bb.133:                              ;   in Loop: Header=BB18_132 Depth=1
	v_pk_mov_b32 v[10:11], 0, 0
	v_cmp_gt_i32_e32 vcc, s24, v212
	v_pk_mov_b32 v[6:7], v[10:11], v[10:11] op_sel:[0,1]
	v_pk_mov_b32 v[8:9], v[10:11], v[10:11] op_sel:[0,1]
	s_and_saveexec_b64 s[4:5], vcc
	s_cbranch_execz .LBB18_135
; %bb.134:                              ;   in Loop: Header=BB18_132 Depth=1
	global_load_dwordx4 v[6:9], v[18:19], off offset:-8
.LBB18_135:                             ;   in Loop: Header=BB18_132 Depth=1
	s_or_b64 exec, exec, s[4:5]
	v_cmp_gt_i32_e32 vcc, s24, v220
	v_pk_mov_b32 v[12:13], v[10:11], v[10:11] op_sel:[0,1]
	s_and_saveexec_b64 s[4:5], vcc
	s_cbranch_execz .LBB18_137
; %bb.136:                              ;   in Loop: Header=BB18_132 Depth=1
	v_add_co_u32_e32 v10, vcc, v180, v237
	v_addc_co_u32_e32 v11, vcc, v177, v238, vcc
	global_load_dwordx4 v[10:13], v[10:11], off offset:-8
.LBB18_137:                             ;   in Loop: Header=BB18_132 Depth=1
	s_or_b64 exec, exec, s[4:5]
	v_pk_mov_b32 v[14:15], 0, 0
	v_cmp_gt_i32_e32 vcc, s24, v221
	s_mov_b64 s[22:23], 0
	v_pk_mov_b32 v[16:17], v[14:15], v[14:15] op_sel:[0,1]
	s_and_saveexec_b64 s[4:5], vcc
	s_cbranch_execz .LBB18_139
; %bb.138:                              ;   in Loop: Header=BB18_132 Depth=1
	v_add_co_u32_e32 v14, vcc, v184, v237
	v_addc_co_u32_e32 v15, vcc, v181, v238, vcc
	global_load_dwordx4 v[14:17], v[14:15], off offset:-8
.LBB18_139:                             ;   in Loop: Header=BB18_132 Depth=1
	s_or_b64 exec, exec, s[4:5]
	v_cmp_gt_i32_e64 s[4:5], s24, v222
	s_mov_b64 s[18:19], 0
	s_and_b64 vcc, exec, s[22:23]
	s_cbranch_vccnz .LBB18_141
	s_branch .LBB18_142
.LBB18_140:                             ;   in Loop: Header=BB18_132 Depth=1
	s_mov_b64 s[4:5], 0
                                        ; implicit-def: $sgpr18_sgpr19
                                        ; implicit-def: $vgpr16_vgpr17
                                        ; implicit-def: $vgpr12_vgpr13
                                        ; implicit-def: $vgpr8_vgpr9
	s_cbranch_execz .LBB18_142
.LBB18_141:                             ;   in Loop: Header=BB18_132 Depth=1
	s_waitcnt vmcnt(0)
	v_add_co_u32_e32 v10, vcc, v180, v237
	v_addc_co_u32_e32 v11, vcc, v177, v238, vcc
	v_add_co_u32_e32 v14, vcc, v176, v237
	v_addc_co_u32_e32 v15, vcc, v173, v238, vcc
	global_load_dwordx4 v[6:9], v[18:19], off offset:-8
	s_or_b64 s[4:5], s[4:5], exec
	global_load_dwordx4 v[10:13], v[10:11], off offset:-8
                                        ; implicit-def: $sgpr18_sgpr19
	s_nop 0
	global_load_dwordx4 v[14:17], v[14:15], off
.LBB18_142:                             ;   in Loop: Header=BB18_132 Depth=1
	v_pk_mov_b32 v[18:19], s[18:19], s[18:19] op_sel:[0,1]
	v_pk_mov_b32 v[20:21], s[18:19], s[18:19] op_sel:[0,1]
	s_and_saveexec_b64 s[18:19], s[4:5]
	s_cbranch_execz .LBB18_144
; %bb.143:                              ;   in Loop: Header=BB18_132 Depth=1
	v_add_co_u32_e32 v18, vcc, v188, v237
	v_addc_co_u32_e32 v19, vcc, v185, v238, vcc
	global_load_dwordx4 v[18:21], v[18:19], off offset:-8
.LBB18_144:                             ;   in Loop: Header=BB18_132 Depth=1
	s_or_b64 exec, exec, s[18:19]
	ds_read_b128 v[34:37], v216
	ds_read_b128 v[22:25], v223
	v_cndmask_b32_e64 v5, 0, 1, s[8:9]
	s_andn2_b64 vcc, exec, s[8:9]
	v_add_co_u32_e64 v50, s[8:9], v192, v237
	s_waitcnt vmcnt(0) lgkmcnt(1)
	v_mul_f64 v[26:27], v[8:9], v[36:37]
	v_mul_f64 v[28:29], v[8:9], v[34:35]
	;; [unrolled: 1-line block ×3, first 2 shown]
	v_fmac_f64_e32 v[26:27], v[6:7], v[34:35]
	v_fma_f64 v[28:29], v[6:7], v[36:37], -v[28:29]
	v_mul_f64 v[32:33], v[12:13], v[34:35]
	ds_write_b128 v224, v[26:29]
	v_fmac_f64_e32 v[30:31], v[10:11], v[34:35]
	v_fma_f64 v[32:33], v[10:11], v[36:37], -v[32:33]
	v_mul_f64 v[38:39], v[16:17], v[36:37]
	v_mul_f64 v[40:41], v[16:17], v[34:35]
	;; [unrolled: 1-line block ×3, first 2 shown]
	ds_read_b128 v[26:29], v223 offset:16
	ds_write_b128 v224, v[30:33] offset:1072
	v_fmac_f64_e32 v[38:39], v[14:15], v[34:35]
	v_fma_f64 v[40:41], v[14:15], v[36:37], -v[40:41]
	v_fmac_f64_e32 v[42:43], v[18:19], v[34:35]
	v_mul_f64 v[34:35], v[20:21], v[34:35]
	ds_read_b128 v[30:33], v223 offset:32
	ds_write_b128 v224, v[38:41] offset:2144
	v_fma_f64 v[44:45], v[18:19], v[36:37], -v[34:35]
	ds_read_b128 v[38:41], v223 offset:48
	ds_write_b128 v224, v[42:45] offset:3216
	s_waitcnt lgkmcnt(0)
	s_barrier
	ds_read_b128 v[94:97], v219
	ds_read_b128 v[90:93], v219 offset:16
	ds_read_b128 v[86:89], v219 offset:32
	;; [unrolled: 1-line block ×3, first 2 shown]
	v_cmp_ne_u32_e64 s[4:5], 1, v5
	v_addc_co_u32_e64 v51, s[8:9], v189, v238, s[8:9]
	s_waitcnt lgkmcnt(0)
	s_barrier
	s_cbranch_vccnz .LBB18_152
; %bb.145:                              ;   in Loop: Header=BB18_132 Depth=1
	v_pk_mov_b32 v[42:43], 0, 0
	v_cmp_gt_i32_e32 vcc, s24, v225
	v_pk_mov_b32 v[34:35], v[42:43], v[42:43] op_sel:[0,1]
	v_pk_mov_b32 v[36:37], v[42:43], v[42:43] op_sel:[0,1]
	s_and_saveexec_b64 s[8:9], vcc
	s_cbranch_execz .LBB18_147
; %bb.146:                              ;   in Loop: Header=BB18_132 Depth=1
	global_load_dwordx4 v[34:37], v[50:51], off offset:-8
.LBB18_147:                             ;   in Loop: Header=BB18_132 Depth=1
	s_or_b64 exec, exec, s[8:9]
	v_cmp_gt_i32_e32 vcc, s24, v226
	v_pk_mov_b32 v[44:45], v[42:43], v[42:43] op_sel:[0,1]
	s_and_saveexec_b64 s[8:9], vcc
	s_cbranch_execz .LBB18_149
; %bb.148:                              ;   in Loop: Header=BB18_132 Depth=1
	v_add_co_u32_e32 v42, vcc, v196, v237
	v_addc_co_u32_e32 v43, vcc, v193, v238, vcc
	global_load_dwordx4 v[42:45], v[42:43], off offset:-8
.LBB18_149:                             ;   in Loop: Header=BB18_132 Depth=1
	s_or_b64 exec, exec, s[8:9]
	v_pk_mov_b32 v[46:47], 0, 0
	v_cmp_gt_i32_e32 vcc, s24, v227
	s_mov_b64 s[22:23], 0
	v_pk_mov_b32 v[48:49], v[46:47], v[46:47] op_sel:[0,1]
	s_and_saveexec_b64 s[8:9], vcc
	s_cbranch_execz .LBB18_151
; %bb.150:                              ;   in Loop: Header=BB18_132 Depth=1
	v_add_co_u32_e32 v46, vcc, v200, v237
	v_addc_co_u32_e32 v47, vcc, v197, v238, vcc
	global_load_dwordx4 v[46:49], v[46:47], off offset:-8
.LBB18_151:                             ;   in Loop: Header=BB18_132 Depth=1
	s_or_b64 exec, exec, s[8:9]
	v_cmp_gt_i32_e64 s[8:9], s24, v228
	s_mov_b64 s[18:19], 0
	s_and_b64 vcc, exec, s[22:23]
	s_cbranch_vccnz .LBB18_153
	s_branch .LBB18_154
.LBB18_152:                             ;   in Loop: Header=BB18_132 Depth=1
	s_mov_b64 s[8:9], 0
                                        ; implicit-def: $sgpr18_sgpr19
                                        ; implicit-def: $vgpr48_vgpr49
                                        ; implicit-def: $vgpr44_vgpr45
                                        ; implicit-def: $vgpr36_vgpr37
	s_cbranch_execz .LBB18_154
.LBB18_153:                             ;   in Loop: Header=BB18_132 Depth=1
	s_waitcnt vmcnt(0)
	v_add_co_u32_e32 v42, vcc, v196, v237
	v_addc_co_u32_e32 v43, vcc, v193, v238, vcc
	v_add_co_u32_e32 v46, vcc, v204, v237
	v_addc_co_u32_e32 v47, vcc, v201, v238, vcc
	global_load_dwordx4 v[34:37], v[50:51], off offset:-8
	s_or_b64 s[8:9], s[8:9], exec
	global_load_dwordx4 v[42:45], v[42:43], off offset:-8
                                        ; implicit-def: $sgpr18_sgpr19
	s_nop 0
	global_load_dwordx4 v[46:49], v[46:47], off
.LBB18_154:                             ;   in Loop: Header=BB18_132 Depth=1
	v_pk_mov_b32 v[50:51], s[18:19], s[18:19] op_sel:[0,1]
	v_pk_mov_b32 v[52:53], s[18:19], s[18:19] op_sel:[0,1]
	s_and_saveexec_b64 s[18:19], s[8:9]
	s_cbranch_execz .LBB18_156
; %bb.155:                              ;   in Loop: Header=BB18_132 Depth=1
	v_add_co_u32_e32 v50, vcc, v208, v237
	v_addc_co_u32_e32 v51, vcc, v205, v238, vcc
	global_load_dwordx4 v[50:53], v[50:51], off offset:-8
.LBB18_156:                             ;   in Loop: Header=BB18_132 Depth=1
	s_or_b64 exec, exec, s[18:19]
	ds_read_b128 v[66:69], v216
	ds_read_b128 v[54:57], v223 offset:256
	v_add_co_u32_e64 v98, s[8:9], v210, v237
	s_and_b64 vcc, exec, s[4:5]
	s_waitcnt vmcnt(0) lgkmcnt(1)
	v_mul_f64 v[58:59], v[36:37], v[68:69]
	v_mul_f64 v[60:61], v[36:37], v[66:67]
	v_mul_f64 v[62:63], v[44:45], v[68:69]
	v_fmac_f64_e32 v[58:59], v[34:35], v[66:67]
	v_fma_f64 v[60:61], v[34:35], v[68:69], -v[60:61]
	v_mul_f64 v[64:65], v[44:45], v[66:67]
	ds_write_b128 v224, v[58:61]
	v_fmac_f64_e32 v[62:63], v[42:43], v[66:67]
	v_fma_f64 v[64:65], v[42:43], v[68:69], -v[64:65]
	v_mul_f64 v[70:71], v[48:49], v[68:69]
	v_mul_f64 v[72:73], v[48:49], v[66:67]
	;; [unrolled: 1-line block ×3, first 2 shown]
	ds_read_b128 v[58:61], v223 offset:272
	ds_write_b128 v224, v[62:65] offset:1072
	v_fmac_f64_e32 v[70:71], v[46:47], v[66:67]
	v_fma_f64 v[72:73], v[46:47], v[68:69], -v[72:73]
	v_fmac_f64_e32 v[74:75], v[50:51], v[66:67]
	v_mul_f64 v[66:67], v[52:53], v[66:67]
	ds_read_b128 v[62:65], v223 offset:288
	ds_write_b128 v224, v[70:73] offset:2144
	v_fma_f64 v[76:77], v[50:51], v[68:69], -v[66:67]
	ds_read_b128 v[70:73], v223 offset:304
	ds_write_b128 v224, v[74:77] offset:3216
	s_waitcnt lgkmcnt(0)
	s_barrier
	ds_read_b128 v[146:149], v219
	ds_read_b128 v[142:145], v219 offset:16
	ds_read_b128 v[138:141], v219 offset:32
	;; [unrolled: 1-line block ×3, first 2 shown]
	v_addc_co_u32_e64 v99, s[8:9], v207, v238, s[8:9]
	s_waitcnt lgkmcnt(0)
	s_barrier
	s_cbranch_vccnz .LBB18_164
; %bb.157:                              ;   in Loop: Header=BB18_132 Depth=1
	v_pk_mov_b32 v[74:75], 0, 0
	v_cmp_gt_i32_e32 vcc, s24, v229
	v_pk_mov_b32 v[66:67], v[74:75], v[74:75] op_sel:[0,1]
	v_pk_mov_b32 v[68:69], v[74:75], v[74:75] op_sel:[0,1]
	s_and_saveexec_b64 s[8:9], vcc
	s_cbranch_execz .LBB18_159
; %bb.158:                              ;   in Loop: Header=BB18_132 Depth=1
	global_load_dwordx4 v[66:69], v[98:99], off offset:-8
.LBB18_159:                             ;   in Loop: Header=BB18_132 Depth=1
	s_or_b64 exec, exec, s[8:9]
	v_cmp_gt_i32_e32 vcc, s24, v230
	v_pk_mov_b32 v[76:77], v[74:75], v[74:75] op_sel:[0,1]
	s_and_saveexec_b64 s[8:9], vcc
	s_cbranch_execz .LBB18_161
; %bb.160:                              ;   in Loop: Header=BB18_132 Depth=1
	v_add_co_u32_e32 v74, vcc, v206, v237
	v_addc_co_u32_e32 v75, vcc, v203, v238, vcc
	global_load_dwordx4 v[74:77], v[74:75], off
.LBB18_161:                             ;   in Loop: Header=BB18_132 Depth=1
	s_or_b64 exec, exec, s[8:9]
	v_pk_mov_b32 v[78:79], 0, 0
	v_cmp_gt_i32_e32 vcc, s24, v231
	s_mov_b64 s[22:23], 0
	v_pk_mov_b32 v[80:81], v[78:79], v[78:79] op_sel:[0,1]
	s_and_saveexec_b64 s[8:9], vcc
	s_cbranch_execz .LBB18_163
; %bb.162:                              ;   in Loop: Header=BB18_132 Depth=1
	v_add_co_u32_e32 v78, vcc, v202, v237
	v_addc_co_u32_e32 v79, vcc, v199, v238, vcc
	global_load_dwordx4 v[78:81], v[78:79], off
.LBB18_163:                             ;   in Loop: Header=BB18_132 Depth=1
	s_or_b64 exec, exec, s[8:9]
	v_cmp_gt_i32_e64 s[8:9], s24, v232
	s_mov_b64 s[18:19], 0
	s_and_b64 vcc, exec, s[22:23]
	s_cbranch_vccnz .LBB18_165
	s_branch .LBB18_166
.LBB18_164:                             ;   in Loop: Header=BB18_132 Depth=1
	s_mov_b64 s[8:9], 0
                                        ; implicit-def: $sgpr18_sgpr19
                                        ; implicit-def: $vgpr80_vgpr81
                                        ; implicit-def: $vgpr76_vgpr77
                                        ; implicit-def: $vgpr68_vgpr69
	s_cbranch_execz .LBB18_166
.LBB18_165:                             ;   in Loop: Header=BB18_132 Depth=1
	s_waitcnt vmcnt(0)
	v_add_co_u32_e32 v74, vcc, v206, v237
	v_addc_co_u32_e32 v75, vcc, v203, v238, vcc
	v_add_co_u32_e32 v78, vcc, v198, v237
	v_addc_co_u32_e32 v79, vcc, v195, v238, vcc
	global_load_dwordx4 v[66:69], v[98:99], off offset:-8
	s_or_b64 s[8:9], s[8:9], exec
	global_load_dwordx4 v[74:77], v[74:75], off
                                        ; implicit-def: $sgpr18_sgpr19
	s_nop 0
	global_load_dwordx4 v[78:81], v[78:79], off offset:-8
.LBB18_166:                             ;   in Loop: Header=BB18_132 Depth=1
	v_pk_mov_b32 v[98:99], s[18:19], s[18:19] op_sel:[0,1]
	v_pk_mov_b32 v[100:101], s[18:19], s[18:19] op_sel:[0,1]
	s_and_saveexec_b64 s[18:19], s[8:9]
	s_cbranch_execz .LBB18_168
; %bb.167:                              ;   in Loop: Header=BB18_132 Depth=1
	v_add_co_u32_e32 v98, vcc, v194, v237
	v_addc_co_u32_e32 v99, vcc, v191, v238, vcc
	global_load_dwordx4 v[98:101], v[98:99], off
.LBB18_168:                             ;   in Loop: Header=BB18_132 Depth=1
	s_or_b64 exec, exec, s[18:19]
	ds_read_b128 v[114:117], v216
	ds_read_b128 v[102:105], v223 offset:512
	s_and_b64 vcc, exec, s[4:5]
	v_add_co_u32_e64 v130, s[4:5], v190, v237
	s_waitcnt vmcnt(0) lgkmcnt(1)
	v_mul_f64 v[106:107], v[68:69], v[116:117]
	v_mul_f64 v[108:109], v[68:69], v[114:115]
	v_mul_f64 v[110:111], v[76:77], v[116:117]
	v_fmac_f64_e32 v[106:107], v[66:67], v[114:115]
	v_fma_f64 v[108:109], v[66:67], v[116:117], -v[108:109]
	v_mul_f64 v[112:113], v[76:77], v[114:115]
	ds_write_b128 v224, v[106:109]
	v_fmac_f64_e32 v[110:111], v[74:75], v[114:115]
	v_fma_f64 v[112:113], v[74:75], v[116:117], -v[112:113]
	v_mul_f64 v[118:119], v[80:81], v[116:117]
	v_mul_f64 v[120:121], v[80:81], v[114:115]
	;; [unrolled: 1-line block ×3, first 2 shown]
	ds_read_b128 v[106:109], v223 offset:528
	ds_write_b128 v224, v[110:113] offset:1072
	v_fmac_f64_e32 v[118:119], v[78:79], v[114:115]
	v_fma_f64 v[120:121], v[78:79], v[116:117], -v[120:121]
	v_fmac_f64_e32 v[122:123], v[98:99], v[114:115]
	v_mul_f64 v[114:115], v[100:101], v[114:115]
	ds_read_b128 v[110:113], v223 offset:544
	ds_write_b128 v224, v[118:121] offset:2144
	v_fma_f64 v[124:125], v[98:99], v[116:117], -v[114:115]
	ds_read_b128 v[118:121], v223 offset:560
	ds_write_b128 v224, v[122:125] offset:3216
	s_waitcnt lgkmcnt(0)
	s_barrier
	ds_read_b128 v[162:165], v219
	ds_read_b128 v[158:161], v219 offset:16
	ds_read_b128 v[154:157], v219 offset:32
	;; [unrolled: 1-line block ×3, first 2 shown]
	v_addc_co_u32_e64 v131, s[4:5], v187, v238, s[4:5]
	s_waitcnt lgkmcnt(0)
	s_barrier
	s_cbranch_vccnz .LBB18_176
; %bb.169:                              ;   in Loop: Header=BB18_132 Depth=1
	v_pk_mov_b32 v[122:123], 0, 0
	v_cmp_gt_i32_e32 vcc, s24, v233
	v_pk_mov_b32 v[114:115], v[122:123], v[122:123] op_sel:[0,1]
	v_pk_mov_b32 v[116:117], v[122:123], v[122:123] op_sel:[0,1]
	s_and_saveexec_b64 s[4:5], vcc
	s_cbranch_execz .LBB18_171
; %bb.170:                              ;   in Loop: Header=BB18_132 Depth=1
	global_load_dwordx4 v[114:117], v[130:131], off
.LBB18_171:                             ;   in Loop: Header=BB18_132 Depth=1
	s_or_b64 exec, exec, s[4:5]
	v_cmp_gt_i32_e32 vcc, s24, v234
	v_pk_mov_b32 v[124:125], v[122:123], v[122:123] op_sel:[0,1]
	s_and_saveexec_b64 s[4:5], vcc
	s_cbranch_execz .LBB18_173
; %bb.172:                              ;   in Loop: Header=BB18_132 Depth=1
	v_add_co_u32_e32 v122, vcc, v186, v237
	v_addc_co_u32_e32 v123, vcc, v183, v238, vcc
	global_load_dwordx4 v[122:125], v[122:123], off
.LBB18_173:                             ;   in Loop: Header=BB18_132 Depth=1
	s_or_b64 exec, exec, s[4:5]
	v_pk_mov_b32 v[126:127], 0, 0
	v_cmp_gt_i32_e32 vcc, s24, v235
	s_mov_b64 s[18:19], 0
	v_pk_mov_b32 v[128:129], v[126:127], v[126:127] op_sel:[0,1]
	s_and_saveexec_b64 s[4:5], vcc
	s_cbranch_execz .LBB18_175
; %bb.174:                              ;   in Loop: Header=BB18_132 Depth=1
	v_add_co_u32_e32 v126, vcc, v182, v237
	v_addc_co_u32_e32 v127, vcc, v179, v238, vcc
	global_load_dwordx4 v[126:129], v[126:127], off
.LBB18_175:                             ;   in Loop: Header=BB18_132 Depth=1
	s_or_b64 exec, exec, s[4:5]
	v_cmp_gt_i32_e64 s[4:5], s24, v236
	s_mov_b64 s[8:9], 0
	s_and_b64 vcc, exec, s[18:19]
	s_cbranch_vccnz .LBB18_177
	s_branch .LBB18_178
.LBB18_176:                             ;   in Loop: Header=BB18_132 Depth=1
	s_mov_b64 s[4:5], 0
                                        ; implicit-def: $sgpr8_sgpr9
                                        ; implicit-def: $vgpr128_vgpr129
                                        ; implicit-def: $vgpr124_vgpr125
                                        ; implicit-def: $vgpr116_vgpr117
	s_cbranch_execz .LBB18_178
.LBB18_177:                             ;   in Loop: Header=BB18_132 Depth=1
	s_waitcnt vmcnt(0)
	v_add_co_u32_e32 v122, vcc, v186, v237
	v_addc_co_u32_e32 v123, vcc, v183, v238, vcc
	v_add_co_u32_e32 v126, vcc, v178, v237
	v_addc_co_u32_e32 v127, vcc, v175, v238, vcc
	global_load_dwordx4 v[114:117], v[130:131], off
	s_or_b64 s[4:5], s[4:5], exec
	global_load_dwordx4 v[122:125], v[122:123], off
                                        ; implicit-def: $sgpr8_sgpr9
	s_nop 0
	global_load_dwordx4 v[126:129], v[126:127], off offset:-8
.LBB18_178:                             ;   in Loop: Header=BB18_132 Depth=1
	v_pk_mov_b32 v[130:131], s[8:9], s[8:9] op_sel:[0,1]
	v_pk_mov_b32 v[132:133], s[8:9], s[8:9] op_sel:[0,1]
	s_and_saveexec_b64 s[8:9], s[4:5]
	s_cbranch_execz .LBB18_180
; %bb.179:                              ;   in Loop: Header=BB18_132 Depth=1
	v_add_co_u32_e32 v130, vcc, v174, v237
	v_addc_co_u32_e32 v131, vcc, v169, v238, vcc
	global_load_dwordx4 v[130:133], v[130:131], off
.LBB18_180:                             ;   in Loop: Header=BB18_132 Depth=1
	s_or_b64 exec, exec, s[8:9]
	v_add_f64 v[146:147], v[146:147], 0
	v_add_f64 v[148:149], v[148:149], 0
	;; [unrolled: 1-line block ×6, first 2 shown]
	ds_read_b128 v[142:145], v216
	v_add_f64 v[162:163], v[162:163], 0
	v_add_f64 v[94:95], v[94:95], 0
	;; [unrolled: 1-line block ×11, first 2 shown]
	ds_read_b128 v[86:89], v223 offset:768
	s_waitcnt vmcnt(0) lgkmcnt(1)
	v_mul_f64 v[90:91], v[116:117], v[144:145]
	v_mul_f64 v[92:93], v[116:117], v[142:143]
	v_fmac_f64_e32 v[90:91], v[114:115], v[142:143]
	v_fma_f64 v[92:93], v[114:115], v[144:145], -v[92:93]
	v_mul_f64 v[94:95], v[124:125], v[144:145]
	v_mul_f64 v[96:97], v[124:125], v[142:143]
	v_add_f64 v[138:139], v[138:139], v[134:135]
	v_add_f64 v[140:141], v[140:141], v[136:137]
	ds_write_b128 v224, v[90:93]
	v_fmac_f64_e32 v[94:95], v[122:123], v[142:143]
	v_fma_f64 v[96:97], v[122:123], v[144:145], -v[96:97]
	v_mul_f64 v[134:135], v[128:129], v[144:145]
	v_mul_f64 v[136:137], v[128:129], v[142:143]
	;; [unrolled: 1-line block ×3, first 2 shown]
	ds_read_b128 v[90:93], v223 offset:784
	ds_write_b128 v224, v[94:97] offset:1072
	v_fmac_f64_e32 v[134:135], v[126:127], v[142:143]
	v_fma_f64 v[136:137], v[126:127], v[144:145], -v[136:137]
	v_fmac_f64_e32 v[146:147], v[130:131], v[142:143]
	v_mul_f64 v[142:143], v[132:133], v[142:143]
	ds_read_b128 v[94:97], v223 offset:800
	ds_write_b128 v224, v[134:137] offset:2144
	v_fma_f64 v[148:149], v[130:131], v[144:145], -v[142:143]
	v_add_f64 v[164:165], v[164:165], 0
	ds_read_b128 v[134:137], v223 offset:816
	ds_write_b128 v224, v[146:149] offset:3216
	s_waitcnt lgkmcnt(0)
	s_barrier
	ds_read_b128 v[142:145], v219
	v_add_f64 v[160:161], v[164:165], v[160:161]
	v_add_f64 v[156:157], v[160:161], v[156:157]
	;; [unrolled: 1-line block ×4, first 2 shown]
	ds_read_b128 v[146:149], v219 offset:16
	ds_read_b128 v[154:157], v219 offset:32
	;; [unrolled: 1-line block ×3, first 2 shown]
	s_waitcnt lgkmcnt(3)
	v_add_f64 v[142:143], v[142:143], 0
	v_add_f64 v[144:145], v[144:145], 0
	v_cmp_gt_i32_e32 vcc, s24, v168
	s_waitcnt lgkmcnt(2)
	v_add_f64 v[142:143], v[142:143], v[146:147]
	v_add_f64 v[144:145], v[144:145], v[148:149]
	s_or_b64 s[4:5], s[14:15], vcc
	s_waitcnt lgkmcnt(1)
	v_add_f64 v[142:143], v[142:143], v[154:155]
	v_add_f64 v[144:145], v[144:145], v[156:157]
	s_and_b64 s[8:9], s[2:3], s[4:5]
	s_waitcnt lgkmcnt(0)
	v_add_f64 v[142:143], v[142:143], v[158:159]
	v_add_f64 v[144:145], v[144:145], v[160:161]
	s_barrier
	ds_write_b128 v239, v[82:85]
	ds_write_b128 v239, v[138:141] offset:256
	ds_write_b128 v239, v[150:153] offset:512
	;; [unrolled: 1-line block ×3, first 2 shown]
	s_waitcnt lgkmcnt(0)
	s_barrier
	s_and_saveexec_b64 s[4:5], s[8:9]
	s_cbranch_execz .LBB18_182
; %bb.181:                              ;   in Loop: Header=BB18_132 Depth=1
	ds_read_b128 v[82:85], v217
	ds_read_b128 v[138:141], v217 offset:16
	ds_read_b128 v[142:145], v217 offset:32
	;; [unrolled: 1-line block ×3, first 2 shown]
	v_ashrrev_i32_e32 v171, 31, v170
	v_mov_b32_e32 v5, s17
	s_waitcnt lgkmcnt(2)
	v_add_f64 v[82:83], v[138:139], v[82:83]
	v_add_f64 v[138:139], v[140:141], v[84:85]
	s_waitcnt lgkmcnt(1)
	v_add_f64 v[140:141], v[82:83], v[142:143]
	ds_read_b128 v[82:85], v217 offset:64
	v_add_f64 v[142:143], v[138:139], v[144:145]
	s_waitcnt lgkmcnt(1)
	v_add_f64 v[144:145], v[140:141], v[146:147]
	ds_read_b128 v[138:141], v217 offset:80
	;; [unrolled: 4-line block ×9, first 2 shown]
	v_add_f64 v[84:85], v[146:147], v[84:85]
	s_waitcnt lgkmcnt(1)
	v_add_f64 v[138:139], v[82:83], v[138:139]
	v_add_f64 v[146:147], v[84:85], v[140:141]
	ds_read_b128 v[82:85], v217 offset:208
	s_waitcnt lgkmcnt(1)
	v_add_f64 v[148:149], v[138:139], v[142:143]
	ds_read_b128 v[138:141], v217 offset:224
	v_add_f64 v[146:147], v[146:147], v[144:145]
	ds_read_b128 v[142:145], v218
	s_waitcnt lgkmcnt(2)
	v_add_f64 v[82:83], v[148:149], v[82:83]
	v_add_f64 v[84:85], v[146:147], v[84:85]
	s_waitcnt lgkmcnt(1)
	v_add_f64 v[82:83], v[82:83], v[138:139]
	v_lshlrev_b64 v[138:139], 4, v[170:171]
	v_add_f64 v[84:85], v[84:85], v[140:141]
	v_add_co_u32_e32 v138, vcc, s7, v138
	s_waitcnt lgkmcnt(0)
	v_add_f64 v[82:83], v[82:83], v[142:143]
	v_add_f64 v[84:85], v[84:85], v[144:145]
	v_addc_co_u32_e32 v139, vcc, v5, v139, vcc
	global_store_dwordx4 v[138:139], v[82:85], off
.LBB18_182:                             ;   in Loop: Header=BB18_132 Depth=1
	s_or_b64 exec, exec, s[4:5]
	v_mov_b32_e32 v5, s13
	v_add_co_u32_e32 v172, vcc, s12, v172
	v_addc_co_u32_e32 v167, vcc, v167, v5, vcc
	v_add_co_u32_e32 v174, vcc, s12, v174
	v_addc_co_u32_e32 v169, vcc, v169, v5, vcc
	v_add_co_u32_e32 v176, vcc, s12, v176
	v_addc_co_u32_e32 v173, vcc, v173, v5, vcc
	v_add_co_u32_e32 v178, vcc, s12, v178
	v_addc_co_u32_e32 v175, vcc, v175, v5, vcc
	v_add_co_u32_e32 v180, vcc, s12, v180
	v_mul_f64 v[82:83], v[8:9], v[24:25]
	v_addc_co_u32_e32 v177, vcc, v177, v5, vcc
	v_fma_f64 v[82:83], v[6:7], v[22:23], -v[82:83]
	v_mul_f64 v[6:7], v[6:7], v[24:25]
	v_mul_f64 v[24:25], v[12:13], v[28:29]
	v_add_co_u32_e32 v182, vcc, s12, v182
	v_add_f64 v[0:1], v[0:1], v[82:83]
	v_fma_f64 v[24:25], v[10:11], v[26:27], -v[24:25]
	v_addc_co_u32_e32 v179, vcc, v179, v5, vcc
	v_add_f64 v[0:1], v[0:1], v[24:25]
	v_mul_f64 v[24:25], v[16:17], v[32:33]
	v_add_co_u32_e32 v184, vcc, s12, v184
	v_fma_f64 v[24:25], v[14:15], v[30:31], -v[24:25]
	v_addc_co_u32_e32 v181, vcc, v181, v5, vcc
	v_add_f64 v[0:1], v[0:1], v[24:25]
	v_mul_f64 v[24:25], v[20:21], v[40:41]
	v_fmac_f64_e32 v[6:7], v[8:9], v[22:23]
	v_add_co_u32_e32 v186, vcc, s12, v186
	v_fma_f64 v[24:25], v[18:19], v[38:39], -v[24:25]
	v_add_f64 v[2:3], v[2:3], v[6:7]
	v_mul_f64 v[6:7], v[36:37], v[56:57]
	v_addc_co_u32_e32 v183, vcc, v183, v5, vcc
	v_add_f64 v[0:1], v[0:1], v[24:25]
	v_fma_f64 v[6:7], v[34:35], v[54:55], -v[6:7]
	v_add_co_u32_e32 v188, vcc, s12, v188
	v_add_f64 v[0:1], v[0:1], v[6:7]
	v_mul_f64 v[6:7], v[44:45], v[60:61]
	v_addc_co_u32_e32 v185, vcc, v185, v5, vcc
	v_fma_f64 v[6:7], v[42:43], v[58:59], -v[6:7]
	v_add_co_u32_e32 v190, vcc, s12, v190
	v_add_f64 v[0:1], v[0:1], v[6:7]
	v_mul_f64 v[6:7], v[48:49], v[64:65]
	v_addc_co_u32_e32 v187, vcc, v187, v5, vcc
	v_fma_f64 v[6:7], v[46:47], v[62:63], -v[6:7]
	v_add_co_u32_e32 v192, vcc, s12, v192
	v_add_f64 v[0:1], v[0:1], v[6:7]
	v_mul_f64 v[6:7], v[52:53], v[72:73]
	v_addc_co_u32_e32 v189, vcc, v189, v5, vcc
	v_fma_f64 v[6:7], v[50:51], v[70:71], -v[6:7]
	v_add_co_u32_e32 v194, vcc, s12, v194
	v_mul_f64 v[10:11], v[10:11], v[28:29]
	v_add_f64 v[0:1], v[0:1], v[6:7]
	v_mul_f64 v[6:7], v[68:69], v[104:105]
	v_addc_co_u32_e32 v191, vcc, v191, v5, vcc
	v_mul_f64 v[14:15], v[14:15], v[32:33]
	v_fmac_f64_e32 v[10:11], v[12:13], v[26:27]
	v_fma_f64 v[6:7], v[66:67], v[102:103], -v[6:7]
	v_add_co_u32_e32 v196, vcc, s12, v196
	v_mul_f64 v[18:19], v[18:19], v[40:41]
	v_add_f64 v[2:3], v[2:3], v[10:11]
	v_fmac_f64_e32 v[14:15], v[16:17], v[30:31]
	v_add_f64 v[0:1], v[0:1], v[6:7]
	v_mul_f64 v[6:7], v[76:77], v[108:109]
	v_addc_co_u32_e32 v193, vcc, v193, v5, vcc
	v_add_f64 v[2:3], v[2:3], v[14:15]
	v_fmac_f64_e32 v[18:19], v[20:21], v[38:39]
	v_mul_f64 v[8:9], v[34:35], v[56:57]
	v_fma_f64 v[6:7], v[74:75], v[106:107], -v[6:7]
	v_add_co_u32_e32 v198, vcc, s12, v198
	v_add_f64 v[2:3], v[2:3], v[18:19]
	v_mul_f64 v[10:11], v[42:43], v[60:61]
	v_fmac_f64_e32 v[8:9], v[36:37], v[54:55]
	v_add_f64 v[0:1], v[0:1], v[6:7]
	v_mul_f64 v[6:7], v[80:81], v[112:113]
	v_addc_co_u32_e32 v195, vcc, v195, v5, vcc
	v_mul_f64 v[12:13], v[46:47], v[64:65]
	v_add_f64 v[2:3], v[2:3], v[8:9]
	v_fmac_f64_e32 v[10:11], v[44:45], v[58:59]
	v_fma_f64 v[6:7], v[78:79], v[110:111], -v[6:7]
	v_add_co_u32_e32 v200, vcc, s12, v200
	v_mul_f64 v[14:15], v[50:51], v[72:73]
	v_add_f64 v[2:3], v[2:3], v[10:11]
	v_fmac_f64_e32 v[12:13], v[48:49], v[62:63]
	v_add_f64 v[0:1], v[0:1], v[6:7]
	v_mul_f64 v[6:7], v[100:101], v[120:121]
	v_addc_co_u32_e32 v197, vcc, v197, v5, vcc
	v_add_f64 v[2:3], v[2:3], v[12:13]
	v_fmac_f64_e32 v[14:15], v[52:53], v[70:71]
	v_mul_f64 v[8:9], v[66:67], v[104:105]
	v_fma_f64 v[6:7], v[98:99], v[118:119], -v[6:7]
	v_add_co_u32_e32 v202, vcc, s12, v202
	v_add_f64 v[2:3], v[2:3], v[14:15]
	v_mul_f64 v[10:11], v[74:75], v[108:109]
	v_add_f64 v[0:1], v[0:1], v[6:7]
	v_fmac_f64_e32 v[8:9], v[68:69], v[102:103]
	v_mul_f64 v[6:7], v[116:117], v[88:89]
	v_addc_co_u32_e32 v199, vcc, v199, v5, vcc
	v_mul_f64 v[12:13], v[78:79], v[112:113]
	v_add_f64 v[2:3], v[2:3], v[8:9]
	v_fmac_f64_e32 v[10:11], v[76:77], v[106:107]
	v_fma_f64 v[6:7], v[114:115], v[86:87], -v[6:7]
	v_add_co_u32_e32 v204, vcc, s12, v204
	v_mul_f64 v[14:15], v[98:99], v[120:121]
	v_add_f64 v[2:3], v[2:3], v[10:11]
	v_fmac_f64_e32 v[12:13], v[80:81], v[110:111]
	v_add_f64 v[0:1], v[0:1], v[6:7]
	v_mul_f64 v[6:7], v[124:125], v[92:93]
	v_addc_co_u32_e32 v201, vcc, v201, v5, vcc
	v_add_f64 v[2:3], v[2:3], v[12:13]
	v_fmac_f64_e32 v[14:15], v[100:101], v[118:119]
	v_mul_f64 v[8:9], v[114:115], v[88:89]
	v_fma_f64 v[6:7], v[122:123], v[90:91], -v[6:7]
	v_add_co_u32_e32 v206, vcc, s12, v206
	v_add_f64 v[2:3], v[2:3], v[14:15]
	v_mul_f64 v[10:11], v[122:123], v[92:93]
	v_add_f64 v[0:1], v[0:1], v[6:7]
	v_mul_f64 v[6:7], v[128:129], v[96:97]
	v_fmac_f64_e32 v[8:9], v[116:117], v[86:87]
	v_addc_co_u32_e32 v203, vcc, v203, v5, vcc
	v_fma_f64 v[6:7], v[126:127], v[94:95], -v[6:7]
	v_mul_f64 v[12:13], v[126:127], v[96:97]
	v_fmac_f64_e32 v[10:11], v[124:125], v[90:91]
	v_add_f64 v[2:3], v[2:3], v[8:9]
	v_add_co_u32_e32 v208, vcc, s12, v208
	v_add_f64 v[0:1], v[0:1], v[6:7]
	v_mul_f64 v[6:7], v[132:133], v[136:137]
	v_mul_f64 v[14:15], v[130:131], v[136:137]
	v_fmac_f64_e32 v[12:13], v[128:129], v[94:95]
	v_add_f64 v[2:3], v[2:3], v[10:11]
	v_addc_co_u32_e32 v205, vcc, v205, v5, vcc
	v_fma_f64 v[6:7], v[130:131], v[134:135], -v[6:7]
	v_fmac_f64_e32 v[14:15], v[132:133], v[134:135]
	v_add_f64 v[2:3], v[2:3], v[12:13]
	s_add_i32 s4, s6, 1
	s_add_i32 s10, s10, s30
	;; [unrolled: 1-line block ×3, first 2 shown]
	v_add_co_u32_e32 v210, vcc, s12, v210
	v_add_f64 v[0:1], v[0:1], v[6:7]
	v_add_f64 v[2:3], v[2:3], v[14:15]
	v_add_u32_e32 v170, 64, v170
	s_cmp_ge_u32 s5, s33
	v_addc_co_u32_e32 v207, vcc, v207, v5, vcc
	s_barrier
	s_cbranch_scc1 .LBB18_184
; %bb.183:                              ;   in Loop: Header=BB18_132 Depth=1
	s_mov_b32 s6, s4
	s_cmp_eq_u32 s25, s6
	s_cselect_b32 s24, s38, 0
	s_and_saveexec_b64 s[4:5], s[0:1]
	s_cbranch_execnz .LBB18_128
	s_branch .LBB18_132
.LBB18_184:
	s_movk_i32 s2, 0x430
	v_cmp_gt_i32_e32 vcc, s16, v168
	v_mad_u32_u24 v4, v209, s2, v211
	s_or_b64 s[2:3], s[20:21], vcc
	s_and_b64 s[0:1], s[0:1], s[2:3]
	ds_write_b128 v4, v[0:3]
	s_waitcnt lgkmcnt(0)
	s_barrier
	s_and_saveexec_b64 s[2:3], s[0:1]
	s_cbranch_execz .LBB18_186
; %bb.185:
	ds_read_b128 v[0:3], v211 offset:1072
	ds_read_b128 v[4:7], v211
	ds_read_b128 v[8:11], v211 offset:2144
	ds_read_b128 v[12:15], v211 offset:3216
	v_ashrrev_i32_e32 v167, 31, v166
	s_waitcnt lgkmcnt(2)
	v_add_f64 v[0:1], v[0:1], v[4:5]
	v_add_f64 v[2:3], v[2:3], v[6:7]
	v_lshlrev_b64 v[4:5], 4, v[166:167]
	s_waitcnt lgkmcnt(1)
	v_add_f64 v[0:1], v[0:1], v[8:9]
	v_add_f64 v[2:3], v[2:3], v[10:11]
	v_mov_b32_e32 v6, s17
	v_add_co_u32_e32 v4, vcc, s7, v4
	s_waitcnt lgkmcnt(0)
	v_add_f64 v[0:1], v[0:1], v[12:13]
	v_add_f64 v[2:3], v[2:3], v[14:15]
	v_addc_co_u32_e32 v5, vcc, v6, v5, vcc
	global_store_dwordx4 v[4:5], v[0:3], off
.LBB18_186:
	s_endpgm
	.section	.rodata,"a",@progbits
	.p2align	6, 0x0
	.amdhsa_kernel _ZL26rocblas_hemvn_kernel_upperILb1ELi64ELi4ELi33ELi32ELi16EiPK19rocblas_complex_numIdES3_PS1_EviT6_lT7_lT5_lS6_lS7_lS5_lT8_i
		.amdhsa_group_segment_fixed_size 19200
		.amdhsa_private_segment_fixed_size 0
		.amdhsa_kernarg_size 376
		.amdhsa_user_sgpr_count 6
		.amdhsa_user_sgpr_private_segment_buffer 1
		.amdhsa_user_sgpr_dispatch_ptr 0
		.amdhsa_user_sgpr_queue_ptr 0
		.amdhsa_user_sgpr_kernarg_segment_ptr 1
		.amdhsa_user_sgpr_dispatch_id 0
		.amdhsa_user_sgpr_flat_scratch_init 0
		.amdhsa_user_sgpr_kernarg_preload_length 0
		.amdhsa_user_sgpr_kernarg_preload_offset 0
		.amdhsa_user_sgpr_private_segment_size 0
		.amdhsa_uses_dynamic_stack 0
		.amdhsa_system_sgpr_private_segment_wavefront_offset 0
		.amdhsa_system_sgpr_workgroup_id_x 1
		.amdhsa_system_sgpr_workgroup_id_y 0
		.amdhsa_system_sgpr_workgroup_id_z 1
		.amdhsa_system_sgpr_workgroup_info 0
		.amdhsa_system_vgpr_workitem_id 1
		.amdhsa_next_free_vgpr 240
		.amdhsa_next_free_sgpr 44
		.amdhsa_accum_offset 240
		.amdhsa_reserve_vcc 1
		.amdhsa_reserve_flat_scratch 0
		.amdhsa_float_round_mode_32 0
		.amdhsa_float_round_mode_16_64 0
		.amdhsa_float_denorm_mode_32 3
		.amdhsa_float_denorm_mode_16_64 3
		.amdhsa_dx10_clamp 1
		.amdhsa_ieee_mode 1
		.amdhsa_fp16_overflow 0
		.amdhsa_tg_split 0
		.amdhsa_exception_fp_ieee_invalid_op 0
		.amdhsa_exception_fp_denorm_src 0
		.amdhsa_exception_fp_ieee_div_zero 0
		.amdhsa_exception_fp_ieee_overflow 0
		.amdhsa_exception_fp_ieee_underflow 0
		.amdhsa_exception_fp_ieee_inexact 0
		.amdhsa_exception_int_div_zero 0
	.end_amdhsa_kernel
	.section	.text._ZL26rocblas_hemvn_kernel_upperILb1ELi64ELi4ELi33ELi32ELi16EiPK19rocblas_complex_numIdES3_PS1_EviT6_lT7_lT5_lS6_lS7_lS5_lT8_i,"axG",@progbits,_ZL26rocblas_hemvn_kernel_upperILb1ELi64ELi4ELi33ELi32ELi16EiPK19rocblas_complex_numIdES3_PS1_EviT6_lT7_lT5_lS6_lS7_lS5_lT8_i,comdat
.Lfunc_end18:
	.size	_ZL26rocblas_hemvn_kernel_upperILb1ELi64ELi4ELi33ELi32ELi16EiPK19rocblas_complex_numIdES3_PS1_EviT6_lT7_lT5_lS6_lS7_lS5_lT8_i, .Lfunc_end18-_ZL26rocblas_hemvn_kernel_upperILb1ELi64ELi4ELi33ELi32ELi16EiPK19rocblas_complex_numIdES3_PS1_EviT6_lT7_lT5_lS6_lS7_lS5_lT8_i
                                        ; -- End function
	.section	.AMDGPU.csdata,"",@progbits
; Kernel info:
; codeLenInByte = 11272
; NumSgprs: 48
; NumVgprs: 240
; NumAgprs: 0
; TotalNumVgprs: 240
; ScratchSize: 0
; MemoryBound: 1
; FloatMode: 240
; IeeeMode: 1
; LDSByteSize: 19200 bytes/workgroup (compile time only)
; SGPRBlocks: 5
; VGPRBlocks: 29
; NumSGPRsForWavesPerEU: 48
; NumVGPRsForWavesPerEU: 240
; AccumOffset: 240
; Occupancy: 2
; WaveLimiterHint : 1
; COMPUTE_PGM_RSRC2:SCRATCH_EN: 0
; COMPUTE_PGM_RSRC2:USER_SGPR: 6
; COMPUTE_PGM_RSRC2:TRAP_HANDLER: 0
; COMPUTE_PGM_RSRC2:TGID_X_EN: 1
; COMPUTE_PGM_RSRC2:TGID_Y_EN: 0
; COMPUTE_PGM_RSRC2:TGID_Z_EN: 1
; COMPUTE_PGM_RSRC2:TIDIG_COMP_CNT: 1
; COMPUTE_PGM_RSRC3_GFX90A:ACCUM_OFFSET: 59
; COMPUTE_PGM_RSRC3_GFX90A:TG_SPLIT: 0
	.section	.text._ZL36rocblas_hemvn_kernel_upper_block_sumILi64EiPK19rocblas_complex_numIdEPS1_S1_EviT1_lS5_lT2_lT0_lPT3_i,"axG",@progbits,_ZL36rocblas_hemvn_kernel_upper_block_sumILi64EiPK19rocblas_complex_numIdEPS1_S1_EviT1_lS5_lT2_lT0_lPT3_i,comdat
	.globl	_ZL36rocblas_hemvn_kernel_upper_block_sumILi64EiPK19rocblas_complex_numIdEPS1_S1_EviT1_lS5_lT2_lT0_lPT3_i ; -- Begin function _ZL36rocblas_hemvn_kernel_upper_block_sumILi64EiPK19rocblas_complex_numIdEPS1_S1_EviT1_lS5_lT2_lT0_lPT3_i
	.p2align	8
	.type	_ZL36rocblas_hemvn_kernel_upper_block_sumILi64EiPK19rocblas_complex_numIdEPS1_S1_EviT1_lS5_lT2_lT0_lPT3_i,@function
_ZL36rocblas_hemvn_kernel_upper_block_sumILi64EiPK19rocblas_complex_numIdEPS1_S1_EviT1_lS5_lT2_lT0_lPT3_i: ; @_ZL36rocblas_hemvn_kernel_upper_block_sumILi64EiPK19rocblas_complex_numIdEPS1_S1_EviT1_lS5_lT2_lT0_lPT3_i
; %bb.0:
	s_load_dwordx8 s[12:19], s[4:5], 0x8
	s_waitcnt lgkmcnt(0)
	s_mul_i32 s0, s7, s15
	s_mul_hi_u32 s1, s7, s14
	s_add_i32 s1, s1, s0
	s_mul_i32 s0, s7, s14
	s_lshl_b64 s[0:1], s[0:1], 4
	s_add_u32 s0, s12, s0
	s_addc_u32 s1, s13, s1
	s_load_dwordx4 s[12:15], s[0:1], 0x0
	s_mul_i32 s0, s7, s19
	s_mul_hi_u32 s1, s7, s18
	s_add_i32 s1, s1, s0
	s_mul_i32 s0, s7, s18
	s_lshl_b64 s[0:1], s[0:1], 4
	s_add_u32 s0, s16, s0
	s_addc_u32 s1, s17, s1
	s_load_dwordx4 s[8:11], s[0:1], 0x0
	s_waitcnt lgkmcnt(0)
	v_cmp_neq_f64_e64 s[0:1], s[12:13], 0
	v_cmp_neq_f64_e64 s[2:3], s[14:15], 0
	s_or_b64 s[16:17], s[0:1], s[2:3]
	s_mov_b64 s[0:1], -1
	s_and_b64 vcc, exec, s[16:17]
	s_cbranch_vccnz .LBB19_2
; %bb.1:
	v_cmp_neq_f64_e64 s[0:1], s[8:9], 1.0
	v_cmp_neq_f64_e64 s[2:3], s[10:11], 0
	s_or_b64 s[0:1], s[0:1], s[2:3]
.LBB19_2:
	s_andn2_b64 vcc, exec, s[0:1]
	s_cbranch_vccnz .LBB19_22
; %bb.3:
	s_load_dwordx4 s[0:3], s[4:5], 0x40
	s_load_dword s26, s[4:5], 0x38
	s_load_dwordx4 s[20:23], s[4:5], 0x28
	s_load_dword s18, s[4:5], 0x0
	s_xor_b64 s[16:17], s[16:17], -1
	s_waitcnt lgkmcnt(0)
	s_mul_i32 s1, s7, s1
	s_mul_hi_u32 s19, s7, s0
	s_add_i32 s1, s19, s1
	s_mul_i32 s0, s7, s0
	s_lshl_b64 s[0:1], s[0:1], 4
	s_add_u32 s19, s20, s0
	s_addc_u32 s20, s21, s1
	s_lshl_b64 s[0:1], s[22:23], 4
	s_add_u32 s24, s19, s0
	v_lshl_or_b32 v4, s6, 6, v0
	s_addc_u32 s25, s20, s1
	s_andn2_b64 vcc, exec, s[16:17]
	v_cmp_gt_i32_e64 s[0:1], s18, v4
	s_cbranch_vccnz .LBB19_8
; %bb.4:
	s_mov_b64 s[20:21], 0
	s_mov_b64 s[16:17], 0
                                        ; implicit-def: $vgpr2_vgpr3
                                        ; implicit-def: $vgpr6_vgpr7
	s_and_saveexec_b64 s[22:23], s[0:1]
	s_cbranch_execz .LBB19_9
; %bb.5:
	v_cmp_neq_f64_e64 s[0:1], s[8:9], 0
	v_cmp_neq_f64_e64 s[16:17], s[10:11], 0
	v_pk_mov_b32 v[2:3], 0, 0
	v_mul_lo_u32 v6, v4, s26
	s_or_b64 s[0:1], s[0:1], s[16:17]
	v_ashrrev_i32_e32 v7, 31, v6
	s_andn2_b64 vcc, exec, s[0:1]
	v_pk_mov_b32 v[0:1], v[2:3], v[2:3] op_sel:[0,1]
	s_cbranch_vccnz .LBB19_7
; %bb.6:
	v_lshlrev_b64 v[0:1], 4, v[6:7]
	v_mov_b32_e32 v2, s25
	v_add_co_u32_e32 v0, vcc, s24, v0
	v_addc_co_u32_e32 v1, vcc, v2, v1, vcc
	global_load_dwordx4 v[8:11], v[0:1], off
	s_waitcnt vmcnt(0)
	v_mul_f64 v[0:1], s[10:11], v[10:11]
	v_mul_f64 v[2:3], s[8:9], v[10:11]
	v_fma_f64 v[0:1], s[8:9], v[8:9], -v[0:1]
	v_fmac_f64_e32 v[2:3], s[10:11], v[8:9]
.LBB19_7:
	s_mov_b64 s[16:17], exec
	s_or_b64 exec, exec, s[22:23]
	s_and_b64 vcc, exec, s[20:21]
	s_cbranch_vccnz .LBB19_10
	s_branch .LBB19_20
.LBB19_8:
	s_mov_b64 s[16:17], 0
                                        ; implicit-def: $vgpr2_vgpr3
                                        ; implicit-def: $vgpr6_vgpr7
	s_cbranch_execnz .LBB19_10
	s_branch .LBB19_20
.LBB19_9:
	s_or_b64 exec, exec, s[22:23]
	s_and_b64 vcc, exec, s[20:21]
	s_cbranch_vccz .LBB19_20
.LBB19_10:
	v_cmp_gt_i32_e32 vcc, s18, v4
                                        ; implicit-def: $vgpr2_vgpr3
                                        ; implicit-def: $vgpr6_vgpr7
	s_and_saveexec_b64 s[0:1], vcc
	s_cbranch_execz .LBB19_19
; %bb.11:
	v_pk_mov_b32 v[0:1], 0, 0
	s_cmp_lt_i32 s6, 0
	v_pk_mov_b32 v[8:9], v[0:1], v[0:1] op_sel:[0,1]
	s_cbranch_scc1 .LBB19_14
; %bb.12:
	s_load_dword s5, s[4:5], 0x58
	s_ashr_i32 s19, s18, 31
	s_add_i32 s4, s6, 1
	s_mul_hi_u32 s6, s18, s7
	s_mul_i32 s20, s19, s7
	s_add_i32 s6, s6, s20
	s_mul_i32 s20, s18, s7
	s_waitcnt lgkmcnt(0)
	s_mul_i32 s6, s6, s5
	s_mul_hi_u32 s7, s20, s5
	s_add_i32 s7, s7, s6
	s_mul_i32 s6, s20, s5
	s_lshl_b64 s[6:7], s[6:7], 4
	v_mov_b32_e32 v5, 0
	s_add_u32 s2, s2, s6
	v_lshlrev_b64 v[0:1], 4, v[4:5]
	s_addc_u32 s3, s3, s7
	v_mov_b32_e32 v2, s3
	v_add_co_u32_e32 v0, vcc, s2, v0
	v_addc_co_u32_e32 v1, vcc, v2, v1, vcc
	v_add_co_u32_e32 v2, vcc, 8, v0
	v_addc_co_u32_e32 v3, vcc, 0, v1, vcc
	s_lshl_b64 s[2:3], s[18:19], 4
	v_pk_mov_b32 v[0:1], 0, 0
	v_mov_b32_e32 v5, s3
	v_pk_mov_b32 v[8:9], v[0:1], v[0:1] op_sel:[0,1]
.LBB19_13:                              ; =>This Inner Loop Header: Depth=1
	global_load_dwordx4 v[10:13], v[2:3], off offset:-8
	s_add_i32 s4, s4, -1
	v_add_co_u32_e32 v2, vcc, s2, v2
	v_addc_co_u32_e32 v3, vcc, v3, v5, vcc
	s_cmp_eq_u32 s4, 0
	s_waitcnt vmcnt(0)
	v_add_f64 v[8:9], v[8:9], v[10:11]
	v_add_f64 v[0:1], v[0:1], v[12:13]
	s_cbranch_scc0 .LBB19_13
.LBB19_14:
	v_cmp_neq_f64_e64 s[4:5], s[8:9], 0
	v_cmp_neq_f64_e64 s[6:7], s[10:11], 0
	s_or_b64 s[4:5], s[4:5], s[6:7]
	v_mul_f64 v[10:11], s[14:15], v[0:1]
	v_mul_f64 v[2:3], s[12:13], v[0:1]
	v_mul_lo_u32 v6, v4, s26
	s_mov_b64 s[2:3], 0
	s_andn2_b64 vcc, exec, s[4:5]
	v_fma_f64 v[0:1], s[12:13], v[8:9], -v[10:11]
	v_fmac_f64_e32 v[2:3], s[14:15], v[8:9]
	v_ashrrev_i32_e32 v7, 31, v6
	s_cbranch_vccnz .LBB19_16
; %bb.15:
	s_mov_b64 s[2:3], -1
.LBB19_16:
	s_andn2_b64 vcc, exec, s[2:3]
	s_cbranch_vccnz .LBB19_18
; %bb.17:
	v_lshlrev_b64 v[4:5], 4, v[6:7]
	v_mov_b32_e32 v8, s25
	v_add_co_u32_e32 v4, vcc, s24, v4
	v_addc_co_u32_e32 v5, vcc, v8, v5, vcc
	global_load_dwordx4 v[8:11], v[4:5], off
	s_waitcnt vmcnt(0)
	v_mul_f64 v[4:5], s[10:11], v[10:11]
	v_mul_f64 v[10:11], s[8:9], v[10:11]
	v_fma_f64 v[4:5], s[8:9], v[8:9], -v[4:5]
	v_fmac_f64_e32 v[10:11], s[10:11], v[8:9]
	v_add_f64 v[0:1], v[0:1], v[4:5]
	v_add_f64 v[2:3], v[2:3], v[10:11]
.LBB19_18:
	s_or_b64 s[16:17], s[16:17], exec
.LBB19_19:
	s_or_b64 exec, exec, s[0:1]
.LBB19_20:
	s_and_saveexec_b64 s[0:1], s[16:17]
	s_cbranch_execz .LBB19_22
; %bb.21:
	v_lshlrev_b64 v[4:5], 4, v[6:7]
	v_mov_b32_e32 v6, s25
	v_add_co_u32_e32 v4, vcc, s24, v4
	v_addc_co_u32_e32 v5, vcc, v6, v5, vcc
	global_store_dwordx4 v[4:5], v[0:3], off
.LBB19_22:
	s_endpgm
	.section	.rodata,"a",@progbits
	.p2align	6, 0x0
	.amdhsa_kernel _ZL36rocblas_hemvn_kernel_upper_block_sumILi64EiPK19rocblas_complex_numIdEPS1_S1_EviT1_lS5_lT2_lT0_lPT3_i
		.amdhsa_group_segment_fixed_size 0
		.amdhsa_private_segment_fixed_size 0
		.amdhsa_kernarg_size 344
		.amdhsa_user_sgpr_count 6
		.amdhsa_user_sgpr_private_segment_buffer 1
		.amdhsa_user_sgpr_dispatch_ptr 0
		.amdhsa_user_sgpr_queue_ptr 0
		.amdhsa_user_sgpr_kernarg_segment_ptr 1
		.amdhsa_user_sgpr_dispatch_id 0
		.amdhsa_user_sgpr_flat_scratch_init 0
		.amdhsa_user_sgpr_kernarg_preload_length 0
		.amdhsa_user_sgpr_kernarg_preload_offset 0
		.amdhsa_user_sgpr_private_segment_size 0
		.amdhsa_uses_dynamic_stack 0
		.amdhsa_system_sgpr_private_segment_wavefront_offset 0
		.amdhsa_system_sgpr_workgroup_id_x 1
		.amdhsa_system_sgpr_workgroup_id_y 0
		.amdhsa_system_sgpr_workgroup_id_z 1
		.amdhsa_system_sgpr_workgroup_info 0
		.amdhsa_system_vgpr_workitem_id 0
		.amdhsa_next_free_vgpr 14
		.amdhsa_next_free_sgpr 27
		.amdhsa_accum_offset 16
		.amdhsa_reserve_vcc 1
		.amdhsa_reserve_flat_scratch 0
		.amdhsa_float_round_mode_32 0
		.amdhsa_float_round_mode_16_64 0
		.amdhsa_float_denorm_mode_32 3
		.amdhsa_float_denorm_mode_16_64 3
		.amdhsa_dx10_clamp 1
		.amdhsa_ieee_mode 1
		.amdhsa_fp16_overflow 0
		.amdhsa_tg_split 0
		.amdhsa_exception_fp_ieee_invalid_op 0
		.amdhsa_exception_fp_denorm_src 0
		.amdhsa_exception_fp_ieee_div_zero 0
		.amdhsa_exception_fp_ieee_overflow 0
		.amdhsa_exception_fp_ieee_underflow 0
		.amdhsa_exception_fp_ieee_inexact 0
		.amdhsa_exception_int_div_zero 0
	.end_amdhsa_kernel
	.section	.text._ZL36rocblas_hemvn_kernel_upper_block_sumILi64EiPK19rocblas_complex_numIdEPS1_S1_EviT1_lS5_lT2_lT0_lPT3_i,"axG",@progbits,_ZL36rocblas_hemvn_kernel_upper_block_sumILi64EiPK19rocblas_complex_numIdEPS1_S1_EviT1_lS5_lT2_lT0_lPT3_i,comdat
.Lfunc_end19:
	.size	_ZL36rocblas_hemvn_kernel_upper_block_sumILi64EiPK19rocblas_complex_numIdEPS1_S1_EviT1_lS5_lT2_lT0_lPT3_i, .Lfunc_end19-_ZL36rocblas_hemvn_kernel_upper_block_sumILi64EiPK19rocblas_complex_numIdEPS1_S1_EviT1_lS5_lT2_lT0_lPT3_i
                                        ; -- End function
	.section	.AMDGPU.csdata,"",@progbits
; Kernel info:
; codeLenInByte = 840
; NumSgprs: 31
; NumVgprs: 14
; NumAgprs: 0
; TotalNumVgprs: 14
; ScratchSize: 0
; MemoryBound: 0
; FloatMode: 240
; IeeeMode: 1
; LDSByteSize: 0 bytes/workgroup (compile time only)
; SGPRBlocks: 3
; VGPRBlocks: 1
; NumSGPRsForWavesPerEU: 31
; NumVGPRsForWavesPerEU: 14
; AccumOffset: 16
; Occupancy: 8
; WaveLimiterHint : 0
; COMPUTE_PGM_RSRC2:SCRATCH_EN: 0
; COMPUTE_PGM_RSRC2:USER_SGPR: 6
; COMPUTE_PGM_RSRC2:TRAP_HANDLER: 0
; COMPUTE_PGM_RSRC2:TGID_X_EN: 1
; COMPUTE_PGM_RSRC2:TGID_Y_EN: 0
; COMPUTE_PGM_RSRC2:TGID_Z_EN: 1
; COMPUTE_PGM_RSRC2:TIDIG_COMP_CNT: 0
; COMPUTE_PGM_RSRC3_GFX90A:ACCUM_OFFSET: 3
; COMPUTE_PGM_RSRC3_GFX90A:TG_SPLIT: 0
	.section	.text._ZL26rocblas_hemvn_kernel_upperILb1ELi64ELi4ELi33ELi32ELi16El19rocblas_complex_numIdEPKS1_PS1_EviT6_lT7_lT5_lS6_lS7_lS5_lT8_i,"axG",@progbits,_ZL26rocblas_hemvn_kernel_upperILb1ELi64ELi4ELi33ELi32ELi16El19rocblas_complex_numIdEPKS1_PS1_EviT6_lT7_lT5_lS6_lS7_lS5_lT8_i,comdat
	.globl	_ZL26rocblas_hemvn_kernel_upperILb1ELi64ELi4ELi33ELi32ELi16El19rocblas_complex_numIdEPKS1_PS1_EviT6_lT7_lT5_lS6_lS7_lS5_lT8_i ; -- Begin function _ZL26rocblas_hemvn_kernel_upperILb1ELi64ELi4ELi33ELi32ELi16El19rocblas_complex_numIdEPKS1_PS1_EviT6_lT7_lT5_lS6_lS7_lS5_lT8_i
	.p2align	8
	.type	_ZL26rocblas_hemvn_kernel_upperILb1ELi64ELi4ELi33ELi32ELi16El19rocblas_complex_numIdEPKS1_PS1_EviT6_lT7_lT5_lS6_lS7_lS5_lT8_i,@function
_ZL26rocblas_hemvn_kernel_upperILb1ELi64ELi4ELi33ELi32ELi16El19rocblas_complex_numIdEPKS1_PS1_EviT6_lT7_lT5_lS6_lS7_lS5_lT8_i: ; @_ZL26rocblas_hemvn_kernel_upperILb1ELi64ELi4ELi33ELi32ELi16El19rocblas_complex_numIdEPKS1_PS1_EviT6_lT7_lT5_lS6_lS7_lS5_lT8_i
; %bb.0:
	s_load_dwordx2 s[2:3], s[4:5], 0x94
	s_add_u32 s0, s4, 0x88
	s_addc_u32 s1, s5, 0
	s_waitcnt lgkmcnt(0)
	s_lshr_b32 s8, s2, 16
	s_and_b32 s2, s2, 0xffff
	s_and_b32 s3, s3, 0xffff
	s_mul_i32 s2, s8, s2
	s_mul_i32 s2, s2, s3
	s_cmpk_lg_i32 s2, 0x100
	s_cbranch_scc1 .LBB20_186
; %bb.1:
	s_load_dwordx4 s[8:11], s[4:5], 0x8
	s_waitcnt lgkmcnt(0)
	v_cmp_neq_f64_e64 s[2:3], s[8:9], 0
	v_cmp_neq_f64_e64 s[8:9], s[10:11], 0
	s_or_b64 s[2:3], s[2:3], s[8:9]
	s_mov_b64 s[8:9], -1
	s_and_b64 vcc, exec, s[2:3]
	s_cbranch_vccnz .LBB20_3
; %bb.2:
	s_load_dwordx4 s[8:11], s[4:5], 0x60
	s_waitcnt lgkmcnt(0)
	v_cmp_neq_f64_e64 s[8:9], s[8:9], 1.0
	v_cmp_neq_f64_e64 s[10:11], s[10:11], 0
	s_or_b64 s[8:9], s[8:9], s[10:11]
.LBB20_3:
	s_andn2_b64 vcc, exec, s[8:9]
	s_cbranch_vccnz .LBB20_186
; %bb.4:
	s_andn2_b64 vcc, exec, s[2:3]
	s_cbranch_vccnz .LBB20_186
; %bb.5:
	s_load_dwordx16 s[16:31], s[4:5], 0x20
	s_load_dword s33, s[0:1], 0x0
	s_load_dword s37, s[4:5], 0x0
	v_and_b32_e32 v201, 0x3ff, v0
	v_bfe_u32 v202, v0, 10, 10
	s_waitcnt lgkmcnt(0)
	s_mul_i32 s1, s7, s31
	s_mul_hi_u32 s2, s7, s30
	s_mul_i32 s0, s7, s30
	s_add_i32 s1, s2, s1
	s_lshl_b64 s[0:1], s[0:1], 4
	s_add_u32 s2, s24, s0
	s_addc_u32 s3, s25, s1
	s_lshl_b64 s[0:1], s[26:27], 4
	s_add_u32 s2, s2, s0
	s_addc_u32 s3, s3, s1
	s_ashr_i32 s38, s37, 31
	s_lshr_b32 s1, s38, 26
	s_lshl_b32 s26, s6, 6
	s_add_i32 s1, s37, s1
	s_andn2_b32 s1, s1, 63
	v_add_u32_e32 v166, s26, v201
	s_add_i32 s0, s33, -1
	s_sub_i32 s36, s37, s1
	v_ashrrev_i32_e32 v167, 31, v166
	s_cmp_eq_u32 s6, s0
	v_mul_lo_u32 v2, v167, s28
	v_mul_lo_u32 v3, v166, s29
	v_mad_u64_u32 v[0:1], s[0:1], v166, s28, 0
	v_add3_u32 v1, v1, v3, v2
	v_lshlrev_b64 v[0:1], 4, v[0:1]
	v_mov_b32_e32 v2, s3
	v_add_co_u32_e32 v38, vcc, s2, v0
	s_cselect_b32 s24, s36, 0
	v_addc_co_u32_e32 v39, vcc, v2, v1, vcc
	v_cmp_eq_u32_e64 s[0:1], 0, v202
	s_and_saveexec_b64 s[2:3], s[0:1]
	s_cbranch_execz .LBB20_10
; %bb.6:
	s_cmp_lg_u32 s24, 0
	s_cselect_b64 s[8:9], -1, 0
	v_cmp_le_i32_e32 vcc, s24, v201
	v_mov_b32_e32 v0, 0x4700
	s_and_b64 s[8:9], s[8:9], vcc
	v_lshl_add_u32 v0, v201, 4, v0
	s_and_saveexec_b64 s[10:11], s[8:9]
	s_xor_b64 s[8:9], exec, s[10:11]
	s_cbranch_execz .LBB20_8
; %bb.7:
	v_mov_b32_e32 v2, 0
	v_mov_b32_e32 v3, v2
	;; [unrolled: 1-line block ×4, first 2 shown]
	ds_write_b128 v0, v[2:5]
                                        ; implicit-def: $vgpr0
.LBB20_8:
	s_andn2_saveexec_b64 s[8:9], s[8:9]
	s_cbranch_execz .LBB20_10
; %bb.9:
	global_load_dwordx4 v[2:5], v[38:39], off
	s_waitcnt vmcnt(0)
	ds_write2_b64 v0, v[2:3], v[4:5] offset1:1
.LBB20_10:
	s_or_b64 exec, exec, s[2:3]
	s_mul_i32 s2, s7, s23
	s_mul_hi_u32 s3, s7, s22
	s_add_i32 s3, s3, s2
	s_mul_i32 s2, s7, s22
	s_lshl_b64 s[2:3], s[2:3], 4
	s_add_u32 s8, s16, s2
	s_addc_u32 s9, s17, s3
	s_lshl_b64 s[2:3], s[18:19], 4
	s_add_u32 s8, s8, s2
	s_addc_u32 s9, s9, s3
	s_ashr_i32 s27, s26, 31
	v_lshl_add_u32 v42, v202, 6, v201
	s_lshl_b64 s[2:3], s[26:27], 4
	v_and_b32_e32 v4, 31, v201
	v_lshrrev_b32_e32 v12, 5, v42
	s_add_u32 s8, s8, s2
	v_mov_b32_e32 v5, 0
	s_addc_u32 s9, s9, s3
	v_mad_u64_u32 v[0:1], s[2:3], v12, s20, v[4:5]
	v_mov_b32_e32 v2, v1
	v_mad_u64_u32 v[2:3], s[2:3], v12, s21, v[2:3]
	s_mul_i32 s2, s26, s21
	s_mul_hi_u32 s3, s26, s20
	s_add_i32 s2, s3, s2
	s_mul_i32 s3, s27, s20
	s_add_i32 s3, s2, s3
	s_mul_i32 s2, s26, s20
	s_lshl_b64 s[2:3], s[2:3], 4
	s_add_u32 s2, s2, s8
	v_mov_b32_e32 v1, v2
	s_addc_u32 s3, s3, s9
	v_lshlrev_b64 v[36:37], 4, v[0:1]
	s_cmp_eq_u32 s24, 0
	v_mov_b32_e32 v1, s3
	v_add_co_u32_e32 v0, vcc, s2, v36
	s_cselect_b64 s[18:19], -1, 0
	s_cmp_lg_u32 s24, 0
	v_addc_co_u32_e32 v1, vcc, v1, v37, vcc
	s_cselect_b64 s[22:23], -1, 0
	s_and_b64 vcc, exec, s[22:23]
	v_cmp_gt_i32_e64 s[2:3], s24, v4
	v_lshlrev_b32_e32 v13, 4, v4
	v_mul_u32_u24_e32 v5, 33, v12
	s_mul_i32 s39, s21, 0x180
	s_cbranch_vccz .LBB20_28
; %bb.11:
	v_sub_co_u32_e32 v2, vcc, v0, v13
	s_ashr_i32 s25, s24, 31
	v_subbrev_co_u32_e32 v3, vcc, 0, v1, vcc
	s_lshl_b64 s[8:9], s[24:25], 4
	v_mov_b32_e32 v6, s9
	v_add_co_u32_e32 v2, vcc, s8, v2
	v_addc_co_u32_e32 v3, vcc, v3, v6, vcc
	v_add_co_u32_e32 v2, vcc, -16, v2
	v_addc_co_u32_e32 v3, vcc, -1, v3, vcc
	v_cndmask_b32_e64 v3, v3, v1, s[2:3]
	v_cndmask_b32_e64 v2, v2, v0, s[2:3]
	v_cmp_le_i32_e32 vcc, s24, v12
	v_add_lshl_u32 v6, v5, v4, 4
	s_and_saveexec_b64 s[10:11], vcc
	s_xor_b64 s[10:11], exec, s[10:11]
	s_cbranch_execz .LBB20_13
; %bb.12:
	v_mov_b32_e32 v8, 0
	v_mov_b32_e32 v9, v8
	;; [unrolled: 1-line block ×4, first 2 shown]
	ds_write_b128 v6, v[8:11]
.LBB20_13:
	s_andn2_saveexec_b64 s[10:11], s[10:11]
	s_cbranch_execz .LBB20_15
; %bb.14:
	global_load_dwordx4 v[8:11], v[2:3], off
	s_waitcnt vmcnt(0)
	ds_write2_b64 v6, v[8:9], v[10:11] offset1:1
.LBB20_15:
	s_or_b64 exec, exec, s[10:11]
	v_add_u32_e32 v7, 8, v12
	v_cmp_le_i32_e32 vcc, s24, v7
	s_and_saveexec_b64 s[10:11], vcc
	s_xor_b64 s[10:11], exec, s[10:11]
	s_cbranch_execz .LBB20_17
; %bb.16:
	v_mul_u32_u24_e32 v7, 33, v7
	v_mov_b32_e32 v8, 0
	v_add_lshl_u32 v7, v7, v4, 4
	v_mov_b32_e32 v9, v8
	v_mov_b32_e32 v10, v8
	;; [unrolled: 1-line block ×3, first 2 shown]
	ds_write_b128 v7, v[8:11]
.LBB20_17:
	s_andn2_saveexec_b64 s[10:11], s[10:11]
	s_cbranch_execz .LBB20_19
; %bb.18:
	s_lshl_b64 s[12:13], s[20:21], 7
	v_mov_b32_e32 v7, s13
	v_add_co_u32_e32 v8, vcc, s12, v2
	v_addc_co_u32_e32 v9, vcc, v3, v7, vcc
	global_load_dwordx4 v[8:11], v[8:9], off
	v_add_u32_e32 v7, 0x1080, v6
	s_waitcnt vmcnt(0)
	ds_write2_b64 v7, v[8:9], v[10:11] offset1:1
.LBB20_19:
	s_or_b64 exec, exec, s[10:11]
	v_add_u32_e32 v7, 16, v12
	v_cmp_le_i32_e32 vcc, s24, v7
	s_and_saveexec_b64 s[10:11], vcc
	s_xor_b64 s[10:11], exec, s[10:11]
	s_cbranch_execz .LBB20_21
; %bb.20:
	v_mov_b32_e32 v8, 0
	v_mov_b32_e32 v9, v8
	;; [unrolled: 1-line block ×4, first 2 shown]
	ds_write_b128 v6, v[8:11] offset:8448
.LBB20_21:
	s_andn2_saveexec_b64 s[10:11], s[10:11]
	s_cbranch_execz .LBB20_23
; %bb.22:
	s_lshl_b64 s[12:13], s[20:21], 8
	v_mov_b32_e32 v7, s13
	v_add_co_u32_e32 v8, vcc, s12, v2
	v_addc_co_u32_e32 v9, vcc, v3, v7, vcc
	global_load_dwordx4 v[8:11], v[8:9], off
	v_add_u32_e32 v7, 0x2100, v6
	s_waitcnt vmcnt(0)
	ds_write2_b64 v7, v[8:9], v[10:11] offset1:1
.LBB20_23:
	s_or_b64 exec, exec, s[10:11]
	v_add_u32_e32 v7, 24, v12
	v_cmp_le_i32_e32 vcc, s24, v7
	s_and_saveexec_b64 s[10:11], vcc
	s_xor_b64 s[10:11], exec, s[10:11]
	s_cbranch_execz .LBB20_25
; %bb.24:
	v_mov_b32_e32 v8, 0
	v_mov_b32_e32 v9, v8
	;; [unrolled: 1-line block ×4, first 2 shown]
	ds_write_b128 v6, v[8:11] offset:12672
                                        ; implicit-def: $vgpr6
.LBB20_25:
	s_andn2_saveexec_b64 s[10:11], s[10:11]
	s_cbranch_execz .LBB20_27
; %bb.26:
	v_mov_b32_e32 v7, 0x180
	v_mad_u64_u32 v[8:9], s[12:13], s20, v7, v[2:3]
	v_add_u32_e32 v9, s39, v9
	global_load_dwordx4 v[8:11], v[8:9], off
	v_add_u32_e32 v6, 0x3180, v6
	s_waitcnt vmcnt(0)
	ds_write2_b64 v6, v[8:9], v[10:11] offset1:1
.LBB20_27:
	s_or_b64 exec, exec, s[10:11]
	v_add_co_u32_e32 v2, vcc, v2, v13
	v_addc_co_u32_e32 v3, vcc, 0, v3, vcc
	v_mov_b32_e32 v6, s9
	v_subrev_co_u32_e32 v2, vcc, s8, v2
	v_subb_co_u32_e32 v3, vcc, v3, v6, vcc
	v_add_co_u32_e32 v2, vcc, 16, v2
	v_addc_co_u32_e32 v3, vcc, 0, v3, vcc
	v_cndmask_b32_e64 v7, v3, v1, s[2:3]
	v_cndmask_b32_e64 v6, v2, v0, s[2:3]
	s_branch .LBB20_30
.LBB20_28:
                                        ; implicit-def: $vgpr6_vgpr7
	s_cbranch_execz .LBB20_30
; %bb.29:
	s_lshl_b64 s[2:3], s[20:21], 7
	v_mov_b32_e32 v10, s3
	v_add_co_u32_e32 v2, vcc, s2, v0
	v_addc_co_u32_e32 v3, vcc, v1, v10, vcc
	global_load_dwordx4 v[6:9], v[0:1], off
	global_load_dwordx4 v[14:17], v[2:3], off
	v_add_co_u32_e32 v2, vcc, s2, v2
	v_addc_co_u32_e32 v3, vcc, v3, v10, vcc
	v_mov_b32_e32 v10, 0x180
	v_mad_u64_u32 v[10:11], s[2:3], s20, v10, v[0:1]
	v_add_u32_e32 v11, s39, v11
	global_load_dwordx4 v[18:21], v[10:11], off
	global_load_dwordx4 v[22:25], v[2:3], off
	v_add_lshl_u32 v2, v5, v4, 4
	v_add_u32_e32 v3, 0x1080, v2
	v_add_u32_e32 v10, 0x2100, v2
	;; [unrolled: 1-line block ×3, first 2 shown]
	s_waitcnt vmcnt(3)
	ds_write2_b64 v2, v[6:7], v[8:9] offset1:1
	s_waitcnt vmcnt(2)
	ds_write2_b64 v3, v[14:15], v[16:17] offset1:1
	;; [unrolled: 2-line block ×4, first 2 shown]
	v_pk_mov_b32 v[6:7], v[0:1], v[0:1] op_sel:[0,1]
.LBB20_30:
	v_lshlrev_b32_e32 v18, 2, v12
	v_cmp_le_u32_e64 s[16:17], v18, v4
	s_waitcnt lgkmcnt(0)
	s_barrier
	s_and_saveexec_b64 s[2:3], s[16:17]
	s_xor_b64 s[2:3], exec, s[2:3]
	s_cbranch_execz .LBB20_34
; %bb.31:
	v_cmp_eq_u32_e32 vcc, v18, v4
	s_and_saveexec_b64 s[8:9], vcc
	s_cbranch_execz .LBB20_33
; %bb.32:
	v_mul_u32_u24_e32 v0, 34, v4
	v_lshlrev_b32_e32 v2, 4, v0
	v_mov_b32_e32 v0, 0
	v_mov_b32_e32 v1, v0
	ds_write_b64 v2, v[0:1] offset:8
.LBB20_33:
	s_or_b64 exec, exec, s[8:9]
.LBB20_34:
	s_or_saveexec_b64 s[2:3], s[2:3]
	v_mul_u32_u24_e32 v14, 33, v4
	v_add_lshl_u32 v15, v18, v14, 4
	s_xor_b64 exec, exec, s[2:3]
	s_cbranch_execz .LBB20_36
; %bb.35:
	v_mul_u32_u24_e32 v0, 0x84, v12
	v_add_lshl_u32 v0, v0, v4, 4
	ds_read_b128 v[0:3], v0
	s_waitcnt lgkmcnt(0)
	v_xor_b32_e32 v3, 0x80000000, v3
	ds_write_b128 v15, v[0:3]
.LBB20_36:
	s_or_b64 exec, exec, s[2:3]
	v_or_b32_e32 v17, 1, v18
	v_cmp_ge_u32_e64 s[8:9], v18, v4
	v_mul_u32_u24_e32 v0, 33, v17
	s_and_saveexec_b64 s[2:3], s[8:9]
	s_xor_b64 s[2:3], exec, s[2:3]
	s_cbranch_execz .LBB20_38
; %bb.37:
	v_add_lshl_u32 v1, v0, v4, 4
	ds_read_b128 v[8:11], v1
	s_waitcnt lgkmcnt(0)
	v_xor_b32_e32 v11, 0x80000000, v11
	ds_write_b128 v15, v[8:11] offset:16
.LBB20_38:
	s_andn2_saveexec_b64 s[2:3], s[2:3]
	s_cbranch_execz .LBB20_42
; %bb.39:
	v_cmp_eq_u32_e32 vcc, v17, v4
	s_and_saveexec_b64 s[10:11], vcc
	s_cbranch_execz .LBB20_41
; %bb.40:
	v_mul_u32_u24_e32 v1, 34, v4
	v_mov_b32_e32 v2, 0
	v_lshlrev_b32_e32 v1, 4, v1
	v_mov_b32_e32 v3, v2
	ds_write_b64 v1, v[2:3] offset:8
.LBB20_41:
	s_or_b64 exec, exec, s[10:11]
.LBB20_42:
	s_or_b64 exec, exec, s[2:3]
	v_or_b32_e32 v19, 2, v18
	v_cmp_le_u32_e64 s[10:11], v19, v4
	s_and_saveexec_b64 s[2:3], s[10:11]
	s_xor_b64 s[2:3], exec, s[2:3]
	s_cbranch_execz .LBB20_46
; %bb.43:
	v_cmp_eq_u32_e32 vcc, v19, v4
	s_and_saveexec_b64 s[12:13], vcc
	s_cbranch_execz .LBB20_45
; %bb.44:
	v_mul_u32_u24_e32 v1, 34, v4
	v_mov_b32_e32 v2, 0
	v_lshlrev_b32_e32 v1, 4, v1
	v_mov_b32_e32 v3, v2
	ds_write_b64 v1, v[2:3] offset:8
.LBB20_45:
	s_or_b64 exec, exec, s[12:13]
.LBB20_46:
	s_andn2_saveexec_b64 s[2:3], s[2:3]
	s_cbranch_execz .LBB20_48
; %bb.47:
	v_mul_u32_u24_e32 v1, 33, v19
	v_add_lshl_u32 v1, v1, v4, 4
	ds_read_b128 v[8:11], v1
	s_waitcnt lgkmcnt(0)
	v_xor_b32_e32 v11, 0x80000000, v11
	ds_write_b128 v15, v[8:11] offset:32
.LBB20_48:
	s_or_b64 exec, exec, s[2:3]
	v_or_b32_e32 v20, 3, v18
	v_cmp_le_u32_e64 s[12:13], v20, v4
	s_and_saveexec_b64 s[2:3], s[12:13]
	s_xor_b64 s[2:3], exec, s[2:3]
	s_cbranch_execz .LBB20_52
; %bb.49:
	v_cmp_eq_u32_e32 vcc, v20, v4
	s_and_saveexec_b64 s[14:15], vcc
	s_cbranch_execz .LBB20_51
; %bb.50:
	v_mul_u32_u24_e32 v1, 34, v4
	v_mov_b32_e32 v2, 0
	v_lshlrev_b32_e32 v1, 4, v1
	v_mov_b32_e32 v3, v2
	ds_write_b64 v1, v[2:3] offset:8
.LBB20_51:
	s_or_b64 exec, exec, s[14:15]
.LBB20_52:
	s_andn2_saveexec_b64 s[2:3], s[2:3]
	s_cbranch_execz .LBB20_54
; %bb.53:
	v_mul_u32_u24_e32 v1, 33, v20
	v_add_lshl_u32 v1, v1, v4, 4
	ds_read_b128 v[8:11], v1
	s_waitcnt lgkmcnt(0)
	v_xor_b32_e32 v11, 0x80000000, v11
	ds_write_b128 v15, v[8:11] offset:48
.LBB20_54:
	s_or_b64 exec, exec, s[2:3]
	v_mul_u32_u24_e32 v1, 0x84, v12
	v_lshlrev_b32_e32 v21, 4, v18
	s_waitcnt lgkmcnt(0)
	s_barrier
	v_add_lshl_u32 v16, v1, v4, 4
	ds_read_b128 v[8:11], v21 offset:18176
	ds_read_b128 v[22:25], v21 offset:18192
	ds_read_b128 v[26:29], v16
	ds_read_b128 v[30:33], v21 offset:18208
	ds_read_b128 v[46:49], v21 offset:18224
	v_add_lshl_u32 v45, v0, v4, 4
	ds_read_b128 v[0:3], v45
	s_waitcnt lgkmcnt(3)
	v_mul_f64 v[34:35], v[10:11], v[28:29]
	v_fma_f64 v[34:35], v[8:9], v[26:27], -v[34:35]
	v_mul_f64 v[8:9], v[8:9], v[28:29]
	v_fmac_f64_e32 v[8:9], v[10:11], v[26:27]
	v_add_f64 v[28:29], v[8:9], 0
	s_waitcnt lgkmcnt(0)
	v_mul_f64 v[8:9], v[24:25], v[2:3]
	v_add_f64 v[26:27], v[34:35], 0
	v_fma_f64 v[34:35], v[22:23], v[0:1], -v[8:9]
	v_mul_f64 v[2:3], v[22:23], v[2:3]
	ds_read_b128 v[8:11], v45 offset:528
	v_fmac_f64_e32 v[2:3], v[24:25], v[0:1]
	v_add_f64 v[24:25], v[28:29], v[2:3]
	ds_read_b128 v[0:3], v45 offset:1056
	v_add_f64 v[22:23], v[26:27], v[34:35]
	s_waitcnt lgkmcnt(1)
	v_mul_f64 v[26:27], v[32:33], v[10:11]
	v_fma_f64 v[26:27], v[30:31], v[8:9], -v[26:27]
	v_mul_f64 v[10:11], v[30:31], v[10:11]
	v_fmac_f64_e32 v[10:11], v[32:33], v[8:9]
	v_add_f64 v[8:9], v[22:23], v[26:27]
	s_waitcnt lgkmcnt(0)
	v_mul_f64 v[22:23], v[48:49], v[2:3]
	v_mul_f64 v[2:3], v[46:47], v[2:3]
	v_add_f64 v[10:11], v[24:25], v[10:11]
	v_fma_f64 v[22:23], v[46:47], v[0:1], -v[22:23]
	v_fmac_f64_e32 v[2:3], v[48:49], v[0:1]
	v_add_f64 v[0:1], v[8:9], v[22:23]
	v_add_f64 v[2:3], v[10:11], v[2:3]
	v_add_lshl_u32 v44, v12, v14, 4
	s_barrier
	ds_write_b128 v44, v[0:3]
	v_pk_mov_b32 v[0:1], 0, 0
	v_cmp_gt_u32_e64 s[2:3], 32, v42
	v_lshlrev_b32_e32 v43, 4, v14
	v_pk_mov_b32 v[2:3], v[0:1], v[0:1] op_sel:[0,1]
	s_waitcnt lgkmcnt(0)
	s_barrier
	s_and_saveexec_b64 s[14:15], s[2:3]
	s_cbranch_execz .LBB20_56
; %bb.55:
	ds_read_b128 v[0:3], v43
	ds_read_b128 v[8:11], v43 offset:16
	ds_read_b128 v[22:25], v43 offset:32
	ds_read_b128 v[26:29], v43 offset:48
	s_waitcnt lgkmcnt(2)
	v_add_f64 v[0:1], v[8:9], v[0:1]
	v_add_f64 v[8:9], v[10:11], v[2:3]
	s_waitcnt lgkmcnt(1)
	v_add_f64 v[10:11], v[0:1], v[22:23]
	ds_read_b128 v[0:3], v43 offset:64
	v_add_f64 v[8:9], v[8:9], v[24:25]
	s_waitcnt lgkmcnt(1)
	v_add_f64 v[22:23], v[10:11], v[26:27]
	v_add_f64 v[26:27], v[8:9], v[28:29]
	ds_read_b128 v[8:11], v43 offset:80
	s_waitcnt lgkmcnt(1)
	v_add_f64 v[28:29], v[22:23], v[0:1]
	ds_read_b128 v[22:25], v43 offset:96
	v_add_f64 v[26:27], v[26:27], v[2:3]
	ds_read_b128 v[0:3], v43 offset:112
	s_waitcnt lgkmcnt(2)
	v_add_f64 v[8:9], v[28:29], v[8:9]
	v_add_f64 v[10:11], v[26:27], v[10:11]
	s_waitcnt lgkmcnt(1)
	v_add_f64 v[8:9], v[8:9], v[22:23]
	v_add_f64 v[10:11], v[10:11], v[24:25]
	;; [unrolled: 3-line block ×3, first 2 shown]
.LBB20_56:
	s_or_b64 exec, exec, s[14:15]
	s_lshl_b64 s[14:15], s[20:21], 9
	v_mov_b32_e32 v8, s15
	v_add_co_u32_e32 v10, vcc, s14, v6
	v_addc_co_u32_e32 v11, vcc, v7, v8, vcc
	v_add_co_u32_e32 v8, vcc, 0x200, v10
	v_addc_co_u32_e32 v9, vcc, 0, v11, vcc
	s_and_b64 vcc, exec, s[22:23]
	s_barrier
	s_cbranch_vccz .LBB20_74
; %bb.57:
	v_sub_co_u32_e32 v7, vcc, v8, v13
	s_ashr_i32 s25, s24, 31
	v_subbrev_co_u32_e32 v22, vcc, 0, v9, vcc
	s_lshl_b64 s[30:31], s[24:25], 4
	v_mov_b32_e32 v23, s31
	v_add_co_u32_e32 v7, vcc, s30, v7
	v_addc_co_u32_e32 v22, vcc, v22, v23, vcc
	v_or_b32_e32 v6, 32, v4
	v_add_co_u32_e32 v23, vcc, 0xfffffdf0, v7
	v_addc_co_u32_e32 v7, vcc, -1, v22, vcc
	v_cmp_gt_i32_e64 s[14:15], s24, v6
	s_sub_i32 s25, s24, 32
	v_cndmask_b32_e64 v7, v7, v9, s[14:15]
	v_cndmask_b32_e64 v6, v23, v8, s[14:15]
	v_cmp_le_i32_e32 vcc, s25, v12
	v_add_lshl_u32 v22, v5, v4, 4
	s_and_saveexec_b64 s[34:35], vcc
	s_xor_b64 s[34:35], exec, s[34:35]
	s_cbranch_execz .LBB20_59
; %bb.58:
	v_mov_b32_e32 v24, 0
	v_mov_b32_e32 v25, v24
	;; [unrolled: 1-line block ×4, first 2 shown]
	ds_write_b128 v22, v[24:27]
.LBB20_59:
	s_andn2_saveexec_b64 s[34:35], s[34:35]
	s_cbranch_execz .LBB20_61
; %bb.60:
	global_load_dwordx4 v[24:27], v[6:7], off
	s_waitcnt vmcnt(0)
	ds_write2_b64 v22, v[24:25], v[26:27] offset1:1
.LBB20_61:
	s_or_b64 exec, exec, s[34:35]
	v_add_u32_e32 v23, 8, v12
	v_cmp_le_i32_e32 vcc, s25, v23
	s_and_saveexec_b64 s[34:35], vcc
	s_xor_b64 s[34:35], exec, s[34:35]
	s_cbranch_execz .LBB20_63
; %bb.62:
	v_mul_u32_u24_e32 v23, 33, v23
	v_mov_b32_e32 v24, 0
	v_add_lshl_u32 v23, v23, v4, 4
	v_mov_b32_e32 v25, v24
	v_mov_b32_e32 v26, v24
	;; [unrolled: 1-line block ×3, first 2 shown]
	ds_write_b128 v23, v[24:27]
.LBB20_63:
	s_andn2_saveexec_b64 s[34:35], s[34:35]
	s_cbranch_execz .LBB20_65
; %bb.64:
	s_lshl_b64 s[40:41], s[20:21], 7
	v_mov_b32_e32 v23, s41
	v_add_co_u32_e32 v24, vcc, s40, v6
	v_addc_co_u32_e32 v25, vcc, v7, v23, vcc
	global_load_dwordx4 v[24:27], v[24:25], off
	v_add_u32_e32 v23, 0x1080, v22
	s_waitcnt vmcnt(0)
	ds_write2_b64 v23, v[24:25], v[26:27] offset1:1
.LBB20_65:
	s_or_b64 exec, exec, s[34:35]
	v_add_u32_e32 v23, 16, v12
	v_cmp_le_i32_e32 vcc, s25, v23
	s_and_saveexec_b64 s[34:35], vcc
	s_xor_b64 s[34:35], exec, s[34:35]
	s_cbranch_execz .LBB20_67
; %bb.66:
	v_mov_b32_e32 v24, 0
	v_mov_b32_e32 v25, v24
	;; [unrolled: 1-line block ×4, first 2 shown]
	ds_write_b128 v22, v[24:27] offset:8448
.LBB20_67:
	s_andn2_saveexec_b64 s[34:35], s[34:35]
	s_cbranch_execz .LBB20_69
; %bb.68:
	s_lshl_b64 s[40:41], s[20:21], 8
	v_mov_b32_e32 v23, s41
	v_add_co_u32_e32 v24, vcc, s40, v6
	v_addc_co_u32_e32 v25, vcc, v7, v23, vcc
	global_load_dwordx4 v[24:27], v[24:25], off
	v_add_u32_e32 v23, 0x2100, v22
	s_waitcnt vmcnt(0)
	ds_write2_b64 v23, v[24:25], v[26:27] offset1:1
.LBB20_69:
	s_or_b64 exec, exec, s[34:35]
	v_add_u32_e32 v23, 24, v12
	v_cmp_le_i32_e32 vcc, s25, v23
	s_and_saveexec_b64 s[34:35], vcc
	s_xor_b64 s[34:35], exec, s[34:35]
	s_cbranch_execz .LBB20_71
; %bb.70:
	v_mov_b32_e32 v24, 0
	v_mov_b32_e32 v25, v24
	;; [unrolled: 1-line block ×4, first 2 shown]
	ds_write_b128 v22, v[24:27] offset:12672
                                        ; implicit-def: $vgpr22
.LBB20_71:
	s_andn2_saveexec_b64 s[34:35], s[34:35]
	s_cbranch_execz .LBB20_73
; %bb.72:
	v_mov_b32_e32 v23, 0x180
	v_mad_u64_u32 v[24:25], s[40:41], s20, v23, v[6:7]
	v_add_u32_e32 v25, s39, v25
	global_load_dwordx4 v[24:27], v[24:25], off
	v_add_u32_e32 v22, 0x3180, v22
	s_waitcnt vmcnt(0)
	ds_write2_b64 v22, v[24:25], v[26:27] offset1:1
.LBB20_73:
	s_or_b64 exec, exec, s[34:35]
	v_add_co_u32_e32 v6, vcc, v6, v13
	v_addc_co_u32_e32 v7, vcc, 0, v7, vcc
	v_mov_b32_e32 v22, s31
	v_subrev_co_u32_e32 v6, vcc, s30, v6
	v_subb_co_u32_e32 v7, vcc, v7, v22, vcc
	v_add_co_u32_e32 v6, vcc, 0x210, v6
	v_addc_co_u32_e32 v7, vcc, 0, v7, vcc
	v_cndmask_b32_e64 v7, v7, v9, s[14:15]
	v_cndmask_b32_e64 v6, v6, v8, s[14:15]
	s_branch .LBB20_76
.LBB20_74:
                                        ; implicit-def: $vgpr6_vgpr7
	s_cbranch_execz .LBB20_76
; %bb.75:
	s_lshl_b64 s[14:15], s[20:21], 7
	v_mov_b32_e32 v30, s15
	v_add_co_u32_e32 v6, vcc, s14, v10
	v_addc_co_u32_e32 v7, vcc, v11, v30, vcc
	global_load_dwordx4 v[22:25], v[8:9], off
	global_load_dwordx4 v[26:29], v[6:7], off offset:512
	v_add_co_u32_e32 v6, vcc, s14, v6
	v_addc_co_u32_e32 v7, vcc, v7, v30, vcc
	v_mov_b32_e32 v30, 0x180
	v_mad_u64_u32 v[10:11], s[14:15], s20, v30, v[10:11]
	v_add_u32_e32 v11, s39, v11
	global_load_dwordx4 v[30:33], v[6:7], off offset:512
	global_load_dwordx4 v[46:49], v[10:11], off offset:512
	v_add_lshl_u32 v6, v5, v4, 4
	v_add_u32_e32 v7, 0x1080, v6
	v_add_u32_e32 v10, 0x2100, v6
	;; [unrolled: 1-line block ×3, first 2 shown]
	s_waitcnt vmcnt(3)
	ds_write2_b64 v6, v[22:23], v[24:25] offset1:1
	s_waitcnt vmcnt(2)
	ds_write2_b64 v7, v[26:27], v[28:29] offset1:1
	;; [unrolled: 2-line block ×4, first 2 shown]
	v_pk_mov_b32 v[6:7], v[8:9], v[8:9] op_sel:[0,1]
.LBB20_76:
	s_waitcnt lgkmcnt(0)
	s_barrier
	s_and_saveexec_b64 s[14:15], s[16:17]
	s_xor_b64 s[14:15], exec, s[14:15]
	s_cbranch_execnz .LBB20_105
; %bb.77:
	s_andn2_saveexec_b64 s[14:15], s[14:15]
	s_cbranch_execnz .LBB20_108
.LBB20_78:
	s_or_b64 exec, exec, s[14:15]
	s_and_saveexec_b64 s[14:15], s[8:9]
	s_xor_b64 s[8:9], exec, s[14:15]
	s_cbranch_execnz .LBB20_109
.LBB20_79:
	s_andn2_saveexec_b64 s[8:9], s[8:9]
	s_cbranch_execnz .LBB20_110
.LBB20_80:
	s_or_b64 exec, exec, s[8:9]
	s_and_saveexec_b64 s[8:9], s[10:11]
	s_xor_b64 s[8:9], exec, s[8:9]
	s_cbranch_execnz .LBB20_113
.LBB20_81:
	s_andn2_saveexec_b64 s[8:9], s[8:9]
	s_cbranch_execnz .LBB20_116
.LBB20_82:
	s_or_b64 exec, exec, s[8:9]
	s_and_saveexec_b64 s[8:9], s[12:13]
	s_xor_b64 s[8:9], exec, s[8:9]
	s_cbranch_execnz .LBB20_117
.LBB20_83:
	s_or_saveexec_b64 s[8:9], s[8:9]
	v_add_u32_e32 v17, 0x4700, v21
	s_xor_b64 exec, exec, s[8:9]
	s_cbranch_execz .LBB20_85
.LBB20_84:
	ds_read_b128 v[8:11], v45 offset:1056
	s_waitcnt lgkmcnt(0)
	v_xor_b32_e32 v11, 0x80000000, v11
	ds_write_b128 v15, v[8:11] offset:48
.LBB20_85:
	s_or_b64 exec, exec, s[8:9]
	s_waitcnt lgkmcnt(0)
	s_barrier
	ds_read_b128 v[8:11], v17 offset:512
	ds_read_b128 v[18:21], v16
	ds_read_b128 v[22:25], v17 offset:528
	ds_read_b128 v[26:29], v17 offset:544
	v_cmp_eq_u32_e64 s[8:9], 1, v12
	s_waitcnt lgkmcnt(2)
	v_mul_f64 v[30:31], v[10:11], v[20:21]
	v_fma_f64 v[34:35], v[8:9], v[18:19], -v[30:31]
	ds_read_b128 v[30:33], v17 offset:560
	ds_read_b128 v[46:49], v45
	v_mul_f64 v[8:9], v[8:9], v[20:21]
	v_fmac_f64_e32 v[8:9], v[10:11], v[18:19]
	v_add_f64 v[20:21], v[8:9], 0
	v_add_f64 v[18:19], v[34:35], 0
	s_waitcnt lgkmcnt(0)
	v_mul_f64 v[8:9], v[24:25], v[48:49]
	v_fma_f64 v[34:35], v[22:23], v[46:47], -v[8:9]
	v_mul_f64 v[22:23], v[22:23], v[48:49]
	ds_read_b128 v[8:11], v45 offset:528
	v_fmac_f64_e32 v[22:23], v[24:25], v[46:47]
	v_add_f64 v[24:25], v[18:19], v[34:35]
	v_add_f64 v[22:23], v[20:21], v[22:23]
	ds_read_b128 v[18:21], v45 offset:1056
	s_waitcnt lgkmcnt(1)
	v_mul_f64 v[34:35], v[28:29], v[10:11]
	v_mul_f64 v[10:11], v[26:27], v[10:11]
	v_fmac_f64_e32 v[10:11], v[28:29], v[8:9]
	v_fma_f64 v[34:35], v[26:27], v[8:9], -v[34:35]
	v_add_f64 v[10:11], v[22:23], v[10:11]
	s_waitcnt lgkmcnt(0)
	v_mul_f64 v[22:23], v[32:33], v[20:21]
	v_mul_f64 v[20:21], v[30:31], v[20:21]
	v_add_f64 v[8:9], v[24:25], v[34:35]
	v_fma_f64 v[22:23], v[30:31], v[18:19], -v[22:23]
	v_fmac_f64_e32 v[20:21], v[32:33], v[18:19]
	v_add_f64 v[8:9], v[8:9], v[22:23]
	v_add_f64 v[10:11], v[10:11], v[20:21]
	s_barrier
	ds_write_b128 v44, v[8:11]
	s_waitcnt lgkmcnt(0)
	s_barrier
	s_and_saveexec_b64 s[10:11], s[8:9]
	s_cbranch_execz .LBB20_87
; %bb.86:
	ds_read_b128 v[0:3], v43
	ds_read_b128 v[8:11], v43 offset:16
	ds_read_b128 v[18:21], v43 offset:32
	;; [unrolled: 1-line block ×3, first 2 shown]
	s_waitcnt lgkmcnt(2)
	v_add_f64 v[0:1], v[8:9], v[0:1]
	v_add_f64 v[8:9], v[10:11], v[2:3]
	s_waitcnt lgkmcnt(1)
	v_add_f64 v[10:11], v[0:1], v[18:19]
	ds_read_b128 v[0:3], v43 offset:64
	v_add_f64 v[8:9], v[8:9], v[20:21]
	s_waitcnt lgkmcnt(1)
	v_add_f64 v[18:19], v[10:11], v[22:23]
	v_add_f64 v[22:23], v[8:9], v[24:25]
	ds_read_b128 v[8:11], v43 offset:80
	s_waitcnt lgkmcnt(1)
	v_add_f64 v[24:25], v[18:19], v[0:1]
	ds_read_b128 v[18:21], v43 offset:96
	v_add_f64 v[22:23], v[22:23], v[2:3]
	ds_read_b128 v[0:3], v43 offset:112
	s_waitcnt lgkmcnt(2)
	v_add_f64 v[8:9], v[24:25], v[8:9]
	v_add_f64 v[10:11], v[22:23], v[10:11]
	s_waitcnt lgkmcnt(1)
	v_add_f64 v[8:9], v[8:9], v[18:19]
	v_add_f64 v[10:11], v[10:11], v[20:21]
	;; [unrolled: 3-line block ×3, first 2 shown]
.LBB20_87:
	s_or_b64 exec, exec, s[10:11]
	v_add_co_u32_e32 v8, vcc, 0xfffffe00, v6
	v_addc_co_u32_e32 v9, vcc, -1, v7, vcc
	s_and_b64 vcc, exec, s[22:23]
	s_barrier
	s_cbranch_vccz .LBB20_120
; %bb.88:
	v_sub_co_u32_e32 v10, vcc, v6, v13
	s_ashr_i32 s25, s24, 31
	v_subbrev_co_u32_e32 v11, vcc, 0, v7, vcc
	s_lshl_b64 s[12:13], s[24:25], 4
	v_mov_b32_e32 v15, s13
	v_add_co_u32_e32 v10, vcc, s12, v10
	v_addc_co_u32_e32 v11, vcc, v11, v15, vcc
	v_add_co_u32_e32 v10, vcc, 0xfffffdf0, v10
	v_addc_co_u32_e32 v11, vcc, -1, v11, vcc
	v_cmp_gt_i32_e32 vcc, s24, v4
	s_sub_i32 s16, s24, 32
	v_cndmask_b32_e32 v11, v11, v9, vcc
	v_cndmask_b32_e32 v10, v10, v8, vcc
	v_cmp_le_i32_e64 s[10:11], s16, v12
	v_add_lshl_u32 v20, v5, v4, 4
	s_and_saveexec_b64 s[14:15], s[10:11]
	s_xor_b64 s[10:11], exec, s[14:15]
	s_cbranch_execz .LBB20_90
; %bb.89:
	v_mov_b32_e32 v22, 0
	v_mov_b32_e32 v23, v22
	;; [unrolled: 1-line block ×4, first 2 shown]
	ds_write_b128 v20, v[22:25]
.LBB20_90:
	s_andn2_saveexec_b64 s[10:11], s[10:11]
	s_cbranch_execz .LBB20_92
; %bb.91:
	global_load_dwordx4 v[22:25], v[10:11], off
	s_waitcnt vmcnt(0)
	ds_write2_b64 v20, v[22:23], v[24:25] offset1:1
.LBB20_92:
	s_or_b64 exec, exec, s[10:11]
	v_add_u32_e32 v15, 8, v12
	v_cmp_le_i32_e64 s[10:11], s16, v15
	s_and_saveexec_b64 s[14:15], s[10:11]
	s_xor_b64 s[10:11], exec, s[14:15]
	s_cbranch_execz .LBB20_94
; %bb.93:
	v_mul_u32_u24_e32 v18, 33, v15
	v_mov_b32_e32 v22, 0
	v_add_lshl_u32 v18, v18, v4, 4
	v_mov_b32_e32 v23, v22
	v_mov_b32_e32 v24, v22
	;; [unrolled: 1-line block ×3, first 2 shown]
	ds_write_b128 v18, v[22:25]
.LBB20_94:
	s_andn2_saveexec_b64 s[14:15], s[10:11]
	s_cbranch_execz .LBB20_96
; %bb.95:
	s_lshl_b64 s[10:11], s[20:21], 7
	v_mov_b32_e32 v19, s11
	v_add_co_u32_e64 v18, s[10:11], s10, v10
	v_addc_co_u32_e64 v19, s[10:11], v11, v19, s[10:11]
	global_load_dwordx4 v[22:25], v[18:19], off
	v_add_u32_e32 v18, 0x1080, v20
	s_waitcnt vmcnt(0)
	ds_write2_b64 v18, v[22:23], v[24:25] offset1:1
.LBB20_96:
	s_or_b64 exec, exec, s[14:15]
	v_add_u32_e32 v18, 16, v12
	v_cmp_le_i32_e64 s[10:11], s16, v18
	s_and_saveexec_b64 s[14:15], s[10:11]
	s_xor_b64 s[10:11], exec, s[14:15]
	s_cbranch_execz .LBB20_98
; %bb.97:
	v_mov_b32_e32 v22, 0
	v_mov_b32_e32 v23, v22
	;; [unrolled: 1-line block ×4, first 2 shown]
	ds_write_b128 v20, v[22:25] offset:8448
.LBB20_98:
	s_andn2_saveexec_b64 s[14:15], s[10:11]
	s_cbranch_execz .LBB20_100
; %bb.99:
	s_lshl_b64 s[10:11], s[20:21], 8
	v_mov_b32_e32 v19, s11
	v_add_co_u32_e64 v22, s[10:11], s10, v10
	v_addc_co_u32_e64 v23, s[10:11], v11, v19, s[10:11]
	global_load_dwordx4 v[22:25], v[22:23], off
	v_add_u32_e32 v19, 0x2100, v20
	s_waitcnt vmcnt(0)
	ds_write2_b64 v19, v[22:23], v[24:25] offset1:1
.LBB20_100:
	s_or_b64 exec, exec, s[14:15]
	v_add_u32_e32 v19, 24, v12
	v_cmp_le_i32_e64 s[10:11], s16, v19
	s_and_saveexec_b64 s[14:15], s[10:11]
	s_xor_b64 s[10:11], exec, s[14:15]
	s_cbranch_execz .LBB20_102
; %bb.101:
	v_mov_b32_e32 v22, 0
	v_mov_b32_e32 v23, v22
	;; [unrolled: 1-line block ×4, first 2 shown]
	ds_write_b128 v20, v[22:25] offset:12672
                                        ; implicit-def: $vgpr20
.LBB20_102:
	s_andn2_saveexec_b64 s[10:11], s[10:11]
	s_cbranch_execz .LBB20_104
; %bb.103:
	v_mov_b32_e32 v21, 0x180
	v_mad_u64_u32 v[22:23], s[14:15], s20, v21, v[10:11]
	v_add_u32_e32 v23, s39, v23
	global_load_dwordx4 v[22:25], v[22:23], off
	v_add_u32_e32 v20, 0x3180, v20
	s_waitcnt vmcnt(0)
	ds_write2_b64 v20, v[22:23], v[24:25] offset1:1
.LBB20_104:
	s_or_b64 exec, exec, s[10:11]
	v_add_co_u32_e64 v10, s[10:11], v10, v13
	v_addc_co_u32_e64 v11, s[10:11], 0, v11, s[10:11]
	v_mov_b32_e32 v13, s13
	v_subrev_co_u32_e64 v10, s[10:11], s12, v10
	v_subb_co_u32_e64 v11, s[10:11], v11, v13, s[10:11]
	v_add_co_u32_e64 v10, s[10:11], 16, v10
	v_addc_co_u32_e64 v11, s[10:11], 0, v11, s[10:11]
	v_cndmask_b32_e32 v41, v11, v9, vcc
	v_cndmask_b32_e32 v40, v10, v8, vcc
	s_branch .LBB20_122
.LBB20_105:
	v_cmp_eq_u32_e32 vcc, v18, v4
	s_and_saveexec_b64 s[16:17], vcc
	s_cbranch_execz .LBB20_107
; %bb.106:
	v_mul_u32_u24_e32 v8, 34, v4
	v_lshlrev_b32_e32 v10, 4, v8
	v_mov_b32_e32 v8, 0
	v_mov_b32_e32 v9, v8
	ds_write_b64 v10, v[8:9] offset:8
.LBB20_107:
	s_or_b64 exec, exec, s[16:17]
	s_andn2_saveexec_b64 s[14:15], s[14:15]
	s_cbranch_execz .LBB20_78
.LBB20_108:
	ds_read_b128 v[8:11], v16
	s_waitcnt lgkmcnt(0)
	v_xor_b32_e32 v11, 0x80000000, v11
	ds_write_b128 v15, v[8:11]
	s_or_b64 exec, exec, s[14:15]
	s_and_saveexec_b64 s[14:15], s[8:9]
	s_xor_b64 s[8:9], exec, s[14:15]
	s_cbranch_execz .LBB20_79
.LBB20_109:
	ds_read_b128 v[8:11], v45
                                        ; implicit-def: $vgpr17
	s_waitcnt lgkmcnt(0)
	v_xor_b32_e32 v11, 0x80000000, v11
	ds_write_b128 v15, v[8:11] offset:16
	s_andn2_saveexec_b64 s[8:9], s[8:9]
	s_cbranch_execz .LBB20_80
.LBB20_110:
	v_cmp_eq_u32_e32 vcc, v17, v4
	s_and_saveexec_b64 s[14:15], vcc
	s_cbranch_execz .LBB20_112
; %bb.111:
	v_mul_u32_u24_e32 v8, 34, v4
	v_lshlrev_b32_e32 v10, 4, v8
	v_mov_b32_e32 v8, 0
	v_mov_b32_e32 v9, v8
	ds_write_b64 v10, v[8:9] offset:8
.LBB20_112:
	s_or_b64 exec, exec, s[14:15]
	s_or_b64 exec, exec, s[8:9]
	s_and_saveexec_b64 s[8:9], s[10:11]
	s_xor_b64 s[8:9], exec, s[8:9]
	s_cbranch_execz .LBB20_81
.LBB20_113:
	v_cmp_eq_u32_e32 vcc, v19, v4
	s_and_saveexec_b64 s[10:11], vcc
	s_cbranch_execz .LBB20_115
; %bb.114:
	v_mul_u32_u24_e32 v8, 34, v4
	v_lshlrev_b32_e32 v10, 4, v8
	v_mov_b32_e32 v8, 0
	v_mov_b32_e32 v9, v8
	ds_write_b64 v10, v[8:9] offset:8
.LBB20_115:
	s_or_b64 exec, exec, s[10:11]
	s_andn2_saveexec_b64 s[8:9], s[8:9]
	s_cbranch_execz .LBB20_82
.LBB20_116:
	ds_read_b128 v[8:11], v45 offset:528
	s_waitcnt lgkmcnt(0)
	v_xor_b32_e32 v11, 0x80000000, v11
	ds_write_b128 v15, v[8:11] offset:32
	s_or_b64 exec, exec, s[8:9]
	s_and_saveexec_b64 s[8:9], s[12:13]
	s_xor_b64 s[8:9], exec, s[8:9]
	s_cbranch_execz .LBB20_83
.LBB20_117:
	v_cmp_eq_u32_e32 vcc, v20, v4
	s_and_saveexec_b64 s[10:11], vcc
	s_cbranch_execz .LBB20_119
; %bb.118:
	v_mul_u32_u24_e32 v8, 34, v4
	v_lshlrev_b32_e32 v10, 4, v8
	v_mov_b32_e32 v8, 0
	v_mov_b32_e32 v9, v8
	ds_write_b64 v10, v[8:9] offset:8
.LBB20_119:
	s_or_b64 exec, exec, s[10:11]
                                        ; implicit-def: $vgpr15
	s_or_saveexec_b64 s[8:9], s[8:9]
	v_add_u32_e32 v17, 0x4700, v21
	s_xor_b64 exec, exec, s[8:9]
	s_cbranch_execnz .LBB20_84
	s_branch .LBB20_85
.LBB20_120:
                                        ; implicit-def: $vgpr40_vgpr41
                                        ; implicit-def: $vgpr15
                                        ; implicit-def: $vgpr18
                                        ; implicit-def: $vgpr19
	s_cbranch_execz .LBB20_122
; %bb.121:
	s_lshl_b64 s[10:11], s[20:21], 7
	v_mov_b32_e32 v13, s11
	v_add_co_u32_e32 v10, vcc, s10, v6
	v_addc_co_u32_e32 v11, vcc, v7, v13, vcc
	global_load_dwordx4 v[20:23], v[8:9], off
	global_load_dwordx4 v[24:27], v[10:11], off offset:-512
	v_add_co_u32_e32 v10, vcc, s10, v10
	v_addc_co_u32_e32 v11, vcc, v11, v13, vcc
	v_mov_b32_e32 v13, 0x180
	v_mad_u64_u32 v[6:7], s[10:11], s20, v13, v[6:7]
	v_add_u32_e32 v7, s39, v7
	global_load_dwordx4 v[28:31], v[10:11], off offset:-512
	global_load_dwordx4 v[32:35], v[6:7], off offset:-512
	v_add_lshl_u32 v4, v5, v4, 4
	v_add_u32_e32 v15, 8, v12
	v_add_u32_e32 v18, 16, v12
	;; [unrolled: 1-line block ×3, first 2 shown]
	v_pk_mov_b32 v[40:41], v[8:9], v[8:9] op_sel:[0,1]
	v_add_u32_e32 v5, 0x1080, v4
	v_add_u32_e32 v6, 0x2100, v4
	;; [unrolled: 1-line block ×3, first 2 shown]
	s_waitcnt vmcnt(3)
	ds_write2_b64 v4, v[20:21], v[22:23] offset1:1
	s_waitcnt vmcnt(2)
	ds_write2_b64 v5, v[24:25], v[26:27] offset1:1
	;; [unrolled: 2-line block ×4, first 2 shown]
.LBB20_122:
	v_lshlrev_b32_e32 v4, 4, v12
	s_waitcnt lgkmcnt(0)
	s_barrier
	ds_read_b128 v[46:49], v44
	ds_read_b128 v[50:53], v4 offset:18176
	v_add_lshl_u32 v4, v15, v14, 4
	v_lshlrev_b32_e32 v5, 4, v15
	ds_read_b128 v[54:57], v4
	ds_read_b128 v[58:61], v5 offset:18176
	s_waitcnt lgkmcnt(2)
	v_mul_f64 v[4:5], v[48:49], v[52:53]
	v_fmac_f64_e32 v[4:5], v[46:47], v[50:51]
	v_add_f64 v[4:5], v[4:5], 0
	s_waitcnt lgkmcnt(0)
	v_mul_f64 v[6:7], v[56:57], v[60:61]
	v_fmac_f64_e32 v[6:7], v[54:55], v[58:59]
	v_add_f64 v[4:5], v[4:5], v[6:7]
	v_add_lshl_u32 v6, v18, v14, 4
	v_mul_f64 v[70:71], v[48:49], v[50:51]
	v_mul_f64 v[72:73], v[56:57], v[58:59]
	v_lshlrev_b32_e32 v7, 4, v18
	ds_read_b128 v[48:51], v6
	ds_read_b128 v[56:59], v7 offset:18176
	v_add_lshl_u32 v6, v19, v14, 4
	v_lshlrev_b32_e32 v7, 4, v19
	ds_read_b128 v[62:65], v6
	ds_read_b128 v[66:69], v7 offset:18176
	v_fma_f64 v[46:47], v[46:47], v[52:53], -v[70:71]
	s_waitcnt lgkmcnt(2)
	v_mul_f64 v[6:7], v[50:51], v[58:59]
	v_fmac_f64_e32 v[6:7], v[48:49], v[56:57]
	v_add_f64 v[4:5], v[4:5], v[6:7]
	s_waitcnt lgkmcnt(0)
	v_mul_f64 v[6:7], v[64:65], v[68:69]
	v_fmac_f64_e32 v[6:7], v[62:63], v[66:67]
	v_mul_f64 v[56:57], v[50:51], v[56:57]
	v_add_f64 v[50:51], v[4:5], v[6:7]
	ds_read_b128 v[20:23], v17 offset:528
	ds_read_b128 v[12:15], v17 offset:544
	;; [unrolled: 1-line block ×3, first 2 shown]
	ds_read_b128 v[32:35], v16
	ds_read_b128 v[4:7], v17 offset:560
	ds_read_b128 v[24:27], v45
	ds_read_b128 v[16:19], v45 offset:528
	ds_read_b128 v[8:11], v45 offset:1056
	v_add_f64 v[46:47], v[46:47], 0
	v_fma_f64 v[52:53], v[54:55], v[60:61], -v[72:73]
	v_mul_f64 v[64:65], v[64:65], v[66:67]
	v_add_f64 v[46:47], v[46:47], v[52:53]
	v_fma_f64 v[48:49], v[48:49], v[58:59], -v[56:57]
	v_add_f64 v[46:47], v[46:47], v[48:49]
	v_fma_f64 v[48:49], v[62:63], v[68:69], -v[64:65]
	v_add_f64 v[52:53], v[46:47], v[48:49]
	s_waitcnt lgkmcnt(0)
	s_barrier
	ds_write_b128 v44, v[50:53]
	s_waitcnt lgkmcnt(0)
	s_barrier
	s_and_saveexec_b64 s[10:11], s[8:9]
	s_cbranch_execz .LBB20_124
; %bb.123:
	ds_read_b128 v[46:49], v43
	ds_read_b128 v[50:53], v43 offset:16
	ds_read_b128 v[54:57], v43 offset:32
	;; [unrolled: 1-line block ×3, first 2 shown]
	s_waitcnt lgkmcnt(3)
	v_add_f64 v[0:1], v[0:1], v[46:47]
	v_add_f64 v[2:3], v[2:3], v[48:49]
	s_waitcnt lgkmcnt(2)
	v_add_f64 v[0:1], v[0:1], v[50:51]
	v_add_f64 v[46:47], v[2:3], v[52:53]
	s_waitcnt lgkmcnt(1)
	v_add_f64 v[48:49], v[0:1], v[54:55]
	ds_read_b128 v[0:3], v43 offset:64
	v_add_f64 v[46:47], v[46:47], v[56:57]
	s_waitcnt lgkmcnt(1)
	v_add_f64 v[50:51], v[48:49], v[58:59]
	v_add_f64 v[54:55], v[46:47], v[60:61]
	ds_read_b128 v[46:49], v43 offset:80
	s_waitcnt lgkmcnt(1)
	v_add_f64 v[56:57], v[50:51], v[0:1]
	ds_read_b128 v[50:53], v43 offset:96
	v_add_f64 v[54:55], v[54:55], v[2:3]
	ds_read_b128 v[0:3], v43 offset:112
	s_waitcnt lgkmcnt(2)
	v_add_f64 v[46:47], v[56:57], v[46:47]
	v_add_f64 v[48:49], v[54:55], v[48:49]
	s_waitcnt lgkmcnt(1)
	v_add_f64 v[46:47], v[46:47], v[50:51]
	v_add_f64 v[48:49], v[48:49], v[52:53]
	;; [unrolled: 3-line block ×3, first 2 shown]
.LBB20_124:
	s_or_b64 exec, exec, s[10:11]
	v_mul_f64 v[46:47], v[30:31], v[34:35]
	v_fma_f64 v[46:47], v[28:29], v[32:33], -v[46:47]
	v_mul_f64 v[28:29], v[28:29], v[34:35]
	v_fmac_f64_e32 v[28:29], v[30:31], v[32:33]
	v_mul_f64 v[32:33], v[22:23], v[26:27]
	v_fma_f64 v[32:33], v[20:21], v[24:25], -v[32:33]
	v_mul_f64 v[20:21], v[20:21], v[26:27]
	v_fmac_f64_e32 v[20:21], v[22:23], v[24:25]
	v_mul_f64 v[24:25], v[14:15], v[18:19]
	v_add_f64 v[30:31], v[46:47], 0
	v_add_f64 v[28:29], v[28:29], 0
	v_fma_f64 v[24:25], v[12:13], v[16:17], -v[24:25]
	v_mul_f64 v[12:13], v[12:13], v[18:19]
	v_add_f64 v[22:23], v[30:31], v[32:33]
	v_add_f64 v[20:21], v[28:29], v[20:21]
	v_fmac_f64_e32 v[12:13], v[14:15], v[16:17]
	v_mul_f64 v[16:17], v[6:7], v[10:11]
	v_mul_f64 v[10:11], v[4:5], v[10:11]
	v_add_f64 v[14:15], v[22:23], v[24:25]
	v_add_f64 v[12:13], v[20:21], v[12:13]
	v_fma_f64 v[16:17], v[4:5], v[8:9], -v[16:17]
	v_fmac_f64_e32 v[10:11], v[6:7], v[8:9]
	v_add_f64 v[4:5], v[14:15], v[16:17]
	v_add_f64 v[6:7], v[12:13], v[10:11]
	s_barrier
	ds_write_b128 v44, v[4:7]
	s_waitcnt lgkmcnt(0)
	s_barrier
	s_and_saveexec_b64 s[8:9], s[2:3]
	s_cbranch_execz .LBB20_126
; %bb.125:
	ds_read_b128 v[4:7], v43
	ds_read_b128 v[8:11], v43 offset:16
	ds_read_b128 v[12:15], v43 offset:32
	;; [unrolled: 1-line block ×3, first 2 shown]
	s_waitcnt lgkmcnt(3)
	v_add_f64 v[0:1], v[0:1], v[4:5]
	v_add_f64 v[2:3], v[2:3], v[6:7]
	s_waitcnt lgkmcnt(2)
	v_add_f64 v[0:1], v[0:1], v[8:9]
	v_add_f64 v[4:5], v[2:3], v[10:11]
	s_waitcnt lgkmcnt(1)
	v_add_f64 v[6:7], v[0:1], v[12:13]
	ds_read_b128 v[0:3], v43 offset:64
	v_add_f64 v[4:5], v[4:5], v[14:15]
	s_waitcnt lgkmcnt(1)
	v_add_f64 v[8:9], v[6:7], v[16:17]
	v_add_f64 v[12:13], v[4:5], v[18:19]
	ds_read_b128 v[4:7], v43 offset:80
	s_waitcnt lgkmcnt(1)
	v_add_f64 v[14:15], v[8:9], v[0:1]
	ds_read_b128 v[8:11], v43 offset:96
	v_add_f64 v[12:13], v[12:13], v[2:3]
	ds_read_b128 v[0:3], v43 offset:112
	s_waitcnt lgkmcnt(2)
	v_add_f64 v[4:5], v[14:15], v[4:5]
	v_add_f64 v[6:7], v[12:13], v[6:7]
	s_waitcnt lgkmcnt(1)
	v_add_f64 v[4:5], v[4:5], v[8:9]
	v_add_f64 v[6:7], v[6:7], v[10:11]
	;; [unrolled: 3-line block ×3, first 2 shown]
.LBB20_126:
	s_or_b64 exec, exec, s[8:9]
	s_load_dwordx2 s[2:3], s[4:5], 0x78
	s_mul_hi_u32 s4, s37, s7
	s_mul_i32 s38, s38, s7
	s_add_i32 s4, s4, s38
	s_mul_i32 s7, s37, s7
	s_mul_i32 s4, s4, s33
	s_mul_hi_u32 s5, s7, s33
	s_add_i32 s5, s5, s4
	s_mul_i32 s4, s7, s33
	s_lshl_b64 s[4:5], s[4:5], 4
	s_waitcnt lgkmcnt(0)
	s_add_u32 s4, s2, s4
	s_addc_u32 s5, s3, s5
	s_mul_hi_i32 s3, s37, s6
	s_mul_i32 s2, s37, s6
	s_lshl_b64 s[2:3], s[2:3], 4
	s_add_u32 s7, s4, s2
	s_addc_u32 s22, s5, s3
	s_add_i32 s2, s6, 1
	s_cmp_ge_u32 s2, s33
	v_lshlrev_b32_e32 v168, 4, v201
	s_barrier
	s_cbranch_scc1 .LBB20_184
; %bb.127:
	s_mul_i32 s2, s26, s29
	s_mul_hi_u32 s3, s26, s28
	s_add_i32 s2, s3, s2
	s_mul_i32 s3, s27, s28
	s_add_i32 s3, s2, s3
	s_mul_i32 s2, s26, s28
	s_lshl_b64 s[2:3], s[2:3], 4
	v_mov_b32_e32 v4, s3
	v_subrev_co_u32_e32 v204, vcc, s2, v38
	v_and_b32_e32 v6, 48, v201
	v_subb_co_u32_e32 v205, vcc, v39, v4, vcc
	v_and_b32_e32 v4, 15, v201
	v_lshlrev_b32_e32 v7, 4, v6
	s_movk_i32 s4, 0x430
	v_lshrrev_b32_e32 v5, 4, v42
	v_mad_u32_u24 v208, v4, s4, v7
	v_or_b32_e32 v7, 0xf0, v168
	v_mad_u32_u24 v209, v4, s4, v7
	v_lshlrev_b32_e32 v7, 6, v5
	v_lshlrev_b32_e32 v10, 6, v202
	v_mad_u32_u24 v210, v4, s4, v7
	s_movk_i32 s4, 0x10c0
	v_mul_i32_i24_e32 v11, 0xffffffd0, v5
	v_add_u32_e32 v5, 0x200, v10
	v_mad_u32_u24 v215, v202, s4, v168
	v_or_b32_e32 v228, v6, v4
	v_mad_u64_u32 v[6:7], s[4:5], s20, v5, 0
	v_mov_b32_e32 v8, v7
	v_mad_u64_u32 v[8:9], s[4:5], s21, v5, v[8:9]
	v_mov_b32_e32 v5, v8
	v_sub_co_u32_e32 v6, vcc, v6, v36
	v_subb_co_u32_e32 v5, vcc, v5, v37, vcc
	v_add_co_u32_e32 v6, vcc, v40, v6
	v_addc_co_u32_e32 v5, vcc, v41, v5, vcc
	v_add_co_u32_e32 v170, vcc, 8, v6
	v_addc_co_u32_e32 v169, vcc, 0, v5, vcc
	v_add_u32_e32 v5, 0x530, v10
	v_mad_u64_u32 v[6:7], s[4:5], s20, v5, 0
	v_mov_b32_e32 v8, v7
	v_mad_u64_u32 v[8:9], s[4:5], s21, v5, v[8:9]
	v_mov_b32_e32 v5, v8
	v_sub_co_u32_e32 v6, vcc, v6, v36
	v_subb_co_u32_e32 v5, vcc, v5, v37, vcc
	v_add_co_u32_e32 v172, vcc, v40, v6
	v_addc_co_u32_e32 v171, vcc, v41, v5, vcc
	v_add_u32_e32 v5, 0x220, v10
	v_mad_u64_u32 v[6:7], s[4:5], s20, v5, 0
	v_mov_b32_e32 v8, v7
	v_mad_u64_u32 v[8:9], s[4:5], s21, v5, v[8:9]
	v_mov_b32_e32 v5, v8
	v_sub_co_u32_e32 v6, vcc, v6, v36
	v_subb_co_u32_e32 v5, vcc, v5, v37, vcc
	;; [unrolled: 9-line block ×4, first 2 shown]
	v_add_co_u32_e32 v6, vcc, v40, v6
	v_addc_co_u32_e32 v5, vcc, v41, v5, vcc
	v_add_co_u32_e32 v178, vcc, 8, v6
	v_addc_co_u32_e32 v177, vcc, 0, v5, vcc
	v_add_u32_e32 v5, 0x510, v10
	v_mad_u64_u32 v[6:7], s[4:5], s20, v5, 0
	v_mov_b32_e32 v8, v7
	v_mad_u64_u32 v[8:9], s[4:5], s21, v5, v[8:9]
	v_mov_b32_e32 v5, v8
	v_sub_co_u32_e32 v6, vcc, v6, v36
	v_subb_co_u32_e32 v5, vcc, v5, v37, vcc
	v_add_co_u32_e32 v180, vcc, v40, v6
	v_addc_co_u32_e32 v179, vcc, v41, v5, vcc
	v_add_u32_e32 v5, 0x230, v10
	v_mad_u64_u32 v[6:7], s[4:5], s20, v5, 0
	v_mov_b32_e32 v8, v7
	v_mad_u64_u32 v[8:9], s[4:5], s21, v5, v[8:9]
	v_mov_b32_e32 v5, v8
	v_sub_co_u32_e32 v6, vcc, v6, v36
	v_subb_co_u32_e32 v5, vcc, v5, v37, vcc
	v_add_co_u32_e32 v6, vcc, v40, v6
	v_addc_co_u32_e32 v5, vcc, v41, v5, vcc
	v_add_co_u32_e32 v182, vcc, 8, v6
	v_addc_co_u32_e32 v181, vcc, 0, v5, vcc
	v_add_u32_e32 v5, 0x500, v10
	v_mad_u64_u32 v[6:7], s[4:5], s20, v5, 0
	v_mov_b32_e32 v8, v7
	v_mad_u64_u32 v[8:9], s[4:5], s21, v5, v[8:9]
	v_mov_b32_e32 v5, v8
	v_sub_co_u32_e32 v6, vcc, v6, v36
	v_subb_co_u32_e32 v5, vcc, v5, v37, vcc
	v_add_co_u32_e32 v184, vcc, v40, v6
	v_addc_co_u32_e32 v183, vcc, v41, v5, vcc
	v_add_u32_e32 v5, 0x300, v10
	v_mad_u64_u32 v[6:7], s[4:5], s20, v5, 0
	v_mov_b32_e32 v8, v7
	v_mad_u64_u32 v[8:9], s[4:5], s21, v5, v[8:9]
	v_mov_b32_e32 v5, v8
	v_sub_co_u32_e32 v6, vcc, v6, v36
	v_subb_co_u32_e32 v5, vcc, v5, v37, vcc
	;; [unrolled: 20-line block ×5, first 2 shown]
	v_add_co_u32_e32 v6, vcc, v40, v6
	v_addc_co_u32_e32 v5, vcc, v41, v5, vcc
	v_add_co_u32_e32 v198, vcc, 8, v6
	v_addc_co_u32_e32 v197, vcc, 0, v5, vcc
	v_add_u32_e32 v5, 0x400, v10
	v_mad_u64_u32 v[6:7], s[4:5], s20, v5, 0
	v_mov_b32_e32 v8, v7
	v_mad_u64_u32 v[8:9], s[4:5], s21, v5, v[8:9]
	v_mov_b32_e32 v5, v8
	v_sub_co_u32_e32 v6, vcc, v6, v36
	v_subb_co_u32_e32 v5, vcc, v5, v37, vcc
	v_add_co_u32_e32 v6, vcc, v40, v6
	v_addc_co_u32_e32 v5, vcc, v41, v5, vcc
	v_lshlrev_b32_e32 v203, 2, v202
	v_add_co_u32_e32 v200, vcc, 8, v6
	s_add_i32 s23, s33, -2
	v_add_u32_e32 v206, 0x4300, v168
	v_add_u32_e32 v207, 0x4700, v168
	v_cmp_gt_u32_e64 s[2:3], 64, v42
	v_or_b32_e32 v211, 1, v203
	v_or_b32_e32 v212, 2, v203
	;; [unrolled: 1-line block ×3, first 2 shown]
	v_add_u32_e32 v214, 0x4300, v10
	v_add_u32_e32 v216, 16, v203
	;; [unrolled: 1-line block ×13, first 2 shown]
	s_add_i32 s25, s26, 64
	v_mov_b32_e32 v4, 0
	s_lshl_b64 s[10:11], s[20:21], 10
	v_addc_co_u32_e32 v199, vcc, 0, v5, vcc
	v_add_u32_e32 v229, v210, v11
	s_cmp_eq_u32 s23, s6
	s_cselect_b32 s20, s36, 0
	s_and_saveexec_b64 s[4:5], s[0:1]
	s_cbranch_execz .LBB20_132
.LBB20_128:
	s_cmp_lg_u32 s20, 0
	s_cselect_b64 s[8:9], -1, 0
	v_cmp_le_i32_e32 vcc, s20, v201
	s_and_b64 s[8:9], s[8:9], vcc
	s_and_saveexec_b64 s[12:13], s[8:9]
	s_xor_b64 s[8:9], exec, s[12:13]
	s_cbranch_execz .LBB20_130
; %bb.129:
	v_mov_b32_e32 v5, v4
	v_mov_b32_e32 v6, v4
	;; [unrolled: 1-line block ×3, first 2 shown]
	ds_write_b128 v206, v[4:7]
.LBB20_130:
	s_andn2_saveexec_b64 s[8:9], s[8:9]
	s_cbranch_execz .LBB20_132
; %bb.131:
	s_ashr_i32 s8, s25, 31
	s_mul_i32 s9, s25, s29
	s_mul_hi_u32 s12, s25, s28
	s_add_i32 s9, s12, s9
	s_mul_i32 s8, s8, s28
	s_add_i32 s9, s9, s8
	s_mul_i32 s8, s25, s28
	s_lshl_b64 s[8:9], s[8:9], 4
	v_mov_b32_e32 v5, s9
	v_add_co_u32_e32 v6, vcc, s8, v204
	v_addc_co_u32_e32 v7, vcc, v205, v5, vcc
	global_load_dwordx4 v[6:9], v[6:7], off
	s_waitcnt vmcnt(0)
	ds_write2_b64 v206, v[6:7], v[8:9] offset1:1
.LBB20_132:                             ; =>This Inner Loop Header: Depth=1
	s_or_b64 exec, exec, s[4:5]
	s_cmp_eq_u32 s20, 0
	v_add_co_u32_e32 v18, vcc, v170, v168
	s_cselect_b64 s[12:13], -1, 0
	s_cmp_lg_u32 s20, 0
	v_addc_co_u32_e32 v19, vcc, 0, v169, vcc
	s_cselect_b64 s[8:9], -1, 0
	s_and_b64 vcc, exec, s[8:9]
	s_waitcnt lgkmcnt(0)
	s_barrier
	s_cbranch_vccz .LBB20_140
; %bb.133:                              ;   in Loop: Header=BB20_132 Depth=1
	v_pk_mov_b32 v[10:11], 0, 0
	v_cmp_gt_i32_e32 vcc, s20, v203
	v_pk_mov_b32 v[6:7], v[10:11], v[10:11] op_sel:[0,1]
	v_pk_mov_b32 v[8:9], v[10:11], v[10:11] op_sel:[0,1]
	s_and_saveexec_b64 s[4:5], vcc
	s_cbranch_execz .LBB20_135
; %bb.134:                              ;   in Loop: Header=BB20_132 Depth=1
	global_load_dwordx4 v[6:9], v[18:19], off offset:-8
.LBB20_135:                             ;   in Loop: Header=BB20_132 Depth=1
	s_or_b64 exec, exec, s[4:5]
	v_cmp_gt_i32_e32 vcc, s20, v211
	v_pk_mov_b32 v[12:13], v[10:11], v[10:11] op_sel:[0,1]
	s_and_saveexec_b64 s[4:5], vcc
	s_cbranch_execz .LBB20_137
; %bb.136:                              ;   in Loop: Header=BB20_132 Depth=1
	v_add_co_u32_e32 v10, vcc, v178, v168
	v_addc_co_u32_e32 v11, vcc, 0, v177, vcc
	global_load_dwordx4 v[10:13], v[10:11], off offset:-8
.LBB20_137:                             ;   in Loop: Header=BB20_132 Depth=1
	s_or_b64 exec, exec, s[4:5]
	v_pk_mov_b32 v[14:15], 0, 0
	v_cmp_gt_i32_e32 vcc, s20, v212
	s_mov_b64 s[16:17], 0
	v_pk_mov_b32 v[16:17], v[14:15], v[14:15] op_sel:[0,1]
	s_and_saveexec_b64 s[4:5], vcc
	s_cbranch_execz .LBB20_139
; %bb.138:                              ;   in Loop: Header=BB20_132 Depth=1
	v_add_co_u32_e32 v14, vcc, v174, v168
	v_addc_co_u32_e32 v15, vcc, 0, v173, vcc
	global_load_dwordx4 v[14:17], v[14:15], off
.LBB20_139:                             ;   in Loop: Header=BB20_132 Depth=1
	s_or_b64 exec, exec, s[4:5]
	v_cmp_gt_i32_e64 s[4:5], s20, v213
	s_mov_b64 s[14:15], 0
	s_and_b64 vcc, exec, s[16:17]
	s_cbranch_vccnz .LBB20_141
	s_branch .LBB20_142
.LBB20_140:                             ;   in Loop: Header=BB20_132 Depth=1
	s_mov_b64 s[4:5], 0
                                        ; implicit-def: $sgpr14_sgpr15
                                        ; implicit-def: $vgpr16_vgpr17
                                        ; implicit-def: $vgpr12_vgpr13
                                        ; implicit-def: $vgpr8_vgpr9
	s_cbranch_execz .LBB20_142
.LBB20_141:                             ;   in Loop: Header=BB20_132 Depth=1
	s_waitcnt vmcnt(0)
	v_add_co_u32_e32 v10, vcc, v178, v168
	v_addc_co_u32_e32 v11, vcc, 0, v177, vcc
	v_add_co_u32_e32 v14, vcc, v174, v168
	v_addc_co_u32_e32 v15, vcc, 0, v173, vcc
	global_load_dwordx4 v[6:9], v[18:19], off offset:-8
	s_or_b64 s[4:5], s[4:5], exec
	global_load_dwordx4 v[10:13], v[10:11], off offset:-8
                                        ; implicit-def: $sgpr14_sgpr15
	s_nop 0
	global_load_dwordx4 v[14:17], v[14:15], off
.LBB20_142:                             ;   in Loop: Header=BB20_132 Depth=1
	v_pk_mov_b32 v[18:19], s[14:15], s[14:15] op_sel:[0,1]
	v_pk_mov_b32 v[20:21], s[14:15], s[14:15] op_sel:[0,1]
	s_and_saveexec_b64 s[14:15], s[4:5]
	s_cbranch_execz .LBB20_144
; %bb.143:                              ;   in Loop: Header=BB20_132 Depth=1
	v_add_co_u32_e32 v18, vcc, v182, v168
	v_addc_co_u32_e32 v19, vcc, 0, v181, vcc
	global_load_dwordx4 v[18:21], v[18:19], off offset:-8
.LBB20_144:                             ;   in Loop: Header=BB20_132 Depth=1
	s_or_b64 exec, exec, s[14:15]
	ds_read_b128 v[34:37], v207
	ds_read_b128 v[22:25], v214
	v_cndmask_b32_e64 v5, 0, 1, s[8:9]
	s_andn2_b64 vcc, exec, s[8:9]
	v_add_co_u32_e64 v50, s[8:9], v186, v168
	s_waitcnt vmcnt(0) lgkmcnt(1)
	v_mul_f64 v[26:27], v[8:9], v[36:37]
	v_mul_f64 v[28:29], v[8:9], v[34:35]
	;; [unrolled: 1-line block ×3, first 2 shown]
	v_fmac_f64_e32 v[26:27], v[6:7], v[34:35]
	v_fma_f64 v[28:29], v[6:7], v[36:37], -v[28:29]
	v_mul_f64 v[32:33], v[12:13], v[34:35]
	ds_write_b128 v215, v[26:29]
	v_fmac_f64_e32 v[30:31], v[10:11], v[34:35]
	v_fma_f64 v[32:33], v[10:11], v[36:37], -v[32:33]
	v_mul_f64 v[38:39], v[16:17], v[36:37]
	v_mul_f64 v[40:41], v[16:17], v[34:35]
	;; [unrolled: 1-line block ×3, first 2 shown]
	ds_read_b128 v[26:29], v214 offset:16
	ds_write_b128 v215, v[30:33] offset:1072
	v_fmac_f64_e32 v[38:39], v[14:15], v[34:35]
	v_fma_f64 v[40:41], v[14:15], v[36:37], -v[40:41]
	v_fmac_f64_e32 v[42:43], v[18:19], v[34:35]
	v_mul_f64 v[34:35], v[20:21], v[34:35]
	ds_read_b128 v[30:33], v214 offset:32
	ds_write_b128 v215, v[38:41] offset:2144
	v_fma_f64 v[44:45], v[18:19], v[36:37], -v[34:35]
	ds_read_b128 v[38:41], v214 offset:48
	ds_write_b128 v215, v[42:45] offset:3216
	s_waitcnt lgkmcnt(0)
	s_barrier
	ds_read_b128 v[94:97], v210
	ds_read_b128 v[90:93], v210 offset:16
	ds_read_b128 v[86:89], v210 offset:32
	;; [unrolled: 1-line block ×3, first 2 shown]
	v_cmp_ne_u32_e64 s[4:5], 1, v5
	v_addc_co_u32_e64 v51, s[8:9], 0, v185, s[8:9]
	s_waitcnt lgkmcnt(0)
	s_barrier
	s_cbranch_vccnz .LBB20_152
; %bb.145:                              ;   in Loop: Header=BB20_132 Depth=1
	v_pk_mov_b32 v[42:43], 0, 0
	v_cmp_gt_i32_e32 vcc, s20, v216
	v_pk_mov_b32 v[34:35], v[42:43], v[42:43] op_sel:[0,1]
	v_pk_mov_b32 v[36:37], v[42:43], v[42:43] op_sel:[0,1]
	s_and_saveexec_b64 s[8:9], vcc
	s_cbranch_execz .LBB20_147
; %bb.146:                              ;   in Loop: Header=BB20_132 Depth=1
	global_load_dwordx4 v[34:37], v[50:51], off offset:-8
.LBB20_147:                             ;   in Loop: Header=BB20_132 Depth=1
	s_or_b64 exec, exec, s[8:9]
	v_cmp_gt_i32_e32 vcc, s20, v217
	v_pk_mov_b32 v[44:45], v[42:43], v[42:43] op_sel:[0,1]
	s_and_saveexec_b64 s[8:9], vcc
	s_cbranch_execz .LBB20_149
; %bb.148:                              ;   in Loop: Header=BB20_132 Depth=1
	v_add_co_u32_e32 v42, vcc, v190, v168
	v_addc_co_u32_e32 v43, vcc, 0, v189, vcc
	global_load_dwordx4 v[42:45], v[42:43], off offset:-8
.LBB20_149:                             ;   in Loop: Header=BB20_132 Depth=1
	s_or_b64 exec, exec, s[8:9]
	v_pk_mov_b32 v[46:47], 0, 0
	v_cmp_gt_i32_e32 vcc, s20, v218
	s_mov_b64 s[16:17], 0
	v_pk_mov_b32 v[48:49], v[46:47], v[46:47] op_sel:[0,1]
	s_and_saveexec_b64 s[8:9], vcc
	s_cbranch_execz .LBB20_151
; %bb.150:                              ;   in Loop: Header=BB20_132 Depth=1
	v_add_co_u32_e32 v46, vcc, v194, v168
	v_addc_co_u32_e32 v47, vcc, 0, v193, vcc
	global_load_dwordx4 v[46:49], v[46:47], off offset:-8
.LBB20_151:                             ;   in Loop: Header=BB20_132 Depth=1
	s_or_b64 exec, exec, s[8:9]
	v_cmp_gt_i32_e64 s[8:9], s20, v219
	s_mov_b64 s[14:15], 0
	s_and_b64 vcc, exec, s[16:17]
	s_cbranch_vccnz .LBB20_153
	s_branch .LBB20_154
.LBB20_152:                             ;   in Loop: Header=BB20_132 Depth=1
	s_mov_b64 s[8:9], 0
                                        ; implicit-def: $sgpr14_sgpr15
                                        ; implicit-def: $vgpr48_vgpr49
                                        ; implicit-def: $vgpr44_vgpr45
                                        ; implicit-def: $vgpr36_vgpr37
	s_cbranch_execz .LBB20_154
.LBB20_153:                             ;   in Loop: Header=BB20_132 Depth=1
	s_waitcnt vmcnt(0)
	v_add_co_u32_e32 v42, vcc, v190, v168
	v_addc_co_u32_e32 v43, vcc, 0, v189, vcc
	v_add_co_u32_e32 v46, vcc, v194, v168
	v_addc_co_u32_e32 v47, vcc, 0, v193, vcc
	global_load_dwordx4 v[34:37], v[50:51], off offset:-8
	s_or_b64 s[8:9], s[8:9], exec
	global_load_dwordx4 v[42:45], v[42:43], off offset:-8
                                        ; implicit-def: $sgpr14_sgpr15
	s_nop 0
	global_load_dwordx4 v[46:49], v[46:47], off offset:-8
.LBB20_154:                             ;   in Loop: Header=BB20_132 Depth=1
	v_pk_mov_b32 v[50:51], s[14:15], s[14:15] op_sel:[0,1]
	v_pk_mov_b32 v[52:53], s[14:15], s[14:15] op_sel:[0,1]
	s_and_saveexec_b64 s[14:15], s[8:9]
	s_cbranch_execz .LBB20_156
; %bb.155:                              ;   in Loop: Header=BB20_132 Depth=1
	v_add_co_u32_e32 v50, vcc, v198, v168
	v_addc_co_u32_e32 v51, vcc, 0, v197, vcc
	global_load_dwordx4 v[50:53], v[50:51], off offset:-8
.LBB20_156:                             ;   in Loop: Header=BB20_132 Depth=1
	s_or_b64 exec, exec, s[14:15]
	ds_read_b128 v[66:69], v207
	ds_read_b128 v[54:57], v214 offset:256
	v_add_co_u32_e64 v98, s[8:9], v200, v168
	s_and_b64 vcc, exec, s[4:5]
	s_waitcnt vmcnt(0) lgkmcnt(1)
	v_mul_f64 v[58:59], v[36:37], v[68:69]
	v_mul_f64 v[60:61], v[36:37], v[66:67]
	;; [unrolled: 1-line block ×3, first 2 shown]
	v_fmac_f64_e32 v[58:59], v[34:35], v[66:67]
	v_fma_f64 v[60:61], v[34:35], v[68:69], -v[60:61]
	v_mul_f64 v[64:65], v[44:45], v[66:67]
	ds_write_b128 v215, v[58:61]
	v_fmac_f64_e32 v[62:63], v[42:43], v[66:67]
	v_fma_f64 v[64:65], v[42:43], v[68:69], -v[64:65]
	v_mul_f64 v[70:71], v[48:49], v[68:69]
	v_mul_f64 v[72:73], v[48:49], v[66:67]
	;; [unrolled: 1-line block ×3, first 2 shown]
	ds_read_b128 v[58:61], v214 offset:272
	ds_write_b128 v215, v[62:65] offset:1072
	v_fmac_f64_e32 v[70:71], v[46:47], v[66:67]
	v_fma_f64 v[72:73], v[46:47], v[68:69], -v[72:73]
	v_fmac_f64_e32 v[74:75], v[50:51], v[66:67]
	v_mul_f64 v[66:67], v[52:53], v[66:67]
	ds_read_b128 v[62:65], v214 offset:288
	ds_write_b128 v215, v[70:73] offset:2144
	v_fma_f64 v[76:77], v[50:51], v[68:69], -v[66:67]
	ds_read_b128 v[70:73], v214 offset:304
	ds_write_b128 v215, v[74:77] offset:3216
	s_waitcnt lgkmcnt(0)
	s_barrier
	ds_read_b128 v[146:149], v210
	ds_read_b128 v[142:145], v210 offset:16
	ds_read_b128 v[138:141], v210 offset:32
	;; [unrolled: 1-line block ×3, first 2 shown]
	v_addc_co_u32_e64 v99, s[8:9], 0, v199, s[8:9]
	s_waitcnt lgkmcnt(0)
	s_barrier
	s_cbranch_vccnz .LBB20_164
; %bb.157:                              ;   in Loop: Header=BB20_132 Depth=1
	v_pk_mov_b32 v[74:75], 0, 0
	v_cmp_gt_i32_e32 vcc, s20, v220
	v_pk_mov_b32 v[66:67], v[74:75], v[74:75] op_sel:[0,1]
	v_pk_mov_b32 v[68:69], v[74:75], v[74:75] op_sel:[0,1]
	s_and_saveexec_b64 s[8:9], vcc
	s_cbranch_execz .LBB20_159
; %bb.158:                              ;   in Loop: Header=BB20_132 Depth=1
	global_load_dwordx4 v[66:69], v[98:99], off offset:-8
.LBB20_159:                             ;   in Loop: Header=BB20_132 Depth=1
	s_or_b64 exec, exec, s[8:9]
	v_cmp_gt_i32_e32 vcc, s20, v221
	v_pk_mov_b32 v[76:77], v[74:75], v[74:75] op_sel:[0,1]
	s_and_saveexec_b64 s[8:9], vcc
	s_cbranch_execz .LBB20_161
; %bb.160:                              ;   in Loop: Header=BB20_132 Depth=1
	v_add_co_u32_e32 v74, vcc, v196, v168
	v_addc_co_u32_e32 v75, vcc, 0, v195, vcc
	global_load_dwordx4 v[74:77], v[74:75], off
.LBB20_161:                             ;   in Loop: Header=BB20_132 Depth=1
	s_or_b64 exec, exec, s[8:9]
	v_pk_mov_b32 v[78:79], 0, 0
	v_cmp_gt_i32_e32 vcc, s20, v222
	s_mov_b64 s[16:17], 0
	v_pk_mov_b32 v[80:81], v[78:79], v[78:79] op_sel:[0,1]
	s_and_saveexec_b64 s[8:9], vcc
	s_cbranch_execz .LBB20_163
; %bb.162:                              ;   in Loop: Header=BB20_132 Depth=1
	v_add_co_u32_e32 v78, vcc, v192, v168
	v_addc_co_u32_e32 v79, vcc, 0, v191, vcc
	global_load_dwordx4 v[78:81], v[78:79], off
.LBB20_163:                             ;   in Loop: Header=BB20_132 Depth=1
	s_or_b64 exec, exec, s[8:9]
	v_cmp_gt_i32_e64 s[8:9], s20, v223
	s_mov_b64 s[14:15], 0
	s_and_b64 vcc, exec, s[16:17]
	s_cbranch_vccnz .LBB20_165
	s_branch .LBB20_166
.LBB20_164:                             ;   in Loop: Header=BB20_132 Depth=1
	s_mov_b64 s[8:9], 0
                                        ; implicit-def: $sgpr14_sgpr15
                                        ; implicit-def: $vgpr80_vgpr81
                                        ; implicit-def: $vgpr76_vgpr77
                                        ; implicit-def: $vgpr68_vgpr69
	s_cbranch_execz .LBB20_166
.LBB20_165:                             ;   in Loop: Header=BB20_132 Depth=1
	s_waitcnt vmcnt(0)
	v_add_co_u32_e32 v74, vcc, v196, v168
	v_addc_co_u32_e32 v75, vcc, 0, v195, vcc
	v_add_co_u32_e32 v78, vcc, v192, v168
	v_addc_co_u32_e32 v79, vcc, 0, v191, vcc
	global_load_dwordx4 v[66:69], v[98:99], off offset:-8
	s_or_b64 s[8:9], s[8:9], exec
	global_load_dwordx4 v[74:77], v[74:75], off
                                        ; implicit-def: $sgpr14_sgpr15
	s_nop 0
	global_load_dwordx4 v[78:81], v[78:79], off
.LBB20_166:                             ;   in Loop: Header=BB20_132 Depth=1
	v_pk_mov_b32 v[98:99], s[14:15], s[14:15] op_sel:[0,1]
	v_pk_mov_b32 v[100:101], s[14:15], s[14:15] op_sel:[0,1]
	s_and_saveexec_b64 s[14:15], s[8:9]
	s_cbranch_execz .LBB20_168
; %bb.167:                              ;   in Loop: Header=BB20_132 Depth=1
	v_add_co_u32_e32 v98, vcc, v188, v168
	v_addc_co_u32_e32 v99, vcc, 0, v187, vcc
	global_load_dwordx4 v[98:101], v[98:99], off
.LBB20_168:                             ;   in Loop: Header=BB20_132 Depth=1
	s_or_b64 exec, exec, s[14:15]
	ds_read_b128 v[114:117], v207
	ds_read_b128 v[102:105], v214 offset:512
	s_and_b64 vcc, exec, s[4:5]
	v_add_co_u32_e64 v130, s[4:5], v184, v168
	s_waitcnt vmcnt(0) lgkmcnt(1)
	v_mul_f64 v[106:107], v[68:69], v[116:117]
	v_mul_f64 v[108:109], v[68:69], v[114:115]
	;; [unrolled: 1-line block ×3, first 2 shown]
	v_fmac_f64_e32 v[106:107], v[66:67], v[114:115]
	v_fma_f64 v[108:109], v[66:67], v[116:117], -v[108:109]
	v_mul_f64 v[112:113], v[76:77], v[114:115]
	ds_write_b128 v215, v[106:109]
	v_fmac_f64_e32 v[110:111], v[74:75], v[114:115]
	v_fma_f64 v[112:113], v[74:75], v[116:117], -v[112:113]
	v_mul_f64 v[118:119], v[80:81], v[116:117]
	v_mul_f64 v[120:121], v[80:81], v[114:115]
	;; [unrolled: 1-line block ×3, first 2 shown]
	ds_read_b128 v[106:109], v214 offset:528
	ds_write_b128 v215, v[110:113] offset:1072
	v_fmac_f64_e32 v[118:119], v[78:79], v[114:115]
	v_fma_f64 v[120:121], v[78:79], v[116:117], -v[120:121]
	v_fmac_f64_e32 v[122:123], v[98:99], v[114:115]
	v_mul_f64 v[114:115], v[100:101], v[114:115]
	ds_read_b128 v[110:113], v214 offset:544
	ds_write_b128 v215, v[118:121] offset:2144
	v_fma_f64 v[124:125], v[98:99], v[116:117], -v[114:115]
	ds_read_b128 v[118:121], v214 offset:560
	ds_write_b128 v215, v[122:125] offset:3216
	s_waitcnt lgkmcnt(0)
	s_barrier
	ds_read_b128 v[162:165], v210
	ds_read_b128 v[158:161], v210 offset:16
	ds_read_b128 v[154:157], v210 offset:32
	;; [unrolled: 1-line block ×3, first 2 shown]
	v_addc_co_u32_e64 v131, s[4:5], 0, v183, s[4:5]
	s_waitcnt lgkmcnt(0)
	s_barrier
	s_cbranch_vccnz .LBB20_176
; %bb.169:                              ;   in Loop: Header=BB20_132 Depth=1
	v_pk_mov_b32 v[122:123], 0, 0
	v_cmp_gt_i32_e32 vcc, s20, v224
	v_pk_mov_b32 v[114:115], v[122:123], v[122:123] op_sel:[0,1]
	v_pk_mov_b32 v[116:117], v[122:123], v[122:123] op_sel:[0,1]
	s_and_saveexec_b64 s[4:5], vcc
	s_cbranch_execz .LBB20_171
; %bb.170:                              ;   in Loop: Header=BB20_132 Depth=1
	global_load_dwordx4 v[114:117], v[130:131], off
.LBB20_171:                             ;   in Loop: Header=BB20_132 Depth=1
	s_or_b64 exec, exec, s[4:5]
	v_cmp_gt_i32_e32 vcc, s20, v225
	v_pk_mov_b32 v[124:125], v[122:123], v[122:123] op_sel:[0,1]
	s_and_saveexec_b64 s[4:5], vcc
	s_cbranch_execz .LBB20_173
; %bb.172:                              ;   in Loop: Header=BB20_132 Depth=1
	v_add_co_u32_e32 v122, vcc, v180, v168
	v_addc_co_u32_e32 v123, vcc, 0, v179, vcc
	global_load_dwordx4 v[122:125], v[122:123], off
.LBB20_173:                             ;   in Loop: Header=BB20_132 Depth=1
	s_or_b64 exec, exec, s[4:5]
	v_pk_mov_b32 v[126:127], 0, 0
	v_cmp_gt_i32_e32 vcc, s20, v226
	s_mov_b64 s[14:15], 0
	v_pk_mov_b32 v[128:129], v[126:127], v[126:127] op_sel:[0,1]
	s_and_saveexec_b64 s[4:5], vcc
	s_cbranch_execz .LBB20_175
; %bb.174:                              ;   in Loop: Header=BB20_132 Depth=1
	v_add_co_u32_e32 v126, vcc, v176, v168
	v_addc_co_u32_e32 v127, vcc, 0, v175, vcc
	global_load_dwordx4 v[126:129], v[126:127], off
.LBB20_175:                             ;   in Loop: Header=BB20_132 Depth=1
	s_or_b64 exec, exec, s[4:5]
	v_cmp_gt_i32_e64 s[4:5], s20, v227
	s_mov_b64 s[8:9], 0
	s_and_b64 vcc, exec, s[14:15]
	s_cbranch_vccnz .LBB20_177
	s_branch .LBB20_178
.LBB20_176:                             ;   in Loop: Header=BB20_132 Depth=1
	s_mov_b64 s[4:5], 0
                                        ; implicit-def: $sgpr8_sgpr9
                                        ; implicit-def: $vgpr128_vgpr129
                                        ; implicit-def: $vgpr124_vgpr125
                                        ; implicit-def: $vgpr116_vgpr117
	s_cbranch_execz .LBB20_178
.LBB20_177:                             ;   in Loop: Header=BB20_132 Depth=1
	s_waitcnt vmcnt(0)
	v_add_co_u32_e32 v122, vcc, v180, v168
	v_addc_co_u32_e32 v123, vcc, 0, v179, vcc
	v_add_co_u32_e32 v126, vcc, v176, v168
	v_addc_co_u32_e32 v127, vcc, 0, v175, vcc
	global_load_dwordx4 v[114:117], v[130:131], off
	s_or_b64 s[4:5], s[4:5], exec
	global_load_dwordx4 v[122:125], v[122:123], off
                                        ; implicit-def: $sgpr8_sgpr9
	s_nop 0
	global_load_dwordx4 v[126:129], v[126:127], off
.LBB20_178:                             ;   in Loop: Header=BB20_132 Depth=1
	v_pk_mov_b32 v[130:131], s[8:9], s[8:9] op_sel:[0,1]
	v_pk_mov_b32 v[132:133], s[8:9], s[8:9] op_sel:[0,1]
	s_and_saveexec_b64 s[8:9], s[4:5]
	s_cbranch_execz .LBB20_180
; %bb.179:                              ;   in Loop: Header=BB20_132 Depth=1
	v_add_co_u32_e32 v130, vcc, v172, v168
	v_addc_co_u32_e32 v131, vcc, 0, v171, vcc
	global_load_dwordx4 v[130:133], v[130:131], off
.LBB20_180:                             ;   in Loop: Header=BB20_132 Depth=1
	s_or_b64 exec, exec, s[8:9]
	v_add_f64 v[146:147], v[146:147], 0
	v_add_f64 v[148:149], v[148:149], 0
	;; [unrolled: 1-line block ×6, first 2 shown]
	ds_read_b128 v[142:145], v207
	v_add_f64 v[162:163], v[162:163], 0
	v_add_f64 v[94:95], v[94:95], 0
	;; [unrolled: 1-line block ×11, first 2 shown]
	ds_read_b128 v[86:89], v214 offset:768
	s_waitcnt vmcnt(0) lgkmcnt(1)
	v_mul_f64 v[90:91], v[116:117], v[144:145]
	v_mul_f64 v[92:93], v[116:117], v[142:143]
	v_fmac_f64_e32 v[90:91], v[114:115], v[142:143]
	v_fma_f64 v[92:93], v[114:115], v[144:145], -v[92:93]
	v_mul_f64 v[94:95], v[124:125], v[144:145]
	v_mul_f64 v[96:97], v[124:125], v[142:143]
	v_add_f64 v[138:139], v[138:139], v[134:135]
	v_add_f64 v[140:141], v[140:141], v[136:137]
	ds_write_b128 v215, v[90:93]
	v_fmac_f64_e32 v[94:95], v[122:123], v[142:143]
	v_fma_f64 v[96:97], v[122:123], v[144:145], -v[96:97]
	v_mul_f64 v[134:135], v[128:129], v[144:145]
	v_mul_f64 v[136:137], v[128:129], v[142:143]
	;; [unrolled: 1-line block ×3, first 2 shown]
	ds_read_b128 v[90:93], v214 offset:784
	ds_write_b128 v215, v[94:97] offset:1072
	v_fmac_f64_e32 v[134:135], v[126:127], v[142:143]
	v_fma_f64 v[136:137], v[126:127], v[144:145], -v[136:137]
	v_fmac_f64_e32 v[146:147], v[130:131], v[142:143]
	v_mul_f64 v[142:143], v[132:133], v[142:143]
	ds_read_b128 v[94:97], v214 offset:800
	ds_write_b128 v215, v[134:137] offset:2144
	v_fma_f64 v[148:149], v[130:131], v[144:145], -v[142:143]
	v_add_f64 v[164:165], v[164:165], 0
	ds_read_b128 v[134:137], v214 offset:816
	ds_write_b128 v215, v[146:149] offset:3216
	s_waitcnt lgkmcnt(0)
	s_barrier
	ds_read_b128 v[142:145], v210
	v_add_f64 v[160:161], v[164:165], v[160:161]
	v_add_f64 v[156:157], v[160:161], v[156:157]
	;; [unrolled: 1-line block ×4, first 2 shown]
	ds_read_b128 v[146:149], v210 offset:16
	ds_read_b128 v[154:157], v210 offset:32
	;; [unrolled: 1-line block ×3, first 2 shown]
	s_waitcnt lgkmcnt(3)
	v_add_f64 v[142:143], v[142:143], 0
	v_add_f64 v[144:145], v[144:145], 0
	v_cmp_gt_i32_e32 vcc, s20, v201
	s_waitcnt lgkmcnt(2)
	v_add_f64 v[142:143], v[142:143], v[146:147]
	v_add_f64 v[144:145], v[144:145], v[148:149]
	s_or_b64 s[4:5], s[12:13], vcc
	s_waitcnt lgkmcnt(1)
	v_add_f64 v[142:143], v[142:143], v[154:155]
	v_add_f64 v[144:145], v[144:145], v[156:157]
	s_and_b64 s[8:9], s[2:3], s[4:5]
	s_waitcnt lgkmcnt(0)
	v_add_f64 v[142:143], v[142:143], v[158:159]
	v_add_f64 v[144:145], v[144:145], v[160:161]
	s_barrier
	ds_write_b128 v229, v[82:85]
	ds_write_b128 v229, v[138:141] offset:256
	ds_write_b128 v229, v[150:153] offset:512
	;; [unrolled: 1-line block ×3, first 2 shown]
	s_waitcnt lgkmcnt(0)
	s_barrier
	s_and_saveexec_b64 s[4:5], s[8:9]
	s_cbranch_execz .LBB20_182
; %bb.181:                              ;   in Loop: Header=BB20_132 Depth=1
	ds_read_b128 v[82:85], v208
	ds_read_b128 v[138:141], v208 offset:16
	ds_read_b128 v[142:145], v208 offset:32
	;; [unrolled: 1-line block ×3, first 2 shown]
	v_mov_b32_e32 v5, s22
	s_waitcnt lgkmcnt(2)
	v_add_f64 v[82:83], v[138:139], v[82:83]
	v_add_f64 v[138:139], v[140:141], v[84:85]
	s_waitcnt lgkmcnt(1)
	v_add_f64 v[140:141], v[82:83], v[142:143]
	ds_read_b128 v[82:85], v208 offset:64
	v_add_f64 v[142:143], v[138:139], v[144:145]
	s_waitcnt lgkmcnt(1)
	v_add_f64 v[144:145], v[140:141], v[146:147]
	ds_read_b128 v[138:141], v208 offset:80
	;; [unrolled: 4-line block ×9, first 2 shown]
	v_add_f64 v[84:85], v[146:147], v[84:85]
	s_waitcnt lgkmcnt(1)
	v_add_f64 v[138:139], v[82:83], v[138:139]
	v_add_f64 v[146:147], v[84:85], v[140:141]
	ds_read_b128 v[82:85], v208 offset:208
	s_waitcnt lgkmcnt(1)
	v_add_f64 v[148:149], v[138:139], v[142:143]
	ds_read_b128 v[138:141], v208 offset:224
	v_add_f64 v[146:147], v[146:147], v[144:145]
	ds_read_b128 v[142:145], v209
	s_waitcnt lgkmcnt(2)
	v_add_f64 v[82:83], v[148:149], v[82:83]
	v_add_f64 v[84:85], v[146:147], v[84:85]
	s_waitcnt lgkmcnt(1)
	v_add_f64 v[82:83], v[82:83], v[138:139]
	v_add_u32_e32 v138, s25, v228
	v_ashrrev_i32_e32 v139, 31, v138
	v_lshlrev_b64 v[138:139], 4, v[138:139]
	v_add_f64 v[84:85], v[84:85], v[140:141]
	v_add_co_u32_e32 v138, vcc, s7, v138
	s_waitcnt lgkmcnt(0)
	v_add_f64 v[82:83], v[82:83], v[142:143]
	v_add_f64 v[84:85], v[84:85], v[144:145]
	v_addc_co_u32_e32 v139, vcc, v5, v139, vcc
	global_store_dwordx4 v[138:139], v[82:85], off
.LBB20_182:                             ;   in Loop: Header=BB20_132 Depth=1
	s_or_b64 exec, exec, s[4:5]
	v_mov_b32_e32 v5, s11
	v_add_co_u32_e32 v170, vcc, s10, v170
	v_mul_f64 v[82:83], v[8:9], v[24:25]
	v_addc_co_u32_e32 v169, vcc, v169, v5, vcc
	v_fma_f64 v[82:83], v[6:7], v[22:23], -v[82:83]
	v_mul_f64 v[6:7], v[6:7], v[24:25]
	v_mul_f64 v[24:25], v[12:13], v[28:29]
	v_add_co_u32_e32 v172, vcc, s10, v172
	v_add_f64 v[0:1], v[0:1], v[82:83]
	v_fma_f64 v[24:25], v[10:11], v[26:27], -v[24:25]
	v_addc_co_u32_e32 v171, vcc, v171, v5, vcc
	v_add_f64 v[0:1], v[0:1], v[24:25]
	v_mul_f64 v[24:25], v[16:17], v[32:33]
	v_add_co_u32_e32 v174, vcc, s10, v174
	v_fma_f64 v[24:25], v[14:15], v[30:31], -v[24:25]
	v_addc_co_u32_e32 v173, vcc, v173, v5, vcc
	v_add_f64 v[0:1], v[0:1], v[24:25]
	v_mul_f64 v[24:25], v[20:21], v[40:41]
	v_fmac_f64_e32 v[6:7], v[8:9], v[22:23]
	v_add_co_u32_e32 v176, vcc, s10, v176
	v_fma_f64 v[24:25], v[18:19], v[38:39], -v[24:25]
	v_add_f64 v[2:3], v[2:3], v[6:7]
	v_mul_f64 v[6:7], v[36:37], v[56:57]
	v_addc_co_u32_e32 v175, vcc, v175, v5, vcc
	v_add_f64 v[0:1], v[0:1], v[24:25]
	v_fma_f64 v[6:7], v[34:35], v[54:55], -v[6:7]
	v_add_co_u32_e32 v178, vcc, s10, v178
	v_add_f64 v[0:1], v[0:1], v[6:7]
	v_mul_f64 v[6:7], v[44:45], v[60:61]
	v_addc_co_u32_e32 v177, vcc, v177, v5, vcc
	v_fma_f64 v[6:7], v[42:43], v[58:59], -v[6:7]
	v_add_co_u32_e32 v180, vcc, s10, v180
	v_add_f64 v[0:1], v[0:1], v[6:7]
	v_mul_f64 v[6:7], v[48:49], v[64:65]
	v_addc_co_u32_e32 v179, vcc, v179, v5, vcc
	;; [unrolled: 5-line block ×3, first 2 shown]
	v_fma_f64 v[6:7], v[50:51], v[70:71], -v[6:7]
	v_add_co_u32_e32 v184, vcc, s10, v184
	v_mul_f64 v[10:11], v[10:11], v[28:29]
	v_add_f64 v[0:1], v[0:1], v[6:7]
	v_mul_f64 v[6:7], v[68:69], v[104:105]
	v_addc_co_u32_e32 v183, vcc, v183, v5, vcc
	v_mul_f64 v[14:15], v[14:15], v[32:33]
	v_fmac_f64_e32 v[10:11], v[12:13], v[26:27]
	v_fma_f64 v[6:7], v[66:67], v[102:103], -v[6:7]
	v_add_co_u32_e32 v186, vcc, s10, v186
	v_mul_f64 v[18:19], v[18:19], v[40:41]
	v_add_f64 v[2:3], v[2:3], v[10:11]
	v_fmac_f64_e32 v[14:15], v[16:17], v[30:31]
	v_add_f64 v[0:1], v[0:1], v[6:7]
	v_mul_f64 v[6:7], v[76:77], v[108:109]
	v_addc_co_u32_e32 v185, vcc, v185, v5, vcc
	v_add_f64 v[2:3], v[2:3], v[14:15]
	v_fmac_f64_e32 v[18:19], v[20:21], v[38:39]
	v_mul_f64 v[8:9], v[34:35], v[56:57]
	v_fma_f64 v[6:7], v[74:75], v[106:107], -v[6:7]
	v_add_co_u32_e32 v188, vcc, s10, v188
	v_add_f64 v[2:3], v[2:3], v[18:19]
	v_mul_f64 v[10:11], v[42:43], v[60:61]
	v_fmac_f64_e32 v[8:9], v[36:37], v[54:55]
	v_add_f64 v[0:1], v[0:1], v[6:7]
	v_mul_f64 v[6:7], v[80:81], v[112:113]
	v_addc_co_u32_e32 v187, vcc, v187, v5, vcc
	v_mul_f64 v[12:13], v[46:47], v[64:65]
	v_add_f64 v[2:3], v[2:3], v[8:9]
	v_fmac_f64_e32 v[10:11], v[44:45], v[58:59]
	v_fma_f64 v[6:7], v[78:79], v[110:111], -v[6:7]
	v_add_co_u32_e32 v190, vcc, s10, v190
	v_mul_f64 v[14:15], v[50:51], v[72:73]
	v_add_f64 v[2:3], v[2:3], v[10:11]
	v_fmac_f64_e32 v[12:13], v[48:49], v[62:63]
	v_add_f64 v[0:1], v[0:1], v[6:7]
	v_mul_f64 v[6:7], v[100:101], v[120:121]
	v_addc_co_u32_e32 v189, vcc, v189, v5, vcc
	v_add_f64 v[2:3], v[2:3], v[12:13]
	v_fmac_f64_e32 v[14:15], v[52:53], v[70:71]
	v_mul_f64 v[8:9], v[66:67], v[104:105]
	v_fma_f64 v[6:7], v[98:99], v[118:119], -v[6:7]
	v_add_co_u32_e32 v192, vcc, s10, v192
	v_add_f64 v[2:3], v[2:3], v[14:15]
	v_mul_f64 v[10:11], v[74:75], v[108:109]
	v_add_f64 v[0:1], v[0:1], v[6:7]
	v_fmac_f64_e32 v[8:9], v[68:69], v[102:103]
	v_mul_f64 v[6:7], v[116:117], v[88:89]
	v_addc_co_u32_e32 v191, vcc, v191, v5, vcc
	v_mul_f64 v[12:13], v[78:79], v[112:113]
	v_add_f64 v[2:3], v[2:3], v[8:9]
	v_fmac_f64_e32 v[10:11], v[76:77], v[106:107]
	v_fma_f64 v[6:7], v[114:115], v[86:87], -v[6:7]
	v_add_co_u32_e32 v194, vcc, s10, v194
	v_mul_f64 v[14:15], v[98:99], v[120:121]
	v_add_f64 v[2:3], v[2:3], v[10:11]
	v_fmac_f64_e32 v[12:13], v[80:81], v[110:111]
	v_add_f64 v[0:1], v[0:1], v[6:7]
	v_mul_f64 v[6:7], v[124:125], v[92:93]
	v_addc_co_u32_e32 v193, vcc, v193, v5, vcc
	v_add_f64 v[2:3], v[2:3], v[12:13]
	v_fmac_f64_e32 v[14:15], v[100:101], v[118:119]
	v_mul_f64 v[8:9], v[114:115], v[88:89]
	v_fma_f64 v[6:7], v[122:123], v[90:91], -v[6:7]
	v_add_co_u32_e32 v196, vcc, s10, v196
	v_add_f64 v[2:3], v[2:3], v[14:15]
	v_mul_f64 v[10:11], v[122:123], v[92:93]
	v_add_f64 v[0:1], v[0:1], v[6:7]
	v_mul_f64 v[6:7], v[128:129], v[96:97]
	v_fmac_f64_e32 v[8:9], v[116:117], v[86:87]
	v_addc_co_u32_e32 v195, vcc, v195, v5, vcc
	v_fma_f64 v[6:7], v[126:127], v[94:95], -v[6:7]
	v_mul_f64 v[12:13], v[126:127], v[96:97]
	v_fmac_f64_e32 v[10:11], v[124:125], v[90:91]
	v_add_f64 v[2:3], v[2:3], v[8:9]
	v_add_co_u32_e32 v198, vcc, s10, v198
	v_add_f64 v[0:1], v[0:1], v[6:7]
	v_mul_f64 v[6:7], v[132:133], v[136:137]
	v_mul_f64 v[14:15], v[130:131], v[136:137]
	v_fmac_f64_e32 v[12:13], v[128:129], v[94:95]
	v_add_f64 v[2:3], v[2:3], v[10:11]
	v_addc_co_u32_e32 v197, vcc, v197, v5, vcc
	v_fma_f64 v[6:7], v[130:131], v[134:135], -v[6:7]
	v_fmac_f64_e32 v[14:15], v[132:133], v[134:135]
	v_add_f64 v[2:3], v[2:3], v[12:13]
	s_add_i32 s4, s6, 1
	s_add_i32 s25, s25, 64
	;; [unrolled: 1-line block ×3, first 2 shown]
	v_add_co_u32_e32 v200, vcc, s10, v200
	v_add_f64 v[0:1], v[0:1], v[6:7]
	v_add_f64 v[2:3], v[2:3], v[14:15]
	s_cmp_ge_u32 s5, s33
	v_addc_co_u32_e32 v199, vcc, v199, v5, vcc
	s_barrier
	s_cbranch_scc1 .LBB20_184
; %bb.183:                              ;   in Loop: Header=BB20_132 Depth=1
	s_mov_b32 s6, s4
	s_cmp_eq_u32 s23, s6
	s_cselect_b32 s20, s36, 0
	s_and_saveexec_b64 s[4:5], s[0:1]
	s_cbranch_execnz .LBB20_128
	s_branch .LBB20_132
.LBB20_184:
	s_movk_i32 s2, 0x430
	v_cmp_gt_i32_e32 vcc, s24, v201
	v_mad_u32_u24 v4, v202, s2, v168
	s_or_b64 s[2:3], s[18:19], vcc
	s_and_b64 s[0:1], s[0:1], s[2:3]
	ds_write_b128 v4, v[0:3]
	s_waitcnt lgkmcnt(0)
	s_barrier
	s_and_saveexec_b64 s[2:3], s[0:1]
	s_cbranch_execz .LBB20_186
; %bb.185:
	ds_read_b128 v[0:3], v168 offset:1072
	ds_read_b128 v[4:7], v168
	ds_read_b128 v[8:11], v168 offset:2144
	ds_read_b128 v[12:15], v168 offset:3216
	s_waitcnt lgkmcnt(2)
	v_add_f64 v[0:1], v[0:1], v[4:5]
	v_add_f64 v[2:3], v[2:3], v[6:7]
	v_lshlrev_b64 v[4:5], 4, v[166:167]
	s_waitcnt lgkmcnt(1)
	v_add_f64 v[0:1], v[0:1], v[8:9]
	v_add_f64 v[2:3], v[2:3], v[10:11]
	v_mov_b32_e32 v6, s22
	v_add_co_u32_e32 v4, vcc, s7, v4
	s_waitcnt lgkmcnt(0)
	v_add_f64 v[0:1], v[0:1], v[12:13]
	v_add_f64 v[2:3], v[2:3], v[14:15]
	v_addc_co_u32_e32 v5, vcc, v6, v5, vcc
	global_store_dwordx4 v[4:5], v[0:3], off
.LBB20_186:
	s_endpgm
	.section	.rodata,"a",@progbits
	.p2align	6, 0x0
	.amdhsa_kernel _ZL26rocblas_hemvn_kernel_upperILb1ELi64ELi4ELi33ELi32ELi16El19rocblas_complex_numIdEPKS1_PS1_EviT6_lT7_lT5_lS6_lS7_lS5_lT8_i
		.amdhsa_group_segment_fixed_size 19200
		.amdhsa_private_segment_fixed_size 0
		.amdhsa_kernarg_size 392
		.amdhsa_user_sgpr_count 6
		.amdhsa_user_sgpr_private_segment_buffer 1
		.amdhsa_user_sgpr_dispatch_ptr 0
		.amdhsa_user_sgpr_queue_ptr 0
		.amdhsa_user_sgpr_kernarg_segment_ptr 1
		.amdhsa_user_sgpr_dispatch_id 0
		.amdhsa_user_sgpr_flat_scratch_init 0
		.amdhsa_user_sgpr_kernarg_preload_length 0
		.amdhsa_user_sgpr_kernarg_preload_offset 0
		.amdhsa_user_sgpr_private_segment_size 0
		.amdhsa_uses_dynamic_stack 0
		.amdhsa_system_sgpr_private_segment_wavefront_offset 0
		.amdhsa_system_sgpr_workgroup_id_x 1
		.amdhsa_system_sgpr_workgroup_id_y 0
		.amdhsa_system_sgpr_workgroup_id_z 1
		.amdhsa_system_sgpr_workgroup_info 0
		.amdhsa_system_vgpr_workitem_id 1
		.amdhsa_next_free_vgpr 230
		.amdhsa_next_free_sgpr 42
		.amdhsa_accum_offset 232
		.amdhsa_reserve_vcc 1
		.amdhsa_reserve_flat_scratch 0
		.amdhsa_float_round_mode_32 0
		.amdhsa_float_round_mode_16_64 0
		.amdhsa_float_denorm_mode_32 3
		.amdhsa_float_denorm_mode_16_64 3
		.amdhsa_dx10_clamp 1
		.amdhsa_ieee_mode 1
		.amdhsa_fp16_overflow 0
		.amdhsa_tg_split 0
		.amdhsa_exception_fp_ieee_invalid_op 0
		.amdhsa_exception_fp_denorm_src 0
		.amdhsa_exception_fp_ieee_div_zero 0
		.amdhsa_exception_fp_ieee_overflow 0
		.amdhsa_exception_fp_ieee_underflow 0
		.amdhsa_exception_fp_ieee_inexact 0
		.amdhsa_exception_int_div_zero 0
	.end_amdhsa_kernel
	.section	.text._ZL26rocblas_hemvn_kernel_upperILb1ELi64ELi4ELi33ELi32ELi16El19rocblas_complex_numIdEPKS1_PS1_EviT6_lT7_lT5_lS6_lS7_lS5_lT8_i,"axG",@progbits,_ZL26rocblas_hemvn_kernel_upperILb1ELi64ELi4ELi33ELi32ELi16El19rocblas_complex_numIdEPKS1_PS1_EviT6_lT7_lT5_lS6_lS7_lS5_lT8_i,comdat
.Lfunc_end20:
	.size	_ZL26rocblas_hemvn_kernel_upperILb1ELi64ELi4ELi33ELi32ELi16El19rocblas_complex_numIdEPKS1_PS1_EviT6_lT7_lT5_lS6_lS7_lS5_lT8_i, .Lfunc_end20-_ZL26rocblas_hemvn_kernel_upperILb1ELi64ELi4ELi33ELi32ELi16El19rocblas_complex_numIdEPKS1_PS1_EviT6_lT7_lT5_lS6_lS7_lS5_lT8_i
                                        ; -- End function
	.section	.AMDGPU.csdata,"",@progbits
; Kernel info:
; codeLenInByte = 11208
; NumSgprs: 46
; NumVgprs: 230
; NumAgprs: 0
; TotalNumVgprs: 230
; ScratchSize: 0
; MemoryBound: 1
; FloatMode: 240
; IeeeMode: 1
; LDSByteSize: 19200 bytes/workgroup (compile time only)
; SGPRBlocks: 5
; VGPRBlocks: 28
; NumSGPRsForWavesPerEU: 46
; NumVGPRsForWavesPerEU: 230
; AccumOffset: 232
; Occupancy: 2
; WaveLimiterHint : 0
; COMPUTE_PGM_RSRC2:SCRATCH_EN: 0
; COMPUTE_PGM_RSRC2:USER_SGPR: 6
; COMPUTE_PGM_RSRC2:TRAP_HANDLER: 0
; COMPUTE_PGM_RSRC2:TGID_X_EN: 1
; COMPUTE_PGM_RSRC2:TGID_Y_EN: 0
; COMPUTE_PGM_RSRC2:TGID_Z_EN: 1
; COMPUTE_PGM_RSRC2:TIDIG_COMP_CNT: 1
; COMPUTE_PGM_RSRC3_GFX90A:ACCUM_OFFSET: 57
; COMPUTE_PGM_RSRC3_GFX90A:TG_SPLIT: 0
	.section	.text._ZL36rocblas_hemvn_kernel_upper_block_sumILi64El19rocblas_complex_numIdEPS1_S1_EviT1_lS3_lT2_lT0_lPT3_i,"axG",@progbits,_ZL36rocblas_hemvn_kernel_upper_block_sumILi64El19rocblas_complex_numIdEPS1_S1_EviT1_lS3_lT2_lT0_lPT3_i,comdat
	.globl	_ZL36rocblas_hemvn_kernel_upper_block_sumILi64El19rocblas_complex_numIdEPS1_S1_EviT1_lS3_lT2_lT0_lPT3_i ; -- Begin function _ZL36rocblas_hemvn_kernel_upper_block_sumILi64El19rocblas_complex_numIdEPS1_S1_EviT1_lS3_lT2_lT0_lPT3_i
	.p2align	8
	.type	_ZL36rocblas_hemvn_kernel_upper_block_sumILi64El19rocblas_complex_numIdEPS1_S1_EviT1_lS3_lT2_lT0_lPT3_i,@function
_ZL36rocblas_hemvn_kernel_upper_block_sumILi64El19rocblas_complex_numIdEPS1_S1_EviT1_lS3_lT2_lT0_lPT3_i: ; @_ZL36rocblas_hemvn_kernel_upper_block_sumILi64El19rocblas_complex_numIdEPS1_S1_EviT1_lS3_lT2_lT0_lPT3_i
; %bb.0:
	s_load_dwordx4 s[20:23], s[4:5], 0x8
	s_load_dwordx4 s[16:19], s[4:5], 0x20
	s_waitcnt lgkmcnt(0)
	v_cmp_neq_f64_e64 s[0:1], s[20:21], 0
	v_cmp_neq_f64_e64 s[2:3], s[22:23], 0
	s_or_b64 s[0:1], s[0:1], s[2:3]
	s_mov_b64 s[2:3], -1
	s_and_b64 vcc, exec, s[0:1]
	s_cbranch_vccnz .LBB21_2
; %bb.1:
	v_cmp_neq_f64_e64 s[2:3], s[16:17], 1.0
	v_cmp_neq_f64_e64 s[8:9], s[18:19], 0
	s_or_b64 s[2:3], s[2:3], s[8:9]
.LBB21_2:
	s_andn2_b64 vcc, exec, s[2:3]
	s_cbranch_vccnz .LBB21_22
; %bb.3:
	s_load_dwordx8 s[8:15], s[4:5], 0x40
	s_load_dwordx2 s[2:3], s[4:5], 0x38
	s_load_dword s24, s[4:5], 0x0
	s_xor_b64 s[0:1], s[0:1], -1
	v_lshl_or_b32 v4, s6, 6, v0
	s_waitcnt lgkmcnt(0)
	s_mul_i32 s13, s7, s13
	s_mul_hi_u32 s25, s7, s12
	s_mul_i32 s12, s7, s12
	s_add_i32 s13, s25, s13
	s_lshl_b64 s[12:13], s[12:13], 4
	s_add_u32 s12, s2, s12
	s_addc_u32 s13, s3, s13
	s_lshl_b64 s[2:3], s[8:9], 4
	s_add_u32 s26, s12, s2
	s_addc_u32 s27, s13, s3
	s_andn2_b64 vcc, exec, s[0:1]
	v_cmp_gt_i32_e64 s[0:1], s24, v4
	s_cbranch_vccnz .LBB21_8
; %bb.4:
	s_mov_b64 s[8:9], 0
	s_mov_b64 s[2:3], 0
                                        ; implicit-def: $vgpr2_vgpr3
                                        ; implicit-def: $vgpr6_vgpr7
	s_and_saveexec_b64 s[12:13], s[0:1]
	s_cbranch_execz .LBB21_9
; %bb.5:
	v_cmp_neq_f64_e64 s[0:1], s[16:17], 0
	v_cmp_neq_f64_e64 s[2:3], s[18:19], 0
	v_ashrrev_i32_e32 v0, 31, v4
	v_pk_mov_b32 v[2:3], 0, 0
	v_mul_lo_u32 v1, v4, s11
	v_mul_lo_u32 v0, v0, s10
	v_mad_u64_u32 v[6:7], s[28:29], v4, s10, 0
	s_or_b64 s[0:1], s[0:1], s[2:3]
	v_add3_u32 v7, v7, v1, v0
	s_andn2_b64 vcc, exec, s[0:1]
	v_pk_mov_b32 v[0:1], v[2:3], v[2:3] op_sel:[0,1]
	s_cbranch_vccnz .LBB21_7
; %bb.6:
	v_lshlrev_b64 v[0:1], 4, v[6:7]
	v_mov_b32_e32 v2, s27
	v_add_co_u32_e32 v0, vcc, s26, v0
	v_addc_co_u32_e32 v1, vcc, v2, v1, vcc
	global_load_dwordx4 v[8:11], v[0:1], off
	s_waitcnt vmcnt(0)
	v_mul_f64 v[0:1], s[18:19], v[10:11]
	v_mul_f64 v[2:3], s[16:17], v[10:11]
	v_fma_f64 v[0:1], s[16:17], v[8:9], -v[0:1]
	v_fmac_f64_e32 v[2:3], s[18:19], v[8:9]
.LBB21_7:
	s_mov_b64 s[2:3], exec
	s_or_b64 exec, exec, s[12:13]
	s_and_b64 vcc, exec, s[8:9]
	s_cbranch_vccnz .LBB21_10
	s_branch .LBB21_20
.LBB21_8:
	s_mov_b64 s[2:3], 0
                                        ; implicit-def: $vgpr2_vgpr3
                                        ; implicit-def: $vgpr6_vgpr7
	s_cbranch_execnz .LBB21_10
	s_branch .LBB21_20
.LBB21_9:
	s_or_b64 exec, exec, s[12:13]
	s_and_b64 vcc, exec, s[8:9]
	s_cbranch_vccz .LBB21_20
.LBB21_10:
	v_cmp_gt_i32_e32 vcc, s24, v4
                                        ; implicit-def: $vgpr2_vgpr3
                                        ; implicit-def: $vgpr6_vgpr7
	s_and_saveexec_b64 s[0:1], vcc
	s_cbranch_execz .LBB21_19
; %bb.11:
	v_pk_mov_b32 v[0:1], 0, 0
	v_ashrrev_i32_e32 v5, 31, v4
	s_cmp_lt_i32 s6, 0
	v_pk_mov_b32 v[6:7], v[0:1], v[0:1] op_sel:[0,1]
	s_cbranch_scc1 .LBB21_14
; %bb.12:
	s_load_dword s4, s[4:5], 0x68
	s_ashr_i32 s25, s24, 31
	s_mul_hi_u32 s5, s24, s7
	s_mul_i32 s8, s25, s7
	s_add_i32 s5, s5, s8
	s_mul_i32 s7, s24, s7
	s_waitcnt lgkmcnt(0)
	s_mul_i32 s5, s5, s4
	s_mul_hi_u32 s8, s7, s4
	s_add_i32 s5, s8, s5
	s_mul_i32 s4, s7, s4
	s_add_i32 s6, s6, 1
	s_lshl_b64 s[4:5], s[4:5], 4
	s_add_u32 s4, s14, s4
	v_lshlrev_b64 v[0:1], 4, v[4:5]
	s_addc_u32 s5, s15, s5
	v_mov_b32_e32 v2, s5
	v_add_co_u32_e32 v0, vcc, s4, v0
	v_addc_co_u32_e32 v1, vcc, v2, v1, vcc
	v_add_co_u32_e32 v2, vcc, 8, v0
	v_addc_co_u32_e32 v3, vcc, 0, v1, vcc
	s_lshl_b64 s[4:5], s[24:25], 4
	v_pk_mov_b32 v[0:1], 0, 0
	v_mov_b32_e32 v8, s5
	v_pk_mov_b32 v[6:7], v[0:1], v[0:1] op_sel:[0,1]
.LBB21_13:                              ; =>This Inner Loop Header: Depth=1
	global_load_dwordx4 v[10:13], v[2:3], off offset:-8
	s_add_i32 s6, s6, -1
	v_add_co_u32_e32 v2, vcc, s4, v2
	v_addc_co_u32_e32 v3, vcc, v3, v8, vcc
	s_cmp_eq_u32 s6, 0
	s_waitcnt vmcnt(0)
	v_add_f64 v[6:7], v[6:7], v[10:11]
	v_add_f64 v[0:1], v[0:1], v[12:13]
	s_cbranch_scc0 .LBB21_13
.LBB21_14:
	v_cmp_neq_f64_e64 s[6:7], s[16:17], 0
	v_cmp_neq_f64_e64 s[8:9], s[18:19], 0
	s_or_b64 s[6:7], s[6:7], s[8:9]
	v_mul_f64 v[8:9], s[22:23], v[0:1]
	v_mul_f64 v[2:3], s[20:21], v[0:1]
	s_mov_b64 s[4:5], 0
	s_andn2_b64 vcc, exec, s[6:7]
	v_fma_f64 v[0:1], s[20:21], v[6:7], -v[8:9]
	v_fmac_f64_e32 v[2:3], s[22:23], v[6:7]
	v_mul_lo_u32 v5, v5, s10
	v_mul_lo_u32 v8, v4, s11
	s_cbranch_vccz .LBB21_16
; %bb.15:
	v_mad_u64_u32 v[6:7], s[6:7], v4, s10, 0
	v_add3_u32 v7, v7, v8, v5
	s_andn2_b64 vcc, exec, s[4:5]
	s_cbranch_vccz .LBB21_17
	s_branch .LBB21_18
.LBB21_16:
                                        ; implicit-def: $vgpr6_vgpr7
.LBB21_17:
	v_mad_u64_u32 v[6:7], s[4:5], v4, s10, 0
	v_add3_u32 v7, v7, v8, v5
	v_lshlrev_b64 v[4:5], 4, v[6:7]
	v_mov_b32_e32 v8, s27
	v_add_co_u32_e32 v4, vcc, s26, v4
	v_addc_co_u32_e32 v5, vcc, v8, v5, vcc
	global_load_dwordx4 v[8:11], v[4:5], off
	s_waitcnt vmcnt(0)
	v_mul_f64 v[4:5], s[18:19], v[10:11]
	v_mul_f64 v[10:11], s[16:17], v[10:11]
	v_fma_f64 v[4:5], s[16:17], v[8:9], -v[4:5]
	v_fmac_f64_e32 v[10:11], s[18:19], v[8:9]
	v_add_f64 v[0:1], v[0:1], v[4:5]
	v_add_f64 v[2:3], v[2:3], v[10:11]
.LBB21_18:
	s_or_b64 s[2:3], s[2:3], exec
.LBB21_19:
	s_or_b64 exec, exec, s[0:1]
.LBB21_20:
	s_and_saveexec_b64 s[0:1], s[2:3]
	s_cbranch_execz .LBB21_22
; %bb.21:
	v_lshlrev_b64 v[4:5], 4, v[6:7]
	v_mov_b32_e32 v6, s27
	v_add_co_u32_e32 v4, vcc, s26, v4
	v_addc_co_u32_e32 v5, vcc, v6, v5, vcc
	global_store_dwordx4 v[4:5], v[0:3], off
.LBB21_22:
	s_endpgm
	.section	.rodata,"a",@progbits
	.p2align	6, 0x0
	.amdhsa_kernel _ZL36rocblas_hemvn_kernel_upper_block_sumILi64El19rocblas_complex_numIdEPS1_S1_EviT1_lS3_lT2_lT0_lPT3_i
		.amdhsa_group_segment_fixed_size 0
		.amdhsa_private_segment_fixed_size 0
		.amdhsa_kernarg_size 360
		.amdhsa_user_sgpr_count 6
		.amdhsa_user_sgpr_private_segment_buffer 1
		.amdhsa_user_sgpr_dispatch_ptr 0
		.amdhsa_user_sgpr_queue_ptr 0
		.amdhsa_user_sgpr_kernarg_segment_ptr 1
		.amdhsa_user_sgpr_dispatch_id 0
		.amdhsa_user_sgpr_flat_scratch_init 0
		.amdhsa_user_sgpr_kernarg_preload_length 0
		.amdhsa_user_sgpr_kernarg_preload_offset 0
		.amdhsa_user_sgpr_private_segment_size 0
		.amdhsa_uses_dynamic_stack 0
		.amdhsa_system_sgpr_private_segment_wavefront_offset 0
		.amdhsa_system_sgpr_workgroup_id_x 1
		.amdhsa_system_sgpr_workgroup_id_y 0
		.amdhsa_system_sgpr_workgroup_id_z 1
		.amdhsa_system_sgpr_workgroup_info 0
		.amdhsa_system_vgpr_workitem_id 0
		.amdhsa_next_free_vgpr 14
		.amdhsa_next_free_sgpr 30
		.amdhsa_accum_offset 16
		.amdhsa_reserve_vcc 1
		.amdhsa_reserve_flat_scratch 0
		.amdhsa_float_round_mode_32 0
		.amdhsa_float_round_mode_16_64 0
		.amdhsa_float_denorm_mode_32 3
		.amdhsa_float_denorm_mode_16_64 3
		.amdhsa_dx10_clamp 1
		.amdhsa_ieee_mode 1
		.amdhsa_fp16_overflow 0
		.amdhsa_tg_split 0
		.amdhsa_exception_fp_ieee_invalid_op 0
		.amdhsa_exception_fp_denorm_src 0
		.amdhsa_exception_fp_ieee_div_zero 0
		.amdhsa_exception_fp_ieee_overflow 0
		.amdhsa_exception_fp_ieee_underflow 0
		.amdhsa_exception_fp_ieee_inexact 0
		.amdhsa_exception_int_div_zero 0
	.end_amdhsa_kernel
	.section	.text._ZL36rocblas_hemvn_kernel_upper_block_sumILi64El19rocblas_complex_numIdEPS1_S1_EviT1_lS3_lT2_lT0_lPT3_i,"axG",@progbits,_ZL36rocblas_hemvn_kernel_upper_block_sumILi64El19rocblas_complex_numIdEPS1_S1_EviT1_lS3_lT2_lT0_lPT3_i,comdat
.Lfunc_end21:
	.size	_ZL36rocblas_hemvn_kernel_upper_block_sumILi64El19rocblas_complex_numIdEPS1_S1_EviT1_lS3_lT2_lT0_lPT3_i, .Lfunc_end21-_ZL36rocblas_hemvn_kernel_upper_block_sumILi64El19rocblas_complex_numIdEPS1_S1_EviT1_lS3_lT2_lT0_lPT3_i
                                        ; -- End function
	.section	.AMDGPU.csdata,"",@progbits
; Kernel info:
; codeLenInByte = 824
; NumSgprs: 34
; NumVgprs: 14
; NumAgprs: 0
; TotalNumVgprs: 14
; ScratchSize: 0
; MemoryBound: 0
; FloatMode: 240
; IeeeMode: 1
; LDSByteSize: 0 bytes/workgroup (compile time only)
; SGPRBlocks: 4
; VGPRBlocks: 1
; NumSGPRsForWavesPerEU: 34
; NumVGPRsForWavesPerEU: 14
; AccumOffset: 16
; Occupancy: 8
; WaveLimiterHint : 0
; COMPUTE_PGM_RSRC2:SCRATCH_EN: 0
; COMPUTE_PGM_RSRC2:USER_SGPR: 6
; COMPUTE_PGM_RSRC2:TRAP_HANDLER: 0
; COMPUTE_PGM_RSRC2:TGID_X_EN: 1
; COMPUTE_PGM_RSRC2:TGID_Y_EN: 0
; COMPUTE_PGM_RSRC2:TGID_Z_EN: 1
; COMPUTE_PGM_RSRC2:TIDIG_COMP_CNT: 0
; COMPUTE_PGM_RSRC3_GFX90A:ACCUM_OFFSET: 3
; COMPUTE_PGM_RSRC3_GFX90A:TG_SPLIT: 0
	.section	.text._ZL26rocblas_hemvn_kernel_upperILb1ELi64ELi4ELi33ELi32ELi16Ei19rocblas_complex_numIdEPKS1_PS1_EviT6_lT7_lT5_lS6_lS7_lS5_lT8_i,"axG",@progbits,_ZL26rocblas_hemvn_kernel_upperILb1ELi64ELi4ELi33ELi32ELi16Ei19rocblas_complex_numIdEPKS1_PS1_EviT6_lT7_lT5_lS6_lS7_lS5_lT8_i,comdat
	.globl	_ZL26rocblas_hemvn_kernel_upperILb1ELi64ELi4ELi33ELi32ELi16Ei19rocblas_complex_numIdEPKS1_PS1_EviT6_lT7_lT5_lS6_lS7_lS5_lT8_i ; -- Begin function _ZL26rocblas_hemvn_kernel_upperILb1ELi64ELi4ELi33ELi32ELi16Ei19rocblas_complex_numIdEPKS1_PS1_EviT6_lT7_lT5_lS6_lS7_lS5_lT8_i
	.p2align	8
	.type	_ZL26rocblas_hemvn_kernel_upperILb1ELi64ELi4ELi33ELi32ELi16Ei19rocblas_complex_numIdEPKS1_PS1_EviT6_lT7_lT5_lS6_lS7_lS5_lT8_i,@function
_ZL26rocblas_hemvn_kernel_upperILb1ELi64ELi4ELi33ELi32ELi16Ei19rocblas_complex_numIdEPKS1_PS1_EviT6_lT7_lT5_lS6_lS7_lS5_lT8_i: ; @_ZL26rocblas_hemvn_kernel_upperILb1ELi64ELi4ELi33ELi32ELi16Ei19rocblas_complex_numIdEPKS1_PS1_EviT6_lT7_lT5_lS6_lS7_lS5_lT8_i
; %bb.0:
	s_load_dwordx2 s[0:1], s[4:5], 0x94
	s_add_u32 s12, s4, 0x88
	s_addc_u32 s13, s5, 0
	s_waitcnt lgkmcnt(0)
	s_lshr_b32 s2, s0, 16
	s_and_b32 s0, s0, 0xffff
	s_and_b32 s1, s1, 0xffff
	s_mul_i32 s0, s2, s0
	s_mul_i32 s0, s0, s1
	s_cmpk_lg_i32 s0, 0x100
	s_cbranch_scc1 .LBB22_186
; %bb.1:
	s_load_dwordx4 s[16:19], s[4:5], 0x8
	s_load_dwordx4 s[0:3], s[4:5], 0x58
	s_load_dwordx2 s[10:11], s[4:5], 0x68
	s_waitcnt lgkmcnt(0)
	v_cmp_neq_f64_e64 s[8:9], s[16:17], 0
	v_cmp_neq_f64_e64 s[14:15], s[18:19], 0
	s_or_b64 s[8:9], s[8:9], s[14:15]
	s_mov_b64 s[14:15], -1
	s_and_b64 vcc, exec, s[8:9]
	s_cbranch_vccnz .LBB22_3
; %bb.2:
	v_cmp_neq_f64_e64 s[2:3], s[2:3], 1.0
	v_cmp_neq_f64_e64 s[10:11], s[10:11], 0
	s_or_b64 s[14:15], s[2:3], s[10:11]
.LBB22_3:
	s_andn2_b64 vcc, exec, s[14:15]
	s_cbranch_vccnz .LBB22_186
; %bb.4:
	s_andn2_b64 vcc, exec, s[8:9]
	s_cbranch_vccnz .LBB22_186
; %bb.5:
	s_load_dword s33, s[12:13], 0x0
	s_load_dword s40, s[4:5], 0x0
	s_load_dwordx4 s[8:11], s[4:5], 0x38
	s_load_dwordx2 s[2:3], s[4:5], 0x48
	s_load_dword s39, s[4:5], 0x50
	s_mul_i32 s1, s7, s1
	s_mul_hi_u32 s12, s7, s0
	s_add_i32 s1, s12, s1
	s_mul_i32 s0, s7, s0
	s_lshl_b64 s[0:1], s[0:1], 4
	s_waitcnt lgkmcnt(0)
	s_add_u32 s10, s10, s0
	s_addc_u32 s11, s11, s1
	s_lshl_b64 s[0:1], s[2:3], 4
	s_add_u32 s0, s10, s0
	s_addc_u32 s1, s11, s1
	v_and_b32_e32 v168, 0x3ff, v0
	s_lshl_b32 s22, s6, 6
	s_ashr_i32 s41, s40, 31
	s_lshr_b32 s3, s41, 26
	v_add_u32_e32 v166, s22, v168
	v_bfe_u32 v209, v0, 10, 10
	s_add_i32 s3, s40, s3
	v_mul_lo_u32 v0, v166, s39
	s_andn2_b32 s3, s3, 63
	v_ashrrev_i32_e32 v1, 31, v0
	s_add_i32 s2, s33, -1
	s_sub_i32 s38, s40, s3
	v_lshlrev_b64 v[0:1], 4, v[0:1]
	s_cmp_eq_u32 s6, s2
	v_mov_b32_e32 v2, s1
	v_add_co_u32_e32 v36, vcc, s0, v0
	s_cselect_b32 s18, s38, 0
	v_addc_co_u32_e32 v37, vcc, v2, v1, vcc
	v_cmp_eq_u32_e64 s[0:1], 0, v209
	s_and_saveexec_b64 s[2:3], s[0:1]
	s_cbranch_execz .LBB22_10
; %bb.6:
	s_cmp_lg_u32 s18, 0
	s_cselect_b64 s[10:11], -1, 0
	v_cmp_le_i32_e32 vcc, s18, v168
	v_mov_b32_e32 v0, 0x4700
	s_and_b64 s[10:11], s[10:11], vcc
	v_lshl_add_u32 v0, v168, 4, v0
	s_and_saveexec_b64 s[12:13], s[10:11]
	s_xor_b64 s[10:11], exec, s[12:13]
	s_cbranch_execz .LBB22_8
; %bb.7:
	v_mov_b32_e32 v2, 0
	v_mov_b32_e32 v3, v2
	v_mov_b32_e32 v4, v2
	v_mov_b32_e32 v5, v2
	ds_write_b128 v0, v[2:5]
                                        ; implicit-def: $vgpr0
.LBB22_8:
	s_andn2_saveexec_b64 s[10:11], s[10:11]
	s_cbranch_execz .LBB22_10
; %bb.9:
	global_load_dwordx4 v[2:5], v[36:37], off
	s_waitcnt vmcnt(0)
	ds_write2_b64 v0, v[2:3], v[4:5] offset1:1
.LBB22_10:
	s_or_b64 exec, exec, s[2:3]
	s_load_dwordx4 s[12:15], s[4:5], 0x20
	s_load_dword s24, s[4:5], 0x30
	s_mul_i32 s2, s7, s9
	s_mul_hi_u32 s3, s7, s8
	s_add_i32 s3, s3, s2
	s_mul_i32 s2, s7, s8
	s_lshl_b64 s[2:3], s[2:3], 4
	s_waitcnt lgkmcnt(0)
	s_add_u32 s8, s12, s2
	s_addc_u32 s9, s13, s3
	s_lshl_b64 s[2:3], s[14:15], 4
	s_add_u32 s8, s8, s2
	s_addc_u32 s9, s9, s3
	s_ashr_i32 s23, s22, 31
	v_lshl_add_u32 v42, v209, 6, v168
	s_lshl_b64 s[2:3], s[22:23], 4
	v_and_b32_e32 v4, 31, v168
	v_lshrrev_b32_e32 v5, 5, v42
	s_add_u32 s8, s8, s2
	s_addc_u32 s9, s9, s3
	v_mad_u64_u32 v[0:1], s[2:3], v5, s24, v[4:5]
	s_mul_i32 s2, s22, s24
	s_ashr_i32 s3, s2, 31
	s_lshl_b64 s[2:3], s[2:3], 4
	s_add_u32 s2, s2, s8
	v_ashrrev_i32_e32 v1, 31, v0
	s_addc_u32 s3, s3, s9
	v_lshlrev_b64 v[38:39], 4, v[0:1]
	s_cmp_eq_u32 s18, 0
	v_mov_b32_e32 v1, s3
	v_add_co_u32_e32 v0, vcc, s2, v38
	s_cselect_b64 s[20:21], -1, 0
	s_cmp_lg_u32 s18, 0
	v_addc_co_u32_e32 v1, vcc, v1, v39, vcc
	s_cselect_b64 s[30:31], -1, 0
	s_and_b64 vcc, exec, s[30:31]
	v_cmp_gt_i32_e64 s[2:3], s18, v4
	v_lshlrev_b32_e32 v13, 4, v4
	v_mul_u32_u24_e32 v12, 33, v5
	s_cbranch_vccz .LBB22_28
; %bb.11:
	v_sub_co_u32_e32 v2, vcc, v0, v13
	s_ashr_i32 s19, s18, 31
	v_subbrev_co_u32_e32 v3, vcc, 0, v1, vcc
	s_lshl_b64 s[8:9], s[18:19], 4
	v_mov_b32_e32 v6, s9
	v_add_co_u32_e32 v2, vcc, s8, v2
	v_addc_co_u32_e32 v3, vcc, v3, v6, vcc
	v_add_co_u32_e32 v2, vcc, -16, v2
	v_addc_co_u32_e32 v3, vcc, -1, v3, vcc
	v_cndmask_b32_e64 v3, v3, v1, s[2:3]
	v_cndmask_b32_e64 v2, v2, v0, s[2:3]
	v_cmp_le_i32_e32 vcc, s18, v5
	v_add_lshl_u32 v6, v12, v4, 4
	s_and_saveexec_b64 s[10:11], vcc
	s_xor_b64 s[10:11], exec, s[10:11]
	s_cbranch_execz .LBB22_13
; %bb.12:
	v_mov_b32_e32 v8, 0
	v_mov_b32_e32 v9, v8
	;; [unrolled: 1-line block ×4, first 2 shown]
	ds_write_b128 v6, v[8:11]
.LBB22_13:
	s_andn2_saveexec_b64 s[10:11], s[10:11]
	s_cbranch_execz .LBB22_15
; %bb.14:
	global_load_dwordx4 v[8:11], v[2:3], off
	s_waitcnt vmcnt(0)
	ds_write2_b64 v6, v[8:9], v[10:11] offset1:1
.LBB22_15:
	s_or_b64 exec, exec, s[10:11]
	v_add_u32_e32 v7, 8, v5
	v_cmp_le_i32_e32 vcc, s18, v7
	s_and_saveexec_b64 s[10:11], vcc
	s_xor_b64 s[10:11], exec, s[10:11]
	s_cbranch_execz .LBB22_17
; %bb.16:
	v_mul_u32_u24_e32 v7, 33, v7
	v_mov_b32_e32 v8, 0
	v_add_lshl_u32 v7, v7, v4, 4
	v_mov_b32_e32 v9, v8
	v_mov_b32_e32 v10, v8
	;; [unrolled: 1-line block ×3, first 2 shown]
	ds_write_b128 v7, v[8:11]
.LBB22_17:
	s_andn2_saveexec_b64 s[10:11], s[10:11]
	s_cbranch_execz .LBB22_19
; %bb.18:
	s_lshl_b32 s12, s24, 3
	s_ashr_i32 s13, s12, 31
	s_lshl_b64 s[12:13], s[12:13], 4
	v_mov_b32_e32 v7, s13
	v_add_co_u32_e32 v8, vcc, s12, v2
	v_addc_co_u32_e32 v9, vcc, v3, v7, vcc
	global_load_dwordx4 v[8:11], v[8:9], off
	v_add_u32_e32 v7, 0x1080, v6
	s_waitcnt vmcnt(0)
	ds_write2_b64 v7, v[8:9], v[10:11] offset1:1
.LBB22_19:
	s_or_b64 exec, exec, s[10:11]
	v_add_u32_e32 v7, 16, v5
	v_cmp_le_i32_e32 vcc, s18, v7
	s_and_saveexec_b64 s[10:11], vcc
	s_xor_b64 s[10:11], exec, s[10:11]
	s_cbranch_execz .LBB22_21
; %bb.20:
	v_mul_u32_u24_e32 v7, 33, v7
	v_mov_b32_e32 v8, 0
	v_add_lshl_u32 v7, v7, v4, 4
	v_mov_b32_e32 v9, v8
	v_mov_b32_e32 v10, v8
	;; [unrolled: 1-line block ×3, first 2 shown]
	ds_write_b128 v7, v[8:11]
.LBB22_21:
	s_andn2_saveexec_b64 s[10:11], s[10:11]
	s_cbranch_execz .LBB22_23
; %bb.22:
	s_lshl_b32 s12, s24, 4
	s_ashr_i32 s13, s12, 31
	s_lshl_b64 s[12:13], s[12:13], 4
	v_mov_b32_e32 v7, s13
	v_add_co_u32_e32 v8, vcc, s12, v2
	v_addc_co_u32_e32 v9, vcc, v3, v7, vcc
	global_load_dwordx4 v[8:11], v[8:9], off
	v_add_u32_e32 v7, 0x2100, v6
	s_waitcnt vmcnt(0)
	ds_write2_b64 v7, v[8:9], v[10:11] offset1:1
.LBB22_23:
	s_or_b64 exec, exec, s[10:11]
	v_add_u32_e32 v7, 24, v5
	v_cmp_le_i32_e32 vcc, s18, v7
	s_and_saveexec_b64 s[10:11], vcc
	s_xor_b64 s[10:11], exec, s[10:11]
	s_cbranch_execz .LBB22_25
; %bb.24:
	v_mov_b32_e32 v8, 0
	v_mov_b32_e32 v9, v8
	;; [unrolled: 1-line block ×4, first 2 shown]
	ds_write_b128 v6, v[8:11] offset:12672
                                        ; implicit-def: $vgpr6
.LBB22_25:
	s_andn2_saveexec_b64 s[10:11], s[10:11]
	s_cbranch_execz .LBB22_27
; %bb.26:
	s_mul_i32 s12, s24, 24
	s_ashr_i32 s13, s12, 31
	s_lshl_b64 s[12:13], s[12:13], 4
	v_mov_b32_e32 v7, s13
	v_add_co_u32_e32 v8, vcc, s12, v2
	v_addc_co_u32_e32 v9, vcc, v3, v7, vcc
	global_load_dwordx4 v[8:11], v[8:9], off
	v_add_u32_e32 v6, 0x3180, v6
	s_waitcnt vmcnt(0)
	ds_write2_b64 v6, v[8:9], v[10:11] offset1:1
.LBB22_27:
	s_or_b64 exec, exec, s[10:11]
	v_add_co_u32_e32 v2, vcc, v2, v13
	v_addc_co_u32_e32 v3, vcc, 0, v3, vcc
	v_mov_b32_e32 v6, s9
	v_subrev_co_u32_e32 v2, vcc, s8, v2
	v_subb_co_u32_e32 v3, vcc, v3, v6, vcc
	v_add_co_u32_e32 v2, vcc, 16, v2
	v_addc_co_u32_e32 v3, vcc, 0, v3, vcc
	v_cndmask_b32_e64 v7, v3, v1, s[2:3]
	v_cndmask_b32_e64 v6, v2, v0, s[2:3]
	s_branch .LBB22_30
.LBB22_28:
                                        ; implicit-def: $vgpr6_vgpr7
	s_cbranch_execz .LBB22_30
; %bb.29:
	s_lshl_b32 s2, s24, 3
	s_ashr_i32 s3, s2, 31
	s_lshl_b64 s[2:3], s[2:3], 4
	v_mov_b32_e32 v3, s3
	v_add_co_u32_e32 v2, vcc, s2, v0
	s_ashr_i32 s25, s24, 31
	v_addc_co_u32_e32 v3, vcc, v1, v3, vcc
	s_lshl_b64 s[2:3], s[24:25], 7
	global_load_dwordx4 v[6:9], v[0:1], off
	global_load_dwordx4 v[14:17], v[2:3], off
	v_mov_b32_e32 v10, s3
	v_add_co_u32_e32 v2, vcc, s2, v2
	v_addc_co_u32_e32 v3, vcc, v3, v10, vcc
	global_load_dwordx4 v[18:21], v[2:3], off
	v_add_co_u32_e32 v2, vcc, s2, v2
	v_addc_co_u32_e32 v3, vcc, v3, v10, vcc
	global_load_dwordx4 v[22:25], v[2:3], off
	v_add_lshl_u32 v2, v12, v4, 4
	v_add_u32_e32 v3, 0x1080, v2
	v_add_u32_e32 v10, 0x2100, v2
	;; [unrolled: 1-line block ×3, first 2 shown]
	s_waitcnt vmcnt(3)
	ds_write2_b64 v2, v[6:7], v[8:9] offset1:1
	s_waitcnt vmcnt(2)
	ds_write2_b64 v3, v[14:15], v[16:17] offset1:1
	;; [unrolled: 2-line block ×4, first 2 shown]
	v_pk_mov_b32 v[6:7], v[0:1], v[0:1] op_sel:[0,1]
.LBB22_30:
	v_lshlrev_b32_e32 v15, 2, v5
	v_cmp_le_u32_e64 s[16:17], v15, v4
	s_waitcnt lgkmcnt(0)
	s_barrier
	s_and_saveexec_b64 s[2:3], s[16:17]
	s_xor_b64 s[2:3], exec, s[2:3]
	s_cbranch_execz .LBB22_34
; %bb.31:
	v_cmp_eq_u32_e32 vcc, v15, v4
	s_and_saveexec_b64 s[8:9], vcc
	s_cbranch_execz .LBB22_33
; %bb.32:
	v_mul_u32_u24_e32 v0, 34, v4
	v_lshlrev_b32_e32 v2, 4, v0
	v_mov_b32_e32 v0, 0
	v_mov_b32_e32 v1, v0
	ds_write_b64 v2, v[0:1] offset:8
.LBB22_33:
	s_or_b64 exec, exec, s[8:9]
.LBB22_34:
	s_or_saveexec_b64 s[2:3], s[2:3]
	v_mul_u32_u24_e32 v14, 33, v4
	v_add_lshl_u32 v10, v15, v14, 4
	s_xor_b64 exec, exec, s[2:3]
	s_cbranch_execz .LBB22_36
; %bb.35:
	v_mul_u32_u24_e32 v0, 0x84, v5
	v_add_lshl_u32 v0, v0, v4, 4
	ds_read_b128 v[0:3], v0
	s_waitcnt lgkmcnt(0)
	v_xor_b32_e32 v3, 0x80000000, v3
	ds_write_b128 v10, v[0:3]
.LBB22_36:
	s_or_b64 exec, exec, s[2:3]
	v_or_b32_e32 v11, 1, v15
	v_cmp_ge_u32_e64 s[8:9], v15, v4
	v_mul_u32_u24_e32 v0, 33, v11
	s_and_saveexec_b64 s[2:3], s[8:9]
	s_xor_b64 s[2:3], exec, s[2:3]
	s_cbranch_execz .LBB22_38
; %bb.37:
	v_add_lshl_u32 v1, v0, v4, 4
	ds_read_b128 v[16:19], v1
	s_waitcnt lgkmcnt(0)
	v_xor_b32_e32 v19, 0x80000000, v19
	ds_write_b128 v10, v[16:19] offset:16
.LBB22_38:
	s_andn2_saveexec_b64 s[2:3], s[2:3]
	s_cbranch_execz .LBB22_42
; %bb.39:
	v_cmp_eq_u32_e32 vcc, v11, v4
	s_and_saveexec_b64 s[10:11], vcc
	s_cbranch_execz .LBB22_41
; %bb.40:
	v_mul_u32_u24_e32 v1, 34, v4
	v_mov_b32_e32 v2, 0
	v_lshlrev_b32_e32 v1, 4, v1
	v_mov_b32_e32 v3, v2
	ds_write_b64 v1, v[2:3] offset:8
.LBB22_41:
	s_or_b64 exec, exec, s[10:11]
.LBB22_42:
	s_or_b64 exec, exec, s[2:3]
	v_or_b32_e32 v17, 2, v15
	v_cmp_le_u32_e64 s[10:11], v17, v4
	s_and_saveexec_b64 s[2:3], s[10:11]
	s_xor_b64 s[2:3], exec, s[2:3]
	s_cbranch_execz .LBB22_46
; %bb.43:
	v_cmp_eq_u32_e32 vcc, v17, v4
	s_and_saveexec_b64 s[12:13], vcc
	s_cbranch_execz .LBB22_45
; %bb.44:
	v_mul_u32_u24_e32 v1, 34, v4
	v_mov_b32_e32 v2, 0
	v_lshlrev_b32_e32 v1, 4, v1
	v_mov_b32_e32 v3, v2
	ds_write_b64 v1, v[2:3] offset:8
.LBB22_45:
	s_or_b64 exec, exec, s[12:13]
.LBB22_46:
	s_andn2_saveexec_b64 s[2:3], s[2:3]
	s_cbranch_execz .LBB22_48
; %bb.47:
	v_mul_u32_u24_e32 v1, 33, v17
	v_add_lshl_u32 v1, v1, v4, 4
	ds_read_b128 v[18:21], v1
	s_waitcnt lgkmcnt(0)
	v_xor_b32_e32 v21, 0x80000000, v21
	ds_write_b128 v10, v[18:21] offset:32
.LBB22_48:
	s_or_b64 exec, exec, s[2:3]
	v_or_b32_e32 v18, 3, v15
	v_cmp_le_u32_e64 s[12:13], v18, v4
	s_and_saveexec_b64 s[2:3], s[12:13]
	s_xor_b64 s[2:3], exec, s[2:3]
	s_cbranch_execz .LBB22_52
; %bb.49:
	v_cmp_eq_u32_e32 vcc, v18, v4
	s_and_saveexec_b64 s[14:15], vcc
	s_cbranch_execz .LBB22_51
; %bb.50:
	v_mul_u32_u24_e32 v1, 34, v4
	v_mov_b32_e32 v2, 0
	v_lshlrev_b32_e32 v1, 4, v1
	v_mov_b32_e32 v3, v2
	ds_write_b64 v1, v[2:3] offset:8
.LBB22_51:
	s_or_b64 exec, exec, s[14:15]
.LBB22_52:
	s_andn2_saveexec_b64 s[2:3], s[2:3]
	s_cbranch_execz .LBB22_54
; %bb.53:
	v_mul_u32_u24_e32 v1, 33, v18
	v_add_lshl_u32 v1, v1, v4, 4
	ds_read_b128 v[20:23], v1
	s_waitcnt lgkmcnt(0)
	v_xor_b32_e32 v23, 0x80000000, v23
	ds_write_b128 v10, v[20:23] offset:48
.LBB22_54:
	s_or_b64 exec, exec, s[2:3]
	v_mul_u32_u24_e32 v1, 0x84, v5
	v_lshlrev_b32_e32 v19, 4, v15
	s_waitcnt lgkmcnt(0)
	s_barrier
	v_add_lshl_u32 v16, v1, v4, 4
	ds_read_b128 v[20:23], v19 offset:18176
	ds_read_b128 v[24:27], v19 offset:18192
	ds_read_b128 v[28:31], v16
	ds_read_b128 v[32:35], v19 offset:18208
	ds_read_b128 v[46:49], v19 offset:18224
	v_add_lshl_u32 v45, v0, v4, 4
	ds_read_b128 v[0:3], v45
	s_waitcnt lgkmcnt(3)
	v_mul_f64 v[8:9], v[22:23], v[30:31]
	v_fma_f64 v[8:9], v[20:21], v[28:29], -v[8:9]
	v_mul_f64 v[20:21], v[20:21], v[30:31]
	v_fmac_f64_e32 v[20:21], v[22:23], v[28:29]
	v_add_f64 v[28:29], v[20:21], 0
	s_waitcnt lgkmcnt(0)
	v_mul_f64 v[20:21], v[26:27], v[2:3]
	v_fma_f64 v[30:31], v[24:25], v[0:1], -v[20:21]
	v_mul_f64 v[2:3], v[24:25], v[2:3]
	ds_read_b128 v[20:23], v45 offset:528
	v_fmac_f64_e32 v[2:3], v[26:27], v[0:1]
	v_add_f64 v[24:25], v[28:29], v[2:3]
	ds_read_b128 v[0:3], v45 offset:1056
	v_add_f64 v[8:9], v[8:9], 0
	s_waitcnt lgkmcnt(1)
	v_mul_f64 v[26:27], v[34:35], v[22:23]
	v_mul_f64 v[22:23], v[32:33], v[22:23]
	v_fmac_f64_e32 v[22:23], v[34:35], v[20:21]
	v_add_f64 v[8:9], v[8:9], v[30:31]
	v_fma_f64 v[26:27], v[32:33], v[20:21], -v[26:27]
	v_add_f64 v[20:21], v[24:25], v[22:23]
	s_waitcnt lgkmcnt(0)
	v_mul_f64 v[22:23], v[48:49], v[2:3]
	v_mul_f64 v[2:3], v[46:47], v[2:3]
	v_add_f64 v[8:9], v[8:9], v[26:27]
	v_fma_f64 v[22:23], v[46:47], v[0:1], -v[22:23]
	v_fmac_f64_e32 v[2:3], v[48:49], v[0:1]
	v_add_f64 v[0:1], v[8:9], v[22:23]
	v_add_f64 v[2:3], v[20:21], v[2:3]
	v_add_lshl_u32 v44, v5, v14, 4
	s_barrier
	ds_write_b128 v44, v[0:3]
	v_pk_mov_b32 v[0:1], 0, 0
	v_cmp_gt_u32_e64 s[2:3], 32, v42
	v_lshlrev_b32_e32 v43, 4, v14
	v_pk_mov_b32 v[2:3], v[0:1], v[0:1] op_sel:[0,1]
	s_waitcnt lgkmcnt(0)
	s_barrier
	s_and_saveexec_b64 s[14:15], s[2:3]
	s_cbranch_execz .LBB22_56
; %bb.55:
	ds_read_b128 v[0:3], v43
	ds_read_b128 v[20:23], v43 offset:16
	ds_read_b128 v[24:27], v43 offset:32
	ds_read_b128 v[28:31], v43 offset:48
	s_waitcnt lgkmcnt(2)
	v_add_f64 v[0:1], v[20:21], v[0:1]
	v_add_f64 v[8:9], v[22:23], v[2:3]
	s_waitcnt lgkmcnt(1)
	v_add_f64 v[20:21], v[0:1], v[24:25]
	ds_read_b128 v[0:3], v43 offset:64
	v_add_f64 v[8:9], v[8:9], v[26:27]
	s_waitcnt lgkmcnt(1)
	v_add_f64 v[24:25], v[20:21], v[28:29]
	ds_read_b128 v[20:23], v43 offset:80
	;; [unrolled: 4-line block ×3, first 2 shown]
	v_add_f64 v[8:9], v[8:9], v[2:3]
	ds_read_b128 v[0:3], v43 offset:112
	s_waitcnt lgkmcnt(2)
	v_add_f64 v[20:21], v[28:29], v[20:21]
	v_add_f64 v[8:9], v[8:9], v[22:23]
	s_waitcnt lgkmcnt(1)
	v_add_f64 v[20:21], v[20:21], v[24:25]
	v_add_f64 v[8:9], v[8:9], v[26:27]
	;; [unrolled: 3-line block ×3, first 2 shown]
.LBB22_56:
	s_or_b64 exec, exec, s[14:15]
	s_lshl_b32 s28, s24, 5
	s_ashr_i32 s29, s28, 31
	s_lshl_b64 s[26:27], s[28:29], 4
	v_mov_b32_e32 v8, s27
	v_add_co_u32_e32 v20, vcc, s26, v6
	v_addc_co_u32_e32 v21, vcc, v7, v8, vcc
	v_add_co_u32_e32 v8, vcc, 0x200, v20
	v_addc_co_u32_e32 v9, vcc, 0, v21, vcc
	s_and_b64 vcc, exec, s[30:31]
	s_barrier
	s_cbranch_vccz .LBB22_74
; %bb.57:
	v_sub_co_u32_e32 v7, vcc, v8, v13
	s_ashr_i32 s19, s18, 31
	v_subbrev_co_u32_e32 v22, vcc, 0, v9, vcc
	s_lshl_b64 s[34:35], s[18:19], 4
	v_mov_b32_e32 v23, s35
	v_add_co_u32_e32 v7, vcc, s34, v7
	v_addc_co_u32_e32 v22, vcc, v22, v23, vcc
	v_or_b32_e32 v6, 32, v4
	v_add_co_u32_e32 v23, vcc, 0xfffffdf0, v7
	v_addc_co_u32_e32 v7, vcc, -1, v22, vcc
	v_cmp_gt_i32_e64 s[14:15], s18, v6
	s_sub_i32 s19, s18, 32
	v_cndmask_b32_e64 v7, v7, v9, s[14:15]
	v_cndmask_b32_e64 v6, v23, v8, s[14:15]
	v_cmp_le_i32_e32 vcc, s19, v5
	v_add_lshl_u32 v22, v12, v4, 4
	s_and_saveexec_b64 s[36:37], vcc
	s_xor_b64 s[36:37], exec, s[36:37]
	s_cbranch_execz .LBB22_59
; %bb.58:
	v_mov_b32_e32 v24, 0
	v_mov_b32_e32 v25, v24
	;; [unrolled: 1-line block ×4, first 2 shown]
	ds_write_b128 v22, v[24:27]
.LBB22_59:
	s_andn2_saveexec_b64 s[36:37], s[36:37]
	s_cbranch_execz .LBB22_61
; %bb.60:
	global_load_dwordx4 v[24:27], v[6:7], off
	s_waitcnt vmcnt(0)
	ds_write2_b64 v22, v[24:25], v[26:27] offset1:1
.LBB22_61:
	s_or_b64 exec, exec, s[36:37]
	v_add_u32_e32 v23, 8, v5
	v_cmp_le_i32_e32 vcc, s19, v23
	s_and_saveexec_b64 s[36:37], vcc
	s_xor_b64 s[36:37], exec, s[36:37]
	s_cbranch_execz .LBB22_63
; %bb.62:
	v_mul_u32_u24_e32 v23, 33, v23
	v_mov_b32_e32 v24, 0
	v_add_lshl_u32 v23, v23, v4, 4
	v_mov_b32_e32 v25, v24
	v_mov_b32_e32 v26, v24
	;; [unrolled: 1-line block ×3, first 2 shown]
	ds_write_b128 v23, v[24:27]
.LBB22_63:
	s_andn2_saveexec_b64 s[36:37], s[36:37]
	s_cbranch_execz .LBB22_65
; %bb.64:
	s_lshl_b32 s42, s24, 3
	s_ashr_i32 s43, s42, 31
	s_lshl_b64 s[42:43], s[42:43], 4
	v_mov_b32_e32 v23, s43
	v_add_co_u32_e32 v24, vcc, s42, v6
	v_addc_co_u32_e32 v25, vcc, v7, v23, vcc
	global_load_dwordx4 v[24:27], v[24:25], off
	v_add_u32_e32 v23, 0x1080, v22
	s_waitcnt vmcnt(0)
	ds_write2_b64 v23, v[24:25], v[26:27] offset1:1
.LBB22_65:
	s_or_b64 exec, exec, s[36:37]
	v_add_u32_e32 v23, 16, v5
	v_cmp_le_i32_e32 vcc, s19, v23
	s_and_saveexec_b64 s[36:37], vcc
	s_xor_b64 s[36:37], exec, s[36:37]
	s_cbranch_execz .LBB22_67
; %bb.66:
	v_mul_u32_u24_e32 v23, 33, v23
	v_mov_b32_e32 v24, 0
	v_add_lshl_u32 v23, v23, v4, 4
	v_mov_b32_e32 v25, v24
	v_mov_b32_e32 v26, v24
	;; [unrolled: 1-line block ×3, first 2 shown]
	ds_write_b128 v23, v[24:27]
.LBB22_67:
	s_andn2_saveexec_b64 s[36:37], s[36:37]
	s_cbranch_execz .LBB22_69
; %bb.68:
	s_lshl_b32 s42, s24, 4
	s_ashr_i32 s43, s42, 31
	s_lshl_b64 s[42:43], s[42:43], 4
	v_mov_b32_e32 v23, s43
	v_add_co_u32_e32 v24, vcc, s42, v6
	v_addc_co_u32_e32 v25, vcc, v7, v23, vcc
	global_load_dwordx4 v[24:27], v[24:25], off
	v_add_u32_e32 v23, 0x2100, v22
	s_waitcnt vmcnt(0)
	ds_write2_b64 v23, v[24:25], v[26:27] offset1:1
.LBB22_69:
	s_or_b64 exec, exec, s[36:37]
	v_add_u32_e32 v23, 24, v5
	v_cmp_le_i32_e32 vcc, s19, v23
	s_and_saveexec_b64 s[36:37], vcc
	s_xor_b64 s[36:37], exec, s[36:37]
	s_cbranch_execz .LBB22_71
; %bb.70:
	v_mov_b32_e32 v24, 0
	v_mov_b32_e32 v25, v24
	;; [unrolled: 1-line block ×4, first 2 shown]
	ds_write_b128 v22, v[24:27] offset:12672
                                        ; implicit-def: $vgpr22
.LBB22_71:
	s_andn2_saveexec_b64 s[36:37], s[36:37]
	s_cbranch_execz .LBB22_73
; %bb.72:
	s_mul_i32 s42, s24, 24
	s_ashr_i32 s43, s42, 31
	s_lshl_b64 s[42:43], s[42:43], 4
	v_mov_b32_e32 v23, s43
	v_add_co_u32_e32 v24, vcc, s42, v6
	v_addc_co_u32_e32 v25, vcc, v7, v23, vcc
	global_load_dwordx4 v[24:27], v[24:25], off
	v_add_u32_e32 v22, 0x3180, v22
	s_waitcnt vmcnt(0)
	ds_write2_b64 v22, v[24:25], v[26:27] offset1:1
.LBB22_73:
	s_or_b64 exec, exec, s[36:37]
	v_add_co_u32_e32 v6, vcc, v6, v13
	v_addc_co_u32_e32 v7, vcc, 0, v7, vcc
	v_mov_b32_e32 v22, s35
	v_subrev_co_u32_e32 v6, vcc, s34, v6
	v_subb_co_u32_e32 v7, vcc, v7, v22, vcc
	v_add_co_u32_e32 v6, vcc, 0x210, v6
	v_addc_co_u32_e32 v7, vcc, 0, v7, vcc
	v_cndmask_b32_e64 v7, v7, v9, s[14:15]
	v_cndmask_b32_e64 v6, v6, v8, s[14:15]
	s_branch .LBB22_76
.LBB22_74:
                                        ; implicit-def: $vgpr6_vgpr7
	s_cbranch_execz .LBB22_76
; %bb.75:
	s_lshl_b32 s14, s24, 3
	s_ashr_i32 s15, s14, 31
	s_lshl_b64 s[14:15], s[14:15], 4
	v_mov_b32_e32 v7, s15
	v_add_co_u32_e32 v6, vcc, s14, v20
	s_ashr_i32 s25, s24, 31
	v_addc_co_u32_e32 v7, vcc, v21, v7, vcc
	s_lshl_b64 s[14:15], s[24:25], 7
	global_load_dwordx4 v[20:23], v[8:9], off
	global_load_dwordx4 v[24:27], v[6:7], off offset:512
	v_mov_b32_e32 v28, s15
	v_add_co_u32_e32 v6, vcc, s14, v6
	v_addc_co_u32_e32 v7, vcc, v7, v28, vcc
	v_add_co_u32_e32 v40, vcc, s14, v6
	v_addc_co_u32_e32 v41, vcc, v7, v28, vcc
	global_load_dwordx4 v[28:31], v[6:7], off offset:512
	global_load_dwordx4 v[32:35], v[40:41], off offset:512
	v_add_lshl_u32 v6, v12, v4, 4
	v_add_u32_e32 v7, 0x1080, v6
	v_add_u32_e32 v40, 0x2100, v6
	v_add_u32_e32 v41, 0x3180, v6
	s_waitcnt vmcnt(3)
	ds_write2_b64 v6, v[20:21], v[22:23] offset1:1
	s_waitcnt vmcnt(2)
	ds_write2_b64 v7, v[24:25], v[26:27] offset1:1
	;; [unrolled: 2-line block ×4, first 2 shown]
	v_pk_mov_b32 v[6:7], v[8:9], v[8:9] op_sel:[0,1]
.LBB22_76:
	s_waitcnt lgkmcnt(0)
	s_barrier
	s_and_saveexec_b64 s[14:15], s[16:17]
	s_xor_b64 s[14:15], exec, s[14:15]
	s_cbranch_execnz .LBB22_105
; %bb.77:
	s_andn2_saveexec_b64 s[14:15], s[14:15]
	s_cbranch_execnz .LBB22_108
.LBB22_78:
	s_or_b64 exec, exec, s[14:15]
	s_and_saveexec_b64 s[14:15], s[8:9]
	s_xor_b64 s[8:9], exec, s[14:15]
	s_cbranch_execnz .LBB22_109
.LBB22_79:
	s_andn2_saveexec_b64 s[8:9], s[8:9]
	s_cbranch_execnz .LBB22_110
.LBB22_80:
	s_or_b64 exec, exec, s[8:9]
	s_and_saveexec_b64 s[8:9], s[10:11]
	s_xor_b64 s[8:9], exec, s[8:9]
	s_cbranch_execnz .LBB22_113
.LBB22_81:
	s_andn2_saveexec_b64 s[8:9], s[8:9]
	s_cbranch_execnz .LBB22_116
.LBB22_82:
	s_or_b64 exec, exec, s[8:9]
	s_and_saveexec_b64 s[8:9], s[12:13]
	s_xor_b64 s[8:9], exec, s[8:9]
	s_cbranch_execnz .LBB22_117
.LBB22_83:
	s_or_saveexec_b64 s[8:9], s[8:9]
	v_add_u32_e32 v17, 0x4700, v19
	s_xor_b64 exec, exec, s[8:9]
	s_cbranch_execz .LBB22_85
.LBB22_84:
	ds_read_b128 v[18:21], v45 offset:1056
	s_waitcnt lgkmcnt(0)
	v_xor_b32_e32 v21, 0x80000000, v21
	ds_write_b128 v10, v[18:21] offset:48
.LBB22_85:
	s_or_b64 exec, exec, s[8:9]
	s_waitcnt lgkmcnt(0)
	s_barrier
	ds_read_b128 v[8:11], v17 offset:512
	ds_read_b128 v[18:21], v16
	ds_read_b128 v[22:25], v17 offset:528
	ds_read_b128 v[26:29], v17 offset:544
	v_cmp_eq_u32_e64 s[8:9], 1, v5
	s_waitcnt lgkmcnt(2)
	v_mul_f64 v[30:31], v[10:11], v[20:21]
	v_fma_f64 v[34:35], v[8:9], v[18:19], -v[30:31]
	ds_read_b128 v[30:33], v17 offset:560
	ds_read_b128 v[46:49], v45
	v_mul_f64 v[8:9], v[8:9], v[20:21]
	v_fmac_f64_e32 v[8:9], v[10:11], v[18:19]
	v_add_f64 v[20:21], v[8:9], 0
	v_add_f64 v[18:19], v[34:35], 0
	s_waitcnt lgkmcnt(0)
	v_mul_f64 v[8:9], v[24:25], v[48:49]
	v_fma_f64 v[34:35], v[22:23], v[46:47], -v[8:9]
	v_mul_f64 v[22:23], v[22:23], v[48:49]
	ds_read_b128 v[8:11], v45 offset:528
	v_fmac_f64_e32 v[22:23], v[24:25], v[46:47]
	v_add_f64 v[24:25], v[18:19], v[34:35]
	v_add_f64 v[22:23], v[20:21], v[22:23]
	ds_read_b128 v[18:21], v45 offset:1056
	s_waitcnt lgkmcnt(1)
	v_mul_f64 v[34:35], v[28:29], v[10:11]
	v_mul_f64 v[10:11], v[26:27], v[10:11]
	v_fmac_f64_e32 v[10:11], v[28:29], v[8:9]
	v_fma_f64 v[34:35], v[26:27], v[8:9], -v[34:35]
	v_add_f64 v[10:11], v[22:23], v[10:11]
	s_waitcnt lgkmcnt(0)
	v_mul_f64 v[22:23], v[32:33], v[20:21]
	v_mul_f64 v[20:21], v[30:31], v[20:21]
	v_add_f64 v[8:9], v[24:25], v[34:35]
	v_fma_f64 v[22:23], v[30:31], v[18:19], -v[22:23]
	v_fmac_f64_e32 v[20:21], v[32:33], v[18:19]
	v_add_f64 v[8:9], v[8:9], v[22:23]
	v_add_f64 v[10:11], v[10:11], v[20:21]
	s_barrier
	ds_write_b128 v44, v[8:11]
	s_waitcnt lgkmcnt(0)
	s_barrier
	s_and_saveexec_b64 s[10:11], s[8:9]
	s_cbranch_execz .LBB22_87
; %bb.86:
	ds_read_b128 v[0:3], v43
	ds_read_b128 v[8:11], v43 offset:16
	ds_read_b128 v[18:21], v43 offset:32
	ds_read_b128 v[22:25], v43 offset:48
	s_waitcnt lgkmcnt(2)
	v_add_f64 v[0:1], v[8:9], v[0:1]
	v_add_f64 v[8:9], v[10:11], v[2:3]
	s_waitcnt lgkmcnt(1)
	v_add_f64 v[10:11], v[0:1], v[18:19]
	ds_read_b128 v[0:3], v43 offset:64
	v_add_f64 v[8:9], v[8:9], v[20:21]
	s_waitcnt lgkmcnt(1)
	v_add_f64 v[18:19], v[10:11], v[22:23]
	v_add_f64 v[22:23], v[8:9], v[24:25]
	ds_read_b128 v[8:11], v43 offset:80
	s_waitcnt lgkmcnt(1)
	v_add_f64 v[24:25], v[18:19], v[0:1]
	ds_read_b128 v[18:21], v43 offset:96
	v_add_f64 v[22:23], v[22:23], v[2:3]
	ds_read_b128 v[0:3], v43 offset:112
	s_waitcnt lgkmcnt(2)
	v_add_f64 v[8:9], v[24:25], v[8:9]
	v_add_f64 v[10:11], v[22:23], v[10:11]
	s_waitcnt lgkmcnt(1)
	v_add_f64 v[8:9], v[8:9], v[18:19]
	v_add_f64 v[10:11], v[10:11], v[20:21]
	;; [unrolled: 3-line block ×3, first 2 shown]
.LBB22_87:
	s_or_b64 exec, exec, s[10:11]
	v_add_co_u32_e32 v8, vcc, 0xfffffe00, v6
	v_addc_co_u32_e32 v9, vcc, -1, v7, vcc
	s_and_b64 vcc, exec, s[30:31]
	s_barrier
	s_cbranch_vccz .LBB22_120
; %bb.88:
	v_sub_co_u32_e32 v10, vcc, v6, v13
	s_ashr_i32 s19, s18, 31
	v_subbrev_co_u32_e32 v11, vcc, 0, v7, vcc
	s_lshl_b64 s[12:13], s[18:19], 4
	v_mov_b32_e32 v15, s13
	v_add_co_u32_e32 v10, vcc, s12, v10
	v_addc_co_u32_e32 v11, vcc, v11, v15, vcc
	v_add_co_u32_e32 v10, vcc, 0xfffffdf0, v10
	v_addc_co_u32_e32 v11, vcc, -1, v11, vcc
	v_cmp_gt_i32_e32 vcc, s18, v4
	s_sub_i32 s16, s18, 32
	v_cndmask_b32_e32 v11, v11, v9, vcc
	v_cndmask_b32_e32 v10, v10, v8, vcc
	v_cmp_le_i32_e64 s[10:11], s16, v5
	v_add_lshl_u32 v20, v12, v4, 4
	s_and_saveexec_b64 s[14:15], s[10:11]
	s_xor_b64 s[10:11], exec, s[14:15]
	s_cbranch_execz .LBB22_90
; %bb.89:
	v_mov_b32_e32 v22, 0
	v_mov_b32_e32 v23, v22
	;; [unrolled: 1-line block ×4, first 2 shown]
	ds_write_b128 v20, v[22:25]
.LBB22_90:
	s_andn2_saveexec_b64 s[10:11], s[10:11]
	s_cbranch_execz .LBB22_92
; %bb.91:
	global_load_dwordx4 v[22:25], v[10:11], off
	s_waitcnt vmcnt(0)
	ds_write2_b64 v20, v[22:23], v[24:25] offset1:1
.LBB22_92:
	s_or_b64 exec, exec, s[10:11]
	v_add_u32_e32 v15, 8, v5
	v_cmp_le_i32_e64 s[10:11], s16, v15
	s_and_saveexec_b64 s[14:15], s[10:11]
	s_xor_b64 s[10:11], exec, s[14:15]
	s_cbranch_execz .LBB22_94
; %bb.93:
	v_mul_u32_u24_e32 v18, 33, v15
	v_mov_b32_e32 v22, 0
	v_add_lshl_u32 v18, v18, v4, 4
	v_mov_b32_e32 v23, v22
	v_mov_b32_e32 v24, v22
	;; [unrolled: 1-line block ×3, first 2 shown]
	ds_write_b128 v18, v[22:25]
.LBB22_94:
	s_andn2_saveexec_b64 s[14:15], s[10:11]
	s_cbranch_execz .LBB22_96
; %bb.95:
	s_lshl_b32 s10, s24, 3
	s_ashr_i32 s11, s10, 31
	s_lshl_b64 s[10:11], s[10:11], 4
	v_mov_b32_e32 v19, s11
	v_add_co_u32_e64 v18, s[10:11], s10, v10
	v_addc_co_u32_e64 v19, s[10:11], v11, v19, s[10:11]
	global_load_dwordx4 v[22:25], v[18:19], off
	v_add_u32_e32 v18, 0x1080, v20
	s_waitcnt vmcnt(0)
	ds_write2_b64 v18, v[22:23], v[24:25] offset1:1
.LBB22_96:
	s_or_b64 exec, exec, s[14:15]
	v_add_u32_e32 v18, 16, v5
	v_cmp_le_i32_e64 s[10:11], s16, v18
	s_and_saveexec_b64 s[14:15], s[10:11]
	s_xor_b64 s[10:11], exec, s[14:15]
	s_cbranch_execz .LBB22_98
; %bb.97:
	v_mul_u32_u24_e32 v19, 33, v18
	v_mov_b32_e32 v22, 0
	v_add_lshl_u32 v19, v19, v4, 4
	v_mov_b32_e32 v23, v22
	v_mov_b32_e32 v24, v22
	;; [unrolled: 1-line block ×3, first 2 shown]
	ds_write_b128 v19, v[22:25]
.LBB22_98:
	s_andn2_saveexec_b64 s[14:15], s[10:11]
	s_cbranch_execz .LBB22_100
; %bb.99:
	s_lshl_b32 s10, s24, 4
	s_ashr_i32 s11, s10, 31
	s_lshl_b64 s[10:11], s[10:11], 4
	v_mov_b32_e32 v19, s11
	v_add_co_u32_e64 v22, s[10:11], s10, v10
	v_addc_co_u32_e64 v23, s[10:11], v11, v19, s[10:11]
	global_load_dwordx4 v[22:25], v[22:23], off
	v_add_u32_e32 v19, 0x2100, v20
	s_waitcnt vmcnt(0)
	ds_write2_b64 v19, v[22:23], v[24:25] offset1:1
.LBB22_100:
	s_or_b64 exec, exec, s[14:15]
	v_add_u32_e32 v19, 24, v5
	v_cmp_le_i32_e64 s[10:11], s16, v19
	s_and_saveexec_b64 s[14:15], s[10:11]
	s_xor_b64 s[10:11], exec, s[14:15]
	s_cbranch_execz .LBB22_102
; %bb.101:
	v_mov_b32_e32 v22, 0
	v_mov_b32_e32 v23, v22
	;; [unrolled: 1-line block ×4, first 2 shown]
	ds_write_b128 v20, v[22:25] offset:12672
                                        ; implicit-def: $vgpr20
.LBB22_102:
	s_andn2_saveexec_b64 s[14:15], s[10:11]
	s_cbranch_execz .LBB22_104
; %bb.103:
	s_mul_i32 s10, s24, 24
	s_ashr_i32 s11, s10, 31
	s_lshl_b64 s[10:11], s[10:11], 4
	v_mov_b32_e32 v21, s11
	v_add_co_u32_e64 v22, s[10:11], s10, v10
	v_addc_co_u32_e64 v23, s[10:11], v11, v21, s[10:11]
	global_load_dwordx4 v[22:25], v[22:23], off
	v_add_u32_e32 v20, 0x3180, v20
	s_waitcnt vmcnt(0)
	ds_write2_b64 v20, v[22:23], v[24:25] offset1:1
.LBB22_104:
	s_or_b64 exec, exec, s[14:15]
	v_add_co_u32_e64 v10, s[10:11], v10, v13
	v_addc_co_u32_e64 v11, s[10:11], 0, v11, s[10:11]
	v_mov_b32_e32 v13, s13
	v_subrev_co_u32_e64 v10, s[10:11], s12, v10
	v_subb_co_u32_e64 v11, s[10:11], v11, v13, s[10:11]
	v_add_co_u32_e64 v10, s[10:11], 16, v10
	v_addc_co_u32_e64 v11, s[10:11], 0, v11, s[10:11]
	v_cndmask_b32_e32 v41, v11, v9, vcc
	v_cndmask_b32_e32 v40, v10, v8, vcc
	s_branch .LBB22_122
.LBB22_105:
	v_cmp_eq_u32_e32 vcc, v15, v4
	s_and_saveexec_b64 s[16:17], vcc
	s_cbranch_execz .LBB22_107
; %bb.106:
	v_mul_u32_u24_e32 v8, 34, v4
	v_lshlrev_b32_e32 v15, 4, v8
	v_mov_b32_e32 v8, 0
	v_mov_b32_e32 v9, v8
	ds_write_b64 v15, v[8:9] offset:8
.LBB22_107:
	s_or_b64 exec, exec, s[16:17]
	s_andn2_saveexec_b64 s[14:15], s[14:15]
	s_cbranch_execz .LBB22_78
.LBB22_108:
	ds_read_b128 v[20:23], v16
	s_waitcnt lgkmcnt(0)
	v_xor_b32_e32 v23, 0x80000000, v23
	ds_write_b128 v10, v[20:23]
	s_or_b64 exec, exec, s[14:15]
	s_and_saveexec_b64 s[14:15], s[8:9]
	s_xor_b64 s[8:9], exec, s[14:15]
	s_cbranch_execz .LBB22_79
.LBB22_109:
	ds_read_b128 v[20:23], v45
                                        ; implicit-def: $vgpr11
	s_waitcnt lgkmcnt(0)
	v_xor_b32_e32 v23, 0x80000000, v23
	ds_write_b128 v10, v[20:23] offset:16
	s_andn2_saveexec_b64 s[8:9], s[8:9]
	s_cbranch_execz .LBB22_80
.LBB22_110:
	v_cmp_eq_u32_e32 vcc, v11, v4
	s_and_saveexec_b64 s[14:15], vcc
	s_cbranch_execz .LBB22_112
; %bb.111:
	v_mul_u32_u24_e32 v8, 34, v4
	v_lshlrev_b32_e32 v11, 4, v8
	v_mov_b32_e32 v8, 0
	v_mov_b32_e32 v9, v8
	ds_write_b64 v11, v[8:9] offset:8
.LBB22_112:
	s_or_b64 exec, exec, s[14:15]
	s_or_b64 exec, exec, s[8:9]
	s_and_saveexec_b64 s[8:9], s[10:11]
	s_xor_b64 s[8:9], exec, s[8:9]
	s_cbranch_execz .LBB22_81
.LBB22_113:
	v_cmp_eq_u32_e32 vcc, v17, v4
	s_and_saveexec_b64 s[10:11], vcc
	s_cbranch_execz .LBB22_115
; %bb.114:
	v_mul_u32_u24_e32 v8, 34, v4
	v_lshlrev_b32_e32 v11, 4, v8
	v_mov_b32_e32 v8, 0
	v_mov_b32_e32 v9, v8
	ds_write_b64 v11, v[8:9] offset:8
.LBB22_115:
	s_or_b64 exec, exec, s[10:11]
	s_andn2_saveexec_b64 s[8:9], s[8:9]
	s_cbranch_execz .LBB22_82
.LBB22_116:
	ds_read_b128 v[20:23], v45 offset:528
	s_waitcnt lgkmcnt(0)
	v_xor_b32_e32 v23, 0x80000000, v23
	ds_write_b128 v10, v[20:23] offset:32
	s_or_b64 exec, exec, s[8:9]
	s_and_saveexec_b64 s[8:9], s[12:13]
	s_xor_b64 s[8:9], exec, s[8:9]
	s_cbranch_execz .LBB22_83
.LBB22_117:
	v_cmp_eq_u32_e32 vcc, v18, v4
	s_and_saveexec_b64 s[10:11], vcc
	s_cbranch_execz .LBB22_119
; %bb.118:
	v_mul_u32_u24_e32 v8, 34, v4
	v_lshlrev_b32_e32 v10, 4, v8
	v_mov_b32_e32 v8, 0
	v_mov_b32_e32 v9, v8
	ds_write_b64 v10, v[8:9] offset:8
.LBB22_119:
	s_or_b64 exec, exec, s[10:11]
                                        ; implicit-def: $vgpr10
	s_or_saveexec_b64 s[8:9], s[8:9]
	v_add_u32_e32 v17, 0x4700, v19
	s_xor_b64 exec, exec, s[8:9]
	s_cbranch_execnz .LBB22_84
	s_branch .LBB22_85
.LBB22_120:
                                        ; implicit-def: $vgpr40_vgpr41
                                        ; implicit-def: $vgpr15
                                        ; implicit-def: $vgpr18
                                        ; implicit-def: $vgpr19
	s_cbranch_execz .LBB22_122
; %bb.121:
	s_lshl_b32 s10, s24, 3
	s_ashr_i32 s11, s10, 31
	s_lshl_b64 s[10:11], s[10:11], 4
	v_mov_b32_e32 v10, s11
	v_add_co_u32_e32 v6, vcc, s10, v6
	s_ashr_i32 s25, s24, 31
	v_addc_co_u32_e32 v7, vcc, v7, v10, vcc
	s_lshl_b64 s[10:11], s[24:25], 7
	global_load_dwordx4 v[20:23], v[8:9], off
	global_load_dwordx4 v[24:27], v[6:7], off offset:-512
	v_mov_b32_e32 v11, s11
	v_add_co_u32_e32 v6, vcc, s10, v6
	v_addc_co_u32_e32 v7, vcc, v7, v11, vcc
	v_add_co_u32_e32 v10, vcc, s10, v6
	v_addc_co_u32_e32 v11, vcc, v7, v11, vcc
	global_load_dwordx4 v[28:31], v[6:7], off offset:-512
	global_load_dwordx4 v[32:35], v[10:11], off offset:-512
	v_add_lshl_u32 v4, v12, v4, 4
	v_add_u32_e32 v15, 8, v5
	v_add_u32_e32 v18, 16, v5
	;; [unrolled: 1-line block ×3, first 2 shown]
	v_pk_mov_b32 v[40:41], v[8:9], v[8:9] op_sel:[0,1]
	v_add_u32_e32 v6, 0x1080, v4
	v_add_u32_e32 v7, 0x2100, v4
	;; [unrolled: 1-line block ×3, first 2 shown]
	s_waitcnt vmcnt(3)
	ds_write2_b64 v4, v[20:21], v[22:23] offset1:1
	s_waitcnt vmcnt(2)
	ds_write2_b64 v6, v[24:25], v[26:27] offset1:1
	;; [unrolled: 2-line block ×4, first 2 shown]
.LBB22_122:
	v_lshlrev_b32_e32 v4, 4, v5
	s_waitcnt lgkmcnt(0)
	s_barrier
	ds_read_b128 v[46:49], v44
	ds_read_b128 v[50:53], v4 offset:18176
	v_add_lshl_u32 v4, v15, v14, 4
	v_lshlrev_b32_e32 v5, 4, v15
	ds_read_b128 v[54:57], v4
	ds_read_b128 v[58:61], v5 offset:18176
	s_waitcnt lgkmcnt(2)
	v_mul_f64 v[4:5], v[48:49], v[52:53]
	v_fmac_f64_e32 v[4:5], v[46:47], v[50:51]
	v_add_f64 v[4:5], v[4:5], 0
	s_waitcnt lgkmcnt(0)
	v_mul_f64 v[6:7], v[56:57], v[60:61]
	v_fmac_f64_e32 v[6:7], v[54:55], v[58:59]
	v_add_f64 v[4:5], v[4:5], v[6:7]
	v_add_lshl_u32 v6, v18, v14, 4
	v_mul_f64 v[70:71], v[48:49], v[50:51]
	v_mul_f64 v[72:73], v[56:57], v[58:59]
	v_lshlrev_b32_e32 v7, 4, v18
	ds_read_b128 v[48:51], v6
	ds_read_b128 v[56:59], v7 offset:18176
	v_add_lshl_u32 v6, v19, v14, 4
	v_lshlrev_b32_e32 v7, 4, v19
	ds_read_b128 v[62:65], v6
	ds_read_b128 v[66:69], v7 offset:18176
	v_fma_f64 v[46:47], v[46:47], v[52:53], -v[70:71]
	s_waitcnt lgkmcnt(2)
	v_mul_f64 v[6:7], v[50:51], v[58:59]
	v_fmac_f64_e32 v[6:7], v[48:49], v[56:57]
	v_add_f64 v[4:5], v[4:5], v[6:7]
	s_waitcnt lgkmcnt(0)
	v_mul_f64 v[6:7], v[64:65], v[68:69]
	v_fmac_f64_e32 v[6:7], v[62:63], v[66:67]
	v_mul_f64 v[56:57], v[50:51], v[56:57]
	v_add_f64 v[50:51], v[4:5], v[6:7]
	ds_read_b128 v[20:23], v17 offset:528
	ds_read_b128 v[12:15], v17 offset:544
	;; [unrolled: 1-line block ×3, first 2 shown]
	ds_read_b128 v[32:35], v16
	ds_read_b128 v[4:7], v17 offset:560
	ds_read_b128 v[24:27], v45
	ds_read_b128 v[16:19], v45 offset:528
	ds_read_b128 v[8:11], v45 offset:1056
	v_add_f64 v[46:47], v[46:47], 0
	v_fma_f64 v[52:53], v[54:55], v[60:61], -v[72:73]
	v_mul_f64 v[64:65], v[64:65], v[66:67]
	v_add_f64 v[46:47], v[46:47], v[52:53]
	v_fma_f64 v[48:49], v[48:49], v[58:59], -v[56:57]
	v_add_f64 v[46:47], v[46:47], v[48:49]
	v_fma_f64 v[48:49], v[62:63], v[68:69], -v[64:65]
	v_add_f64 v[52:53], v[46:47], v[48:49]
	s_waitcnt lgkmcnt(0)
	s_barrier
	ds_write_b128 v44, v[50:53]
	s_waitcnt lgkmcnt(0)
	s_barrier
	s_and_saveexec_b64 s[10:11], s[8:9]
	s_cbranch_execz .LBB22_124
; %bb.123:
	ds_read_b128 v[46:49], v43
	ds_read_b128 v[50:53], v43 offset:16
	ds_read_b128 v[54:57], v43 offset:32
	ds_read_b128 v[58:61], v43 offset:48
	s_waitcnt lgkmcnt(3)
	v_add_f64 v[0:1], v[0:1], v[46:47]
	v_add_f64 v[2:3], v[2:3], v[48:49]
	s_waitcnt lgkmcnt(2)
	v_add_f64 v[0:1], v[0:1], v[50:51]
	v_add_f64 v[46:47], v[2:3], v[52:53]
	s_waitcnt lgkmcnt(1)
	v_add_f64 v[48:49], v[0:1], v[54:55]
	ds_read_b128 v[0:3], v43 offset:64
	v_add_f64 v[46:47], v[46:47], v[56:57]
	s_waitcnt lgkmcnt(1)
	v_add_f64 v[50:51], v[48:49], v[58:59]
	v_add_f64 v[54:55], v[46:47], v[60:61]
	ds_read_b128 v[46:49], v43 offset:80
	s_waitcnt lgkmcnt(1)
	v_add_f64 v[56:57], v[50:51], v[0:1]
	ds_read_b128 v[50:53], v43 offset:96
	v_add_f64 v[54:55], v[54:55], v[2:3]
	ds_read_b128 v[0:3], v43 offset:112
	s_waitcnt lgkmcnt(2)
	v_add_f64 v[46:47], v[56:57], v[46:47]
	v_add_f64 v[48:49], v[54:55], v[48:49]
	s_waitcnt lgkmcnt(1)
	v_add_f64 v[46:47], v[46:47], v[50:51]
	v_add_f64 v[48:49], v[48:49], v[52:53]
	;; [unrolled: 3-line block ×3, first 2 shown]
.LBB22_124:
	s_or_b64 exec, exec, s[10:11]
	v_mul_f64 v[46:47], v[30:31], v[34:35]
	v_fma_f64 v[46:47], v[28:29], v[32:33], -v[46:47]
	v_mul_f64 v[28:29], v[28:29], v[34:35]
	v_fmac_f64_e32 v[28:29], v[30:31], v[32:33]
	v_mul_f64 v[32:33], v[22:23], v[26:27]
	v_fma_f64 v[32:33], v[20:21], v[24:25], -v[32:33]
	v_mul_f64 v[20:21], v[20:21], v[26:27]
	v_fmac_f64_e32 v[20:21], v[22:23], v[24:25]
	v_mul_f64 v[24:25], v[14:15], v[18:19]
	v_add_f64 v[30:31], v[46:47], 0
	v_add_f64 v[28:29], v[28:29], 0
	v_fma_f64 v[24:25], v[12:13], v[16:17], -v[24:25]
	v_mul_f64 v[12:13], v[12:13], v[18:19]
	v_add_f64 v[22:23], v[30:31], v[32:33]
	v_add_f64 v[20:21], v[28:29], v[20:21]
	v_fmac_f64_e32 v[12:13], v[14:15], v[16:17]
	v_mul_f64 v[16:17], v[6:7], v[10:11]
	v_mul_f64 v[10:11], v[4:5], v[10:11]
	v_add_f64 v[14:15], v[22:23], v[24:25]
	v_add_f64 v[12:13], v[20:21], v[12:13]
	v_fma_f64 v[16:17], v[4:5], v[8:9], -v[16:17]
	v_fmac_f64_e32 v[10:11], v[6:7], v[8:9]
	v_add_f64 v[4:5], v[14:15], v[16:17]
	v_add_f64 v[6:7], v[12:13], v[10:11]
	s_barrier
	ds_write_b128 v44, v[4:7]
	s_waitcnt lgkmcnt(0)
	s_barrier
	s_and_saveexec_b64 s[8:9], s[2:3]
	s_cbranch_execz .LBB22_126
; %bb.125:
	ds_read_b128 v[4:7], v43
	ds_read_b128 v[8:11], v43 offset:16
	ds_read_b128 v[12:15], v43 offset:32
	;; [unrolled: 1-line block ×3, first 2 shown]
	s_waitcnt lgkmcnt(3)
	v_add_f64 v[0:1], v[0:1], v[4:5]
	v_add_f64 v[2:3], v[2:3], v[6:7]
	s_waitcnt lgkmcnt(2)
	v_add_f64 v[0:1], v[0:1], v[8:9]
	v_add_f64 v[4:5], v[2:3], v[10:11]
	s_waitcnt lgkmcnt(1)
	v_add_f64 v[6:7], v[0:1], v[12:13]
	ds_read_b128 v[0:3], v43 offset:64
	v_add_f64 v[4:5], v[4:5], v[14:15]
	s_waitcnt lgkmcnt(1)
	v_add_f64 v[8:9], v[6:7], v[16:17]
	v_add_f64 v[12:13], v[4:5], v[18:19]
	ds_read_b128 v[4:7], v43 offset:80
	s_waitcnt lgkmcnt(1)
	v_add_f64 v[14:15], v[8:9], v[0:1]
	ds_read_b128 v[8:11], v43 offset:96
	v_add_f64 v[12:13], v[12:13], v[2:3]
	ds_read_b128 v[0:3], v43 offset:112
	s_waitcnt lgkmcnt(2)
	v_add_f64 v[4:5], v[14:15], v[4:5]
	v_add_f64 v[6:7], v[12:13], v[6:7]
	s_waitcnt lgkmcnt(1)
	v_add_f64 v[4:5], v[4:5], v[8:9]
	v_add_f64 v[6:7], v[6:7], v[10:11]
	;; [unrolled: 3-line block ×3, first 2 shown]
.LBB22_126:
	s_or_b64 exec, exec, s[8:9]
	s_load_dwordx2 s[2:3], s[4:5], 0x78
	s_mul_hi_u32 s4, s40, s7
	s_mul_i32 s41, s41, s7
	s_add_i32 s4, s4, s41
	s_mul_i32 s7, s40, s7
	s_mul_i32 s4, s4, s33
	s_mul_hi_u32 s5, s7, s33
	s_add_i32 s5, s5, s4
	s_mul_i32 s4, s7, s33
	s_lshl_b64 s[4:5], s[4:5], 4
	s_waitcnt lgkmcnt(0)
	s_add_u32 s4, s2, s4
	s_addc_u32 s5, s3, s5
	s_mul_hi_i32 s3, s40, s6
	s_mul_i32 s2, s40, s6
	s_lshl_b64 s[2:3], s[2:3], 4
	s_add_u32 s7, s4, s2
	s_addc_u32 s19, s5, s3
	s_add_i32 s8, s6, 1
	s_cmp_ge_u32 s8, s33
	v_lshlrev_b32_e32 v211, 4, v168
	s_barrier
	s_cbranch_scc1 .LBB22_184
; %bb.127:
	s_mul_i32 s2, s22, s39
	s_ashr_i32 s3, s2, 31
	s_lshl_b64 s[2:3], s[2:3], 4
	v_and_b32_e32 v8, 48, v168
	v_lshlrev_b32_e32 v212, 2, v209
	v_mov_b32_e32 v4, s3
	v_subrev_co_u32_e32 v213, vcc, s2, v36
	v_and_b32_e32 v6, 15, v168
	v_lshlrev_b32_e32 v9, 4, v8
	s_movk_i32 s4, 0x430
	v_subb_co_u32_e32 v214, vcc, v37, v4, vcc
	v_lshrrev_b32_e32 v7, 4, v42
	v_mad_u64_u32 v[4:5], s[2:3], v212, s24, v[168:169]
	v_mad_u32_u24 v217, v6, s4, v9
	v_or_b32_e32 v9, 0xf0, v211
	v_ashrrev_i32_e32 v5, 31, v4
	v_mad_u32_u24 v218, v6, s4, v9
	v_lshlrev_b32_e32 v9, 6, v7
	v_mul_i32_i24_e32 v10, 0xffffffd0, v7
	v_add_u32_e32 v7, s22, v8
	v_sub_co_u32_e32 v237, vcc, 0, v38
	v_mad_u32_u24 v219, v6, s4, v9
	v_mov_b32_e32 v9, 0x4300
	v_add3_u32 v170, v7, v6, 64
	v_subb_co_u32_e32 v238, vcc, 0, v39, vcc
	v_lshlrev_b64 v[6:7], 4, v[4:5]
	v_lshl_add_u32 v223, v209, 6, v9
	v_mov_b32_e32 v8, s27
	v_add_co_u32_e32 v9, vcc, s26, v6
	v_addc_co_u32_e32 v8, vcc, v8, v7, vcc
	v_add_co_u32_e32 v9, vcc, v9, v40
	v_addc_co_u32_e32 v8, vcc, v8, v41, vcc
	;; [unrolled: 2-line block ×3, first 2 shown]
	v_mov_b32_e32 v8, s29
	v_add_co_u32_e32 v4, vcc, s28, v4
	v_addc_co_u32_e32 v5, vcc, v8, v5, vcc
	s_lshl_b32 s14, s24, 4
	s_mul_i32 s34, s24, 3
	v_lshlrev_b64 v[4:5], 4, v[4:5]
	s_lshl_b32 s31, s39, 6
	s_ashr_i32 s35, s34, 31
	s_mul_i32 s39, s39, s8
	v_mad_i64_i32 v[8:9], s[8:9], s14, 48, v[4:5]
	s_lshl_b64 s[8:9], s[34:35], 4
	s_ashr_i32 s15, s14, 31
	s_ashr_i32 s25, s24, 31
	s_lshl_b32 s16, s24, 1
	s_movk_i32 s4, 0x10c0
	v_mov_b32_e32 v11, s9
	v_add_co_u32_e32 v12, vcc, s8, v8
	s_add_i32 s30, s33, -2
	s_ashr_i32 s17, s16, 31
	v_mad_u32_u24 v224, v209, s4, v211
	s_lshl_b64 s[4:5], s[24:25], 4
	s_lshl_b32 s10, s39, 6
	s_lshl_b64 s[12:13], s[14:15], 6
	v_addc_co_u32_e32 v11, vcc, v9, v11, vcc
	s_lshl_b64 s[22:23], s[24:25], 5
	s_mul_i32 s11, s24, 0x300
	v_add_co_u32_e32 v174, vcc, v40, v12
	s_add_u32 s24, s22, s26
	v_addc_co_u32_e32 v169, vcc, v41, v11, vcc
	s_addc_u32 s25, s23, s27
	v_mov_b32_e32 v11, s25
	v_add_co_u32_e32 v12, vcc, s24, v6
	v_addc_co_u32_e32 v11, vcc, v11, v7, vcc
	s_mul_hi_i32 s36, s14, 48
	v_add_co_u32_e32 v176, vcc, v40, v12
	s_add_u32 s11, s11, s22
	v_addc_co_u32_e32 v173, vcc, v41, v11, vcc
	s_addc_u32 s22, s36, s23
	v_mov_b32_e32 v11, s22
	v_add_co_u32_e32 v4, vcc, s11, v4
	v_addc_co_u32_e32 v5, vcc, v11, v5, vcc
	v_add_co_u32_e32 v4, vcc, v4, v40
	v_addc_co_u32_e32 v5, vcc, v5, v41, vcc
	v_add_co_u32_e32 v178, vcc, 8, v4
	s_add_u32 s11, s4, s26
	v_addc_co_u32_e32 v175, vcc, 0, v5, vcc
	s_addc_u32 s28, s5, s27
	v_mov_b32_e32 v4, s28
	v_add_co_u32_e32 v5, vcc, s11, v6
	v_addc_co_u32_e32 v4, vcc, v4, v7, vcc
	v_add_co_u32_e32 v5, vcc, v5, v40
	v_addc_co_u32_e32 v4, vcc, v4, v41, vcc
	;; [unrolled: 2-line block ×3, first 2 shown]
	s_lshl_b64 s[16:17], s[16:17], 4
	v_mov_b32_e32 v4, s17
	v_add_co_u32_e32 v5, vcc, s16, v8
	v_addc_co_u32_e32 v4, vcc, v9, v4, vcc
	v_add_co_u32_e32 v182, vcc, v40, v5
	s_add_u32 s22, s26, s16
	v_addc_co_u32_e32 v179, vcc, v41, v4, vcc
	s_addc_u32 s23, s27, s17
	v_mov_b32_e32 v4, s23
	v_add_co_u32_e32 v5, vcc, s22, v6
	v_addc_co_u32_e32 v4, vcc, v4, v7, vcc
	v_add_co_u32_e32 v5, vcc, v5, v40
	v_addc_co_u32_e32 v4, vcc, v4, v41, vcc
	;; [unrolled: 2-line block ×3, first 2 shown]
	v_mov_b32_e32 v4, s5
	v_add_co_u32_e32 v5, vcc, s4, v8
	v_addc_co_u32_e32 v4, vcc, v9, v4, vcc
	v_add_co_u32_e32 v186, vcc, v40, v5
	s_add_u32 s22, s26, s8
	v_addc_co_u32_e32 v183, vcc, v41, v4, vcc
	s_addc_u32 s23, s27, s9
	v_mov_b32_e32 v4, s23
	v_add_co_u32_e32 v5, vcc, s22, v6
	v_addc_co_u32_e32 v4, vcc, v4, v7, vcc
	v_add_co_u32_e32 v5, vcc, v5, v40
	v_addc_co_u32_e32 v4, vcc, v4, v41, vcc
	;; [unrolled: 2-line block ×3, first 2 shown]
	s_lshl_b64 s[22:23], s[14:15], 4
	v_add_co_u32_e32 v190, vcc, v40, v8
	s_add_u32 s29, s26, s22
	v_addc_co_u32_e32 v187, vcc, v41, v9, vcc
	s_addc_u32 s34, s27, s23
	v_mov_b32_e32 v4, s34
	v_add_co_u32_e32 v5, vcc, s29, v6
	v_addc_co_u32_e32 v4, vcc, v4, v7, vcc
	s_lshl_b64 s[14:15], s[14:15], 5
	v_add_co_u32_e32 v5, vcc, v5, v40
	s_add_u32 s26, s14, s26
	v_addc_co_u32_e32 v4, vcc, v4, v41, vcc
	s_addc_u32 s27, s15, s27
	v_add_co_u32_e32 v192, vcc, 8, v5
	s_add_u32 s35, s26, s8
	v_addc_co_u32_e32 v189, vcc, 0, v4, vcc
	s_addc_u32 s36, s27, s9
	v_mov_b32_e32 v4, s36
	v_add_co_u32_e32 v5, vcc, s35, v6
	v_addc_co_u32_e32 v4, vcc, v4, v7, vcc
	v_add_co_u32_e32 v194, vcc, v40, v5
	s_add_u32 s11, s11, s22
	v_addc_co_u32_e32 v191, vcc, v41, v4, vcc
	s_addc_u32 s28, s28, s23
	v_mov_b32_e32 v4, s28
	v_add_co_u32_e32 v5, vcc, s11, v6
	v_addc_co_u32_e32 v4, vcc, v4, v7, vcc
	v_add_co_u32_e32 v5, vcc, v5, v40
	v_addc_co_u32_e32 v4, vcc, v4, v41, vcc
	v_add_co_u32_e32 v196, vcc, 8, v5
	s_add_u32 s11, s24, s14
	v_addc_co_u32_e32 v193, vcc, 0, v4, vcc
	s_addc_u32 s14, s25, s15
	v_mov_b32_e32 v4, s14
	v_add_co_u32_e32 v5, vcc, s11, v6
	v_addc_co_u32_e32 v4, vcc, v4, v7, vcc
	;; [unrolled: 9-line block ×4, first 2 shown]
	v_add_co_u32_e32 v202, vcc, v40, v5
	s_add_u32 s11, s24, s22
	v_addc_co_u32_e32 v199, vcc, v41, v4, vcc
	s_addc_u32 s14, s25, s23
	v_mov_b32_e32 v4, s14
	v_add_co_u32_e32 v5, vcc, s11, v6
	v_addc_co_u32_e32 v4, vcc, v4, v7, vcc
	v_add_co_u32_e32 v204, vcc, v40, v5
	s_add_u32 s4, s26, s4
	v_addc_co_u32_e32 v201, vcc, v41, v4, vcc
	s_addc_u32 s5, s27, s5
	v_mov_b32_e32 v4, s5
	v_add_co_u32_e32 v5, vcc, s4, v6
	v_addc_co_u32_e32 v4, vcc, v4, v7, vcc
	;; [unrolled: 7-line block ×3, first 2 shown]
	v_add_co_u32_e32 v5, vcc, v5, v40
	v_addc_co_u32_e32 v4, vcc, v4, v41, vcc
	v_add_co_u32_e32 v208, vcc, 8, v5
	v_addc_co_u32_e32 v205, vcc, 0, v4, vcc
	v_mov_b32_e32 v4, s27
	v_add_co_u32_e32 v5, vcc, s26, v6
	v_addc_co_u32_e32 v4, vcc, v4, v7, vcc
	v_add_co_u32_e32 v5, vcc, v5, v40
	v_addc_co_u32_e32 v4, vcc, v4, v41, vcc
	v_add_co_u32_e32 v210, vcc, 8, v5
	v_add_u32_e32 v215, 0x4300, v211
	v_add_u32_e32 v216, 0x4700, v211
	v_cmp_gt_u32_e64 s[2:3], 64, v42
	v_or_b32_e32 v220, 1, v212
	v_or_b32_e32 v221, 2, v212
	v_or_b32_e32 v222, 3, v212
	v_add_u32_e32 v225, 16, v212
	v_add_u32_e32 v226, 17, v212
	;; [unrolled: 1-line block ×12, first 2 shown]
	v_addc_co_u32_e32 v207, vcc, 0, v4, vcc
	v_add_u32_e32 v239, v219, v10
	v_mov_b32_e32 v4, 0
	s_cmp_eq_u32 s30, s6
	s_cselect_b32 s24, s38, 0
	s_and_saveexec_b64 s[4:5], s[0:1]
	s_cbranch_execz .LBB22_132
.LBB22_128:
	s_cmp_lg_u32 s24, 0
	s_cselect_b64 s[8:9], -1, 0
	v_cmp_le_i32_e32 vcc, s24, v168
	s_and_b64 s[8:9], s[8:9], vcc
	s_and_saveexec_b64 s[14:15], s[8:9]
	s_xor_b64 s[8:9], exec, s[14:15]
	s_cbranch_execz .LBB22_130
; %bb.129:
	v_mov_b32_e32 v5, v4
	v_mov_b32_e32 v6, v4
	;; [unrolled: 1-line block ×3, first 2 shown]
	ds_write_b128 v215, v[4:7]
.LBB22_130:
	s_andn2_saveexec_b64 s[8:9], s[8:9]
	s_cbranch_execz .LBB22_132
; %bb.131:
	s_ashr_i32 s11, s10, 31
	s_lshl_b64 s[8:9], s[10:11], 4
	v_mov_b32_e32 v5, s9
	v_add_co_u32_e32 v6, vcc, s8, v213
	v_addc_co_u32_e32 v7, vcc, v214, v5, vcc
	global_load_dwordx4 v[6:9], v[6:7], off
	s_waitcnt vmcnt(0)
	ds_write2_b64 v215, v[6:7], v[8:9] offset1:1
.LBB22_132:                             ; =>This Inner Loop Header: Depth=1
	s_or_b64 exec, exec, s[4:5]
	s_cmp_eq_u32 s24, 0
	v_add_co_u32_e32 v18, vcc, v172, v237
	s_cselect_b64 s[14:15], -1, 0
	s_cmp_lg_u32 s24, 0
	v_addc_co_u32_e32 v19, vcc, v167, v238, vcc
	s_cselect_b64 s[8:9], -1, 0
	s_and_b64 vcc, exec, s[8:9]
	s_waitcnt lgkmcnt(0)
	s_barrier
	s_cbranch_vccz .LBB22_140
; %bb.133:                              ;   in Loop: Header=BB22_132 Depth=1
	v_pk_mov_b32 v[10:11], 0, 0
	v_cmp_gt_i32_e32 vcc, s24, v212
	v_pk_mov_b32 v[6:7], v[10:11], v[10:11] op_sel:[0,1]
	v_pk_mov_b32 v[8:9], v[10:11], v[10:11] op_sel:[0,1]
	s_and_saveexec_b64 s[4:5], vcc
	s_cbranch_execz .LBB22_135
; %bb.134:                              ;   in Loop: Header=BB22_132 Depth=1
	global_load_dwordx4 v[6:9], v[18:19], off offset:-8
.LBB22_135:                             ;   in Loop: Header=BB22_132 Depth=1
	s_or_b64 exec, exec, s[4:5]
	v_cmp_gt_i32_e32 vcc, s24, v220
	v_pk_mov_b32 v[12:13], v[10:11], v[10:11] op_sel:[0,1]
	s_and_saveexec_b64 s[4:5], vcc
	s_cbranch_execz .LBB22_137
; %bb.136:                              ;   in Loop: Header=BB22_132 Depth=1
	v_add_co_u32_e32 v10, vcc, v180, v237
	v_addc_co_u32_e32 v11, vcc, v177, v238, vcc
	global_load_dwordx4 v[10:13], v[10:11], off offset:-8
.LBB22_137:                             ;   in Loop: Header=BB22_132 Depth=1
	s_or_b64 exec, exec, s[4:5]
	v_pk_mov_b32 v[14:15], 0, 0
	v_cmp_gt_i32_e32 vcc, s24, v221
	s_mov_b64 s[22:23], 0
	v_pk_mov_b32 v[16:17], v[14:15], v[14:15] op_sel:[0,1]
	s_and_saveexec_b64 s[4:5], vcc
	s_cbranch_execz .LBB22_139
; %bb.138:                              ;   in Loop: Header=BB22_132 Depth=1
	v_add_co_u32_e32 v14, vcc, v184, v237
	v_addc_co_u32_e32 v15, vcc, v181, v238, vcc
	global_load_dwordx4 v[14:17], v[14:15], off offset:-8
.LBB22_139:                             ;   in Loop: Header=BB22_132 Depth=1
	s_or_b64 exec, exec, s[4:5]
	v_cmp_gt_i32_e64 s[4:5], s24, v222
	s_mov_b64 s[16:17], 0
	s_and_b64 vcc, exec, s[22:23]
	s_cbranch_vccnz .LBB22_141
	s_branch .LBB22_142
.LBB22_140:                             ;   in Loop: Header=BB22_132 Depth=1
	s_mov_b64 s[4:5], 0
                                        ; implicit-def: $sgpr16_sgpr17
                                        ; implicit-def: $vgpr16_vgpr17
                                        ; implicit-def: $vgpr12_vgpr13
                                        ; implicit-def: $vgpr8_vgpr9
	s_cbranch_execz .LBB22_142
.LBB22_141:                             ;   in Loop: Header=BB22_132 Depth=1
	s_waitcnt vmcnt(0)
	v_add_co_u32_e32 v10, vcc, v180, v237
	v_addc_co_u32_e32 v11, vcc, v177, v238, vcc
	v_add_co_u32_e32 v14, vcc, v176, v237
	v_addc_co_u32_e32 v15, vcc, v173, v238, vcc
	global_load_dwordx4 v[6:9], v[18:19], off offset:-8
	s_or_b64 s[4:5], s[4:5], exec
	global_load_dwordx4 v[10:13], v[10:11], off offset:-8
                                        ; implicit-def: $sgpr16_sgpr17
	s_nop 0
	global_load_dwordx4 v[14:17], v[14:15], off
.LBB22_142:                             ;   in Loop: Header=BB22_132 Depth=1
	v_pk_mov_b32 v[18:19], s[16:17], s[16:17] op_sel:[0,1]
	v_pk_mov_b32 v[20:21], s[16:17], s[16:17] op_sel:[0,1]
	s_and_saveexec_b64 s[16:17], s[4:5]
	s_cbranch_execz .LBB22_144
; %bb.143:                              ;   in Loop: Header=BB22_132 Depth=1
	v_add_co_u32_e32 v18, vcc, v188, v237
	v_addc_co_u32_e32 v19, vcc, v185, v238, vcc
	global_load_dwordx4 v[18:21], v[18:19], off offset:-8
.LBB22_144:                             ;   in Loop: Header=BB22_132 Depth=1
	s_or_b64 exec, exec, s[16:17]
	ds_read_b128 v[34:37], v216
	ds_read_b128 v[22:25], v223
	v_cndmask_b32_e64 v5, 0, 1, s[8:9]
	s_andn2_b64 vcc, exec, s[8:9]
	v_add_co_u32_e64 v50, s[8:9], v192, v237
	s_waitcnt vmcnt(0) lgkmcnt(1)
	v_mul_f64 v[26:27], v[8:9], v[36:37]
	v_mul_f64 v[28:29], v[8:9], v[34:35]
	;; [unrolled: 1-line block ×3, first 2 shown]
	v_fmac_f64_e32 v[26:27], v[6:7], v[34:35]
	v_fma_f64 v[28:29], v[6:7], v[36:37], -v[28:29]
	v_mul_f64 v[32:33], v[12:13], v[34:35]
	ds_write_b128 v224, v[26:29]
	v_fmac_f64_e32 v[30:31], v[10:11], v[34:35]
	v_fma_f64 v[32:33], v[10:11], v[36:37], -v[32:33]
	v_mul_f64 v[38:39], v[16:17], v[36:37]
	v_mul_f64 v[40:41], v[16:17], v[34:35]
	;; [unrolled: 1-line block ×3, first 2 shown]
	ds_read_b128 v[26:29], v223 offset:16
	ds_write_b128 v224, v[30:33] offset:1072
	v_fmac_f64_e32 v[38:39], v[14:15], v[34:35]
	v_fma_f64 v[40:41], v[14:15], v[36:37], -v[40:41]
	v_fmac_f64_e32 v[42:43], v[18:19], v[34:35]
	v_mul_f64 v[34:35], v[20:21], v[34:35]
	ds_read_b128 v[30:33], v223 offset:32
	ds_write_b128 v224, v[38:41] offset:2144
	v_fma_f64 v[44:45], v[18:19], v[36:37], -v[34:35]
	ds_read_b128 v[38:41], v223 offset:48
	ds_write_b128 v224, v[42:45] offset:3216
	s_waitcnt lgkmcnt(0)
	s_barrier
	ds_read_b128 v[94:97], v219
	ds_read_b128 v[90:93], v219 offset:16
	ds_read_b128 v[86:89], v219 offset:32
	;; [unrolled: 1-line block ×3, first 2 shown]
	v_cmp_ne_u32_e64 s[4:5], 1, v5
	v_addc_co_u32_e64 v51, s[8:9], v189, v238, s[8:9]
	s_waitcnt lgkmcnt(0)
	s_barrier
	s_cbranch_vccnz .LBB22_152
; %bb.145:                              ;   in Loop: Header=BB22_132 Depth=1
	v_pk_mov_b32 v[42:43], 0, 0
	v_cmp_gt_i32_e32 vcc, s24, v225
	v_pk_mov_b32 v[34:35], v[42:43], v[42:43] op_sel:[0,1]
	v_pk_mov_b32 v[36:37], v[42:43], v[42:43] op_sel:[0,1]
	s_and_saveexec_b64 s[8:9], vcc
	s_cbranch_execz .LBB22_147
; %bb.146:                              ;   in Loop: Header=BB22_132 Depth=1
	global_load_dwordx4 v[34:37], v[50:51], off offset:-8
.LBB22_147:                             ;   in Loop: Header=BB22_132 Depth=1
	s_or_b64 exec, exec, s[8:9]
	v_cmp_gt_i32_e32 vcc, s24, v226
	v_pk_mov_b32 v[44:45], v[42:43], v[42:43] op_sel:[0,1]
	s_and_saveexec_b64 s[8:9], vcc
	s_cbranch_execz .LBB22_149
; %bb.148:                              ;   in Loop: Header=BB22_132 Depth=1
	v_add_co_u32_e32 v42, vcc, v196, v237
	v_addc_co_u32_e32 v43, vcc, v193, v238, vcc
	global_load_dwordx4 v[42:45], v[42:43], off offset:-8
.LBB22_149:                             ;   in Loop: Header=BB22_132 Depth=1
	s_or_b64 exec, exec, s[8:9]
	v_pk_mov_b32 v[46:47], 0, 0
	v_cmp_gt_i32_e32 vcc, s24, v227
	s_mov_b64 s[22:23], 0
	v_pk_mov_b32 v[48:49], v[46:47], v[46:47] op_sel:[0,1]
	s_and_saveexec_b64 s[8:9], vcc
	s_cbranch_execz .LBB22_151
; %bb.150:                              ;   in Loop: Header=BB22_132 Depth=1
	v_add_co_u32_e32 v46, vcc, v200, v237
	v_addc_co_u32_e32 v47, vcc, v197, v238, vcc
	global_load_dwordx4 v[46:49], v[46:47], off offset:-8
.LBB22_151:                             ;   in Loop: Header=BB22_132 Depth=1
	s_or_b64 exec, exec, s[8:9]
	v_cmp_gt_i32_e64 s[8:9], s24, v228
	s_mov_b64 s[16:17], 0
	s_and_b64 vcc, exec, s[22:23]
	s_cbranch_vccnz .LBB22_153
	s_branch .LBB22_154
.LBB22_152:                             ;   in Loop: Header=BB22_132 Depth=1
	s_mov_b64 s[8:9], 0
                                        ; implicit-def: $sgpr16_sgpr17
                                        ; implicit-def: $vgpr48_vgpr49
                                        ; implicit-def: $vgpr44_vgpr45
                                        ; implicit-def: $vgpr36_vgpr37
	s_cbranch_execz .LBB22_154
.LBB22_153:                             ;   in Loop: Header=BB22_132 Depth=1
	s_waitcnt vmcnt(0)
	v_add_co_u32_e32 v42, vcc, v196, v237
	v_addc_co_u32_e32 v43, vcc, v193, v238, vcc
	v_add_co_u32_e32 v46, vcc, v204, v237
	v_addc_co_u32_e32 v47, vcc, v201, v238, vcc
	global_load_dwordx4 v[34:37], v[50:51], off offset:-8
	s_or_b64 s[8:9], s[8:9], exec
	global_load_dwordx4 v[42:45], v[42:43], off offset:-8
                                        ; implicit-def: $sgpr16_sgpr17
	s_nop 0
	global_load_dwordx4 v[46:49], v[46:47], off
.LBB22_154:                             ;   in Loop: Header=BB22_132 Depth=1
	v_pk_mov_b32 v[50:51], s[16:17], s[16:17] op_sel:[0,1]
	v_pk_mov_b32 v[52:53], s[16:17], s[16:17] op_sel:[0,1]
	s_and_saveexec_b64 s[16:17], s[8:9]
	s_cbranch_execz .LBB22_156
; %bb.155:                              ;   in Loop: Header=BB22_132 Depth=1
	v_add_co_u32_e32 v50, vcc, v208, v237
	v_addc_co_u32_e32 v51, vcc, v205, v238, vcc
	global_load_dwordx4 v[50:53], v[50:51], off offset:-8
.LBB22_156:                             ;   in Loop: Header=BB22_132 Depth=1
	s_or_b64 exec, exec, s[16:17]
	ds_read_b128 v[66:69], v216
	ds_read_b128 v[54:57], v223 offset:256
	v_add_co_u32_e64 v98, s[8:9], v210, v237
	s_and_b64 vcc, exec, s[4:5]
	s_waitcnt vmcnt(0) lgkmcnt(1)
	v_mul_f64 v[58:59], v[36:37], v[68:69]
	v_mul_f64 v[60:61], v[36:37], v[66:67]
	;; [unrolled: 1-line block ×3, first 2 shown]
	v_fmac_f64_e32 v[58:59], v[34:35], v[66:67]
	v_fma_f64 v[60:61], v[34:35], v[68:69], -v[60:61]
	v_mul_f64 v[64:65], v[44:45], v[66:67]
	ds_write_b128 v224, v[58:61]
	v_fmac_f64_e32 v[62:63], v[42:43], v[66:67]
	v_fma_f64 v[64:65], v[42:43], v[68:69], -v[64:65]
	v_mul_f64 v[70:71], v[48:49], v[68:69]
	v_mul_f64 v[72:73], v[48:49], v[66:67]
	;; [unrolled: 1-line block ×3, first 2 shown]
	ds_read_b128 v[58:61], v223 offset:272
	ds_write_b128 v224, v[62:65] offset:1072
	v_fmac_f64_e32 v[70:71], v[46:47], v[66:67]
	v_fma_f64 v[72:73], v[46:47], v[68:69], -v[72:73]
	v_fmac_f64_e32 v[74:75], v[50:51], v[66:67]
	v_mul_f64 v[66:67], v[52:53], v[66:67]
	ds_read_b128 v[62:65], v223 offset:288
	ds_write_b128 v224, v[70:73] offset:2144
	v_fma_f64 v[76:77], v[50:51], v[68:69], -v[66:67]
	ds_read_b128 v[70:73], v223 offset:304
	ds_write_b128 v224, v[74:77] offset:3216
	s_waitcnt lgkmcnt(0)
	s_barrier
	ds_read_b128 v[146:149], v219
	ds_read_b128 v[142:145], v219 offset:16
	ds_read_b128 v[138:141], v219 offset:32
	;; [unrolled: 1-line block ×3, first 2 shown]
	v_addc_co_u32_e64 v99, s[8:9], v207, v238, s[8:9]
	s_waitcnt lgkmcnt(0)
	s_barrier
	s_cbranch_vccnz .LBB22_164
; %bb.157:                              ;   in Loop: Header=BB22_132 Depth=1
	v_pk_mov_b32 v[74:75], 0, 0
	v_cmp_gt_i32_e32 vcc, s24, v229
	v_pk_mov_b32 v[66:67], v[74:75], v[74:75] op_sel:[0,1]
	v_pk_mov_b32 v[68:69], v[74:75], v[74:75] op_sel:[0,1]
	s_and_saveexec_b64 s[8:9], vcc
	s_cbranch_execz .LBB22_159
; %bb.158:                              ;   in Loop: Header=BB22_132 Depth=1
	global_load_dwordx4 v[66:69], v[98:99], off offset:-8
.LBB22_159:                             ;   in Loop: Header=BB22_132 Depth=1
	s_or_b64 exec, exec, s[8:9]
	v_cmp_gt_i32_e32 vcc, s24, v230
	v_pk_mov_b32 v[76:77], v[74:75], v[74:75] op_sel:[0,1]
	s_and_saveexec_b64 s[8:9], vcc
	s_cbranch_execz .LBB22_161
; %bb.160:                              ;   in Loop: Header=BB22_132 Depth=1
	v_add_co_u32_e32 v74, vcc, v206, v237
	v_addc_co_u32_e32 v75, vcc, v203, v238, vcc
	global_load_dwordx4 v[74:77], v[74:75], off
.LBB22_161:                             ;   in Loop: Header=BB22_132 Depth=1
	s_or_b64 exec, exec, s[8:9]
	v_pk_mov_b32 v[78:79], 0, 0
	v_cmp_gt_i32_e32 vcc, s24, v231
	s_mov_b64 s[22:23], 0
	v_pk_mov_b32 v[80:81], v[78:79], v[78:79] op_sel:[0,1]
	s_and_saveexec_b64 s[8:9], vcc
	s_cbranch_execz .LBB22_163
; %bb.162:                              ;   in Loop: Header=BB22_132 Depth=1
	v_add_co_u32_e32 v78, vcc, v202, v237
	v_addc_co_u32_e32 v79, vcc, v199, v238, vcc
	global_load_dwordx4 v[78:81], v[78:79], off
.LBB22_163:                             ;   in Loop: Header=BB22_132 Depth=1
	s_or_b64 exec, exec, s[8:9]
	v_cmp_gt_i32_e64 s[8:9], s24, v232
	s_mov_b64 s[16:17], 0
	s_and_b64 vcc, exec, s[22:23]
	s_cbranch_vccnz .LBB22_165
	s_branch .LBB22_166
.LBB22_164:                             ;   in Loop: Header=BB22_132 Depth=1
	s_mov_b64 s[8:9], 0
                                        ; implicit-def: $sgpr16_sgpr17
                                        ; implicit-def: $vgpr80_vgpr81
                                        ; implicit-def: $vgpr76_vgpr77
                                        ; implicit-def: $vgpr68_vgpr69
	s_cbranch_execz .LBB22_166
.LBB22_165:                             ;   in Loop: Header=BB22_132 Depth=1
	s_waitcnt vmcnt(0)
	v_add_co_u32_e32 v74, vcc, v206, v237
	v_addc_co_u32_e32 v75, vcc, v203, v238, vcc
	v_add_co_u32_e32 v78, vcc, v198, v237
	v_addc_co_u32_e32 v79, vcc, v195, v238, vcc
	global_load_dwordx4 v[66:69], v[98:99], off offset:-8
	s_or_b64 s[8:9], s[8:9], exec
	global_load_dwordx4 v[74:77], v[74:75], off
                                        ; implicit-def: $sgpr16_sgpr17
	s_nop 0
	global_load_dwordx4 v[78:81], v[78:79], off offset:-8
.LBB22_166:                             ;   in Loop: Header=BB22_132 Depth=1
	v_pk_mov_b32 v[98:99], s[16:17], s[16:17] op_sel:[0,1]
	v_pk_mov_b32 v[100:101], s[16:17], s[16:17] op_sel:[0,1]
	s_and_saveexec_b64 s[16:17], s[8:9]
	s_cbranch_execz .LBB22_168
; %bb.167:                              ;   in Loop: Header=BB22_132 Depth=1
	v_add_co_u32_e32 v98, vcc, v194, v237
	v_addc_co_u32_e32 v99, vcc, v191, v238, vcc
	global_load_dwordx4 v[98:101], v[98:99], off
.LBB22_168:                             ;   in Loop: Header=BB22_132 Depth=1
	s_or_b64 exec, exec, s[16:17]
	ds_read_b128 v[114:117], v216
	ds_read_b128 v[102:105], v223 offset:512
	s_and_b64 vcc, exec, s[4:5]
	v_add_co_u32_e64 v130, s[4:5], v190, v237
	s_waitcnt vmcnt(0) lgkmcnt(1)
	v_mul_f64 v[106:107], v[68:69], v[116:117]
	v_mul_f64 v[108:109], v[68:69], v[114:115]
	;; [unrolled: 1-line block ×3, first 2 shown]
	v_fmac_f64_e32 v[106:107], v[66:67], v[114:115]
	v_fma_f64 v[108:109], v[66:67], v[116:117], -v[108:109]
	v_mul_f64 v[112:113], v[76:77], v[114:115]
	ds_write_b128 v224, v[106:109]
	v_fmac_f64_e32 v[110:111], v[74:75], v[114:115]
	v_fma_f64 v[112:113], v[74:75], v[116:117], -v[112:113]
	v_mul_f64 v[118:119], v[80:81], v[116:117]
	v_mul_f64 v[120:121], v[80:81], v[114:115]
	;; [unrolled: 1-line block ×3, first 2 shown]
	ds_read_b128 v[106:109], v223 offset:528
	ds_write_b128 v224, v[110:113] offset:1072
	v_fmac_f64_e32 v[118:119], v[78:79], v[114:115]
	v_fma_f64 v[120:121], v[78:79], v[116:117], -v[120:121]
	v_fmac_f64_e32 v[122:123], v[98:99], v[114:115]
	v_mul_f64 v[114:115], v[100:101], v[114:115]
	ds_read_b128 v[110:113], v223 offset:544
	ds_write_b128 v224, v[118:121] offset:2144
	v_fma_f64 v[124:125], v[98:99], v[116:117], -v[114:115]
	ds_read_b128 v[118:121], v223 offset:560
	ds_write_b128 v224, v[122:125] offset:3216
	s_waitcnt lgkmcnt(0)
	s_barrier
	ds_read_b128 v[162:165], v219
	ds_read_b128 v[158:161], v219 offset:16
	ds_read_b128 v[154:157], v219 offset:32
	;; [unrolled: 1-line block ×3, first 2 shown]
	v_addc_co_u32_e64 v131, s[4:5], v187, v238, s[4:5]
	s_waitcnt lgkmcnt(0)
	s_barrier
	s_cbranch_vccnz .LBB22_176
; %bb.169:                              ;   in Loop: Header=BB22_132 Depth=1
	v_pk_mov_b32 v[122:123], 0, 0
	v_cmp_gt_i32_e32 vcc, s24, v233
	v_pk_mov_b32 v[114:115], v[122:123], v[122:123] op_sel:[0,1]
	v_pk_mov_b32 v[116:117], v[122:123], v[122:123] op_sel:[0,1]
	s_and_saveexec_b64 s[4:5], vcc
	s_cbranch_execz .LBB22_171
; %bb.170:                              ;   in Loop: Header=BB22_132 Depth=1
	global_load_dwordx4 v[114:117], v[130:131], off
.LBB22_171:                             ;   in Loop: Header=BB22_132 Depth=1
	s_or_b64 exec, exec, s[4:5]
	v_cmp_gt_i32_e32 vcc, s24, v234
	v_pk_mov_b32 v[124:125], v[122:123], v[122:123] op_sel:[0,1]
	s_and_saveexec_b64 s[4:5], vcc
	s_cbranch_execz .LBB22_173
; %bb.172:                              ;   in Loop: Header=BB22_132 Depth=1
	v_add_co_u32_e32 v122, vcc, v186, v237
	v_addc_co_u32_e32 v123, vcc, v183, v238, vcc
	global_load_dwordx4 v[122:125], v[122:123], off
.LBB22_173:                             ;   in Loop: Header=BB22_132 Depth=1
	s_or_b64 exec, exec, s[4:5]
	v_pk_mov_b32 v[126:127], 0, 0
	v_cmp_gt_i32_e32 vcc, s24, v235
	s_mov_b64 s[16:17], 0
	v_pk_mov_b32 v[128:129], v[126:127], v[126:127] op_sel:[0,1]
	s_and_saveexec_b64 s[4:5], vcc
	s_cbranch_execz .LBB22_175
; %bb.174:                              ;   in Loop: Header=BB22_132 Depth=1
	v_add_co_u32_e32 v126, vcc, v182, v237
	v_addc_co_u32_e32 v127, vcc, v179, v238, vcc
	global_load_dwordx4 v[126:129], v[126:127], off
.LBB22_175:                             ;   in Loop: Header=BB22_132 Depth=1
	s_or_b64 exec, exec, s[4:5]
	v_cmp_gt_i32_e64 s[4:5], s24, v236
	s_mov_b64 s[8:9], 0
	s_and_b64 vcc, exec, s[16:17]
	s_cbranch_vccnz .LBB22_177
	s_branch .LBB22_178
.LBB22_176:                             ;   in Loop: Header=BB22_132 Depth=1
	s_mov_b64 s[4:5], 0
                                        ; implicit-def: $sgpr8_sgpr9
                                        ; implicit-def: $vgpr128_vgpr129
                                        ; implicit-def: $vgpr124_vgpr125
                                        ; implicit-def: $vgpr116_vgpr117
	s_cbranch_execz .LBB22_178
.LBB22_177:                             ;   in Loop: Header=BB22_132 Depth=1
	s_waitcnt vmcnt(0)
	v_add_co_u32_e32 v122, vcc, v186, v237
	v_addc_co_u32_e32 v123, vcc, v183, v238, vcc
	v_add_co_u32_e32 v126, vcc, v178, v237
	v_addc_co_u32_e32 v127, vcc, v175, v238, vcc
	global_load_dwordx4 v[114:117], v[130:131], off
	s_or_b64 s[4:5], s[4:5], exec
	global_load_dwordx4 v[122:125], v[122:123], off
                                        ; implicit-def: $sgpr8_sgpr9
	s_nop 0
	global_load_dwordx4 v[126:129], v[126:127], off offset:-8
.LBB22_178:                             ;   in Loop: Header=BB22_132 Depth=1
	v_pk_mov_b32 v[130:131], s[8:9], s[8:9] op_sel:[0,1]
	v_pk_mov_b32 v[132:133], s[8:9], s[8:9] op_sel:[0,1]
	s_and_saveexec_b64 s[8:9], s[4:5]
	s_cbranch_execz .LBB22_180
; %bb.179:                              ;   in Loop: Header=BB22_132 Depth=1
	v_add_co_u32_e32 v130, vcc, v174, v237
	v_addc_co_u32_e32 v131, vcc, v169, v238, vcc
	global_load_dwordx4 v[130:133], v[130:131], off
.LBB22_180:                             ;   in Loop: Header=BB22_132 Depth=1
	s_or_b64 exec, exec, s[8:9]
	v_add_f64 v[146:147], v[146:147], 0
	v_add_f64 v[148:149], v[148:149], 0
	v_add_f64 v[142:143], v[146:147], v[142:143]
	v_add_f64 v[144:145], v[148:149], v[144:145]
	v_add_f64 v[138:139], v[142:143], v[138:139]
	v_add_f64 v[140:141], v[144:145], v[140:141]
	ds_read_b128 v[142:145], v216
	v_add_f64 v[162:163], v[162:163], 0
	v_add_f64 v[94:95], v[94:95], 0
	;; [unrolled: 1-line block ×11, first 2 shown]
	ds_read_b128 v[86:89], v223 offset:768
	s_waitcnt vmcnt(0) lgkmcnt(1)
	v_mul_f64 v[90:91], v[116:117], v[144:145]
	v_mul_f64 v[92:93], v[116:117], v[142:143]
	v_fmac_f64_e32 v[90:91], v[114:115], v[142:143]
	v_fma_f64 v[92:93], v[114:115], v[144:145], -v[92:93]
	v_mul_f64 v[94:95], v[124:125], v[144:145]
	v_mul_f64 v[96:97], v[124:125], v[142:143]
	v_add_f64 v[138:139], v[138:139], v[134:135]
	v_add_f64 v[140:141], v[140:141], v[136:137]
	ds_write_b128 v224, v[90:93]
	v_fmac_f64_e32 v[94:95], v[122:123], v[142:143]
	v_fma_f64 v[96:97], v[122:123], v[144:145], -v[96:97]
	v_mul_f64 v[134:135], v[128:129], v[144:145]
	v_mul_f64 v[136:137], v[128:129], v[142:143]
	;; [unrolled: 1-line block ×3, first 2 shown]
	ds_read_b128 v[90:93], v223 offset:784
	ds_write_b128 v224, v[94:97] offset:1072
	v_fmac_f64_e32 v[134:135], v[126:127], v[142:143]
	v_fma_f64 v[136:137], v[126:127], v[144:145], -v[136:137]
	v_fmac_f64_e32 v[146:147], v[130:131], v[142:143]
	v_mul_f64 v[142:143], v[132:133], v[142:143]
	ds_read_b128 v[94:97], v223 offset:800
	ds_write_b128 v224, v[134:137] offset:2144
	v_fma_f64 v[148:149], v[130:131], v[144:145], -v[142:143]
	v_add_f64 v[164:165], v[164:165], 0
	ds_read_b128 v[134:137], v223 offset:816
	ds_write_b128 v224, v[146:149] offset:3216
	s_waitcnt lgkmcnt(0)
	s_barrier
	ds_read_b128 v[142:145], v219
	v_add_f64 v[160:161], v[164:165], v[160:161]
	v_add_f64 v[156:157], v[160:161], v[156:157]
	;; [unrolled: 1-line block ×4, first 2 shown]
	ds_read_b128 v[146:149], v219 offset:16
	ds_read_b128 v[154:157], v219 offset:32
	;; [unrolled: 1-line block ×3, first 2 shown]
	s_waitcnt lgkmcnt(3)
	v_add_f64 v[142:143], v[142:143], 0
	v_add_f64 v[144:145], v[144:145], 0
	v_cmp_gt_i32_e32 vcc, s24, v168
	s_waitcnt lgkmcnt(2)
	v_add_f64 v[142:143], v[142:143], v[146:147]
	v_add_f64 v[144:145], v[144:145], v[148:149]
	s_or_b64 s[4:5], s[14:15], vcc
	s_waitcnt lgkmcnt(1)
	v_add_f64 v[142:143], v[142:143], v[154:155]
	v_add_f64 v[144:145], v[144:145], v[156:157]
	s_and_b64 s[8:9], s[2:3], s[4:5]
	s_waitcnt lgkmcnt(0)
	v_add_f64 v[142:143], v[142:143], v[158:159]
	v_add_f64 v[144:145], v[144:145], v[160:161]
	s_barrier
	ds_write_b128 v239, v[82:85]
	ds_write_b128 v239, v[138:141] offset:256
	ds_write_b128 v239, v[150:153] offset:512
	;; [unrolled: 1-line block ×3, first 2 shown]
	s_waitcnt lgkmcnt(0)
	s_barrier
	s_and_saveexec_b64 s[4:5], s[8:9]
	s_cbranch_execz .LBB22_182
; %bb.181:                              ;   in Loop: Header=BB22_132 Depth=1
	ds_read_b128 v[82:85], v217
	ds_read_b128 v[138:141], v217 offset:16
	ds_read_b128 v[142:145], v217 offset:32
	;; [unrolled: 1-line block ×3, first 2 shown]
	v_ashrrev_i32_e32 v171, 31, v170
	v_mov_b32_e32 v5, s19
	s_waitcnt lgkmcnt(2)
	v_add_f64 v[82:83], v[138:139], v[82:83]
	v_add_f64 v[138:139], v[140:141], v[84:85]
	s_waitcnt lgkmcnt(1)
	v_add_f64 v[140:141], v[82:83], v[142:143]
	ds_read_b128 v[82:85], v217 offset:64
	v_add_f64 v[142:143], v[138:139], v[144:145]
	s_waitcnt lgkmcnt(1)
	v_add_f64 v[144:145], v[140:141], v[146:147]
	ds_read_b128 v[138:141], v217 offset:80
	;; [unrolled: 4-line block ×9, first 2 shown]
	v_add_f64 v[84:85], v[146:147], v[84:85]
	s_waitcnt lgkmcnt(1)
	v_add_f64 v[138:139], v[82:83], v[138:139]
	v_add_f64 v[146:147], v[84:85], v[140:141]
	ds_read_b128 v[82:85], v217 offset:208
	s_waitcnt lgkmcnt(1)
	v_add_f64 v[148:149], v[138:139], v[142:143]
	ds_read_b128 v[138:141], v217 offset:224
	v_add_f64 v[146:147], v[146:147], v[144:145]
	ds_read_b128 v[142:145], v218
	s_waitcnt lgkmcnt(2)
	v_add_f64 v[82:83], v[148:149], v[82:83]
	v_add_f64 v[84:85], v[146:147], v[84:85]
	s_waitcnt lgkmcnt(1)
	v_add_f64 v[82:83], v[82:83], v[138:139]
	v_lshlrev_b64 v[138:139], 4, v[170:171]
	v_add_f64 v[84:85], v[84:85], v[140:141]
	v_add_co_u32_e32 v138, vcc, s7, v138
	s_waitcnt lgkmcnt(0)
	v_add_f64 v[82:83], v[82:83], v[142:143]
	v_add_f64 v[84:85], v[84:85], v[144:145]
	v_addc_co_u32_e32 v139, vcc, v5, v139, vcc
	global_store_dwordx4 v[138:139], v[82:85], off
.LBB22_182:                             ;   in Loop: Header=BB22_132 Depth=1
	s_or_b64 exec, exec, s[4:5]
	v_mov_b32_e32 v5, s13
	v_add_co_u32_e32 v172, vcc, s12, v172
	v_addc_co_u32_e32 v167, vcc, v167, v5, vcc
	v_add_co_u32_e32 v174, vcc, s12, v174
	v_addc_co_u32_e32 v169, vcc, v169, v5, vcc
	;; [unrolled: 2-line block ×4, first 2 shown]
	v_add_co_u32_e32 v180, vcc, s12, v180
	v_mul_f64 v[82:83], v[8:9], v[24:25]
	v_addc_co_u32_e32 v177, vcc, v177, v5, vcc
	v_fma_f64 v[82:83], v[6:7], v[22:23], -v[82:83]
	v_mul_f64 v[6:7], v[6:7], v[24:25]
	v_mul_f64 v[24:25], v[12:13], v[28:29]
	v_add_co_u32_e32 v182, vcc, s12, v182
	v_add_f64 v[0:1], v[0:1], v[82:83]
	v_fma_f64 v[24:25], v[10:11], v[26:27], -v[24:25]
	v_addc_co_u32_e32 v179, vcc, v179, v5, vcc
	v_add_f64 v[0:1], v[0:1], v[24:25]
	v_mul_f64 v[24:25], v[16:17], v[32:33]
	v_add_co_u32_e32 v184, vcc, s12, v184
	v_fma_f64 v[24:25], v[14:15], v[30:31], -v[24:25]
	v_addc_co_u32_e32 v181, vcc, v181, v5, vcc
	v_add_f64 v[0:1], v[0:1], v[24:25]
	v_mul_f64 v[24:25], v[20:21], v[40:41]
	v_fmac_f64_e32 v[6:7], v[8:9], v[22:23]
	v_add_co_u32_e32 v186, vcc, s12, v186
	v_fma_f64 v[24:25], v[18:19], v[38:39], -v[24:25]
	v_add_f64 v[2:3], v[2:3], v[6:7]
	v_mul_f64 v[6:7], v[36:37], v[56:57]
	v_addc_co_u32_e32 v183, vcc, v183, v5, vcc
	v_add_f64 v[0:1], v[0:1], v[24:25]
	v_fma_f64 v[6:7], v[34:35], v[54:55], -v[6:7]
	v_add_co_u32_e32 v188, vcc, s12, v188
	v_add_f64 v[0:1], v[0:1], v[6:7]
	v_mul_f64 v[6:7], v[44:45], v[60:61]
	v_addc_co_u32_e32 v185, vcc, v185, v5, vcc
	v_fma_f64 v[6:7], v[42:43], v[58:59], -v[6:7]
	v_add_co_u32_e32 v190, vcc, s12, v190
	v_add_f64 v[0:1], v[0:1], v[6:7]
	v_mul_f64 v[6:7], v[48:49], v[64:65]
	v_addc_co_u32_e32 v187, vcc, v187, v5, vcc
	;; [unrolled: 5-line block ×3, first 2 shown]
	v_fma_f64 v[6:7], v[50:51], v[70:71], -v[6:7]
	v_add_co_u32_e32 v194, vcc, s12, v194
	v_mul_f64 v[10:11], v[10:11], v[28:29]
	v_add_f64 v[0:1], v[0:1], v[6:7]
	v_mul_f64 v[6:7], v[68:69], v[104:105]
	v_addc_co_u32_e32 v191, vcc, v191, v5, vcc
	v_mul_f64 v[14:15], v[14:15], v[32:33]
	v_fmac_f64_e32 v[10:11], v[12:13], v[26:27]
	v_fma_f64 v[6:7], v[66:67], v[102:103], -v[6:7]
	v_add_co_u32_e32 v196, vcc, s12, v196
	v_mul_f64 v[18:19], v[18:19], v[40:41]
	v_add_f64 v[2:3], v[2:3], v[10:11]
	v_fmac_f64_e32 v[14:15], v[16:17], v[30:31]
	v_add_f64 v[0:1], v[0:1], v[6:7]
	v_mul_f64 v[6:7], v[76:77], v[108:109]
	v_addc_co_u32_e32 v193, vcc, v193, v5, vcc
	v_add_f64 v[2:3], v[2:3], v[14:15]
	v_fmac_f64_e32 v[18:19], v[20:21], v[38:39]
	v_mul_f64 v[8:9], v[34:35], v[56:57]
	v_fma_f64 v[6:7], v[74:75], v[106:107], -v[6:7]
	v_add_co_u32_e32 v198, vcc, s12, v198
	v_add_f64 v[2:3], v[2:3], v[18:19]
	v_mul_f64 v[10:11], v[42:43], v[60:61]
	v_fmac_f64_e32 v[8:9], v[36:37], v[54:55]
	v_add_f64 v[0:1], v[0:1], v[6:7]
	v_mul_f64 v[6:7], v[80:81], v[112:113]
	v_addc_co_u32_e32 v195, vcc, v195, v5, vcc
	v_mul_f64 v[12:13], v[46:47], v[64:65]
	v_add_f64 v[2:3], v[2:3], v[8:9]
	v_fmac_f64_e32 v[10:11], v[44:45], v[58:59]
	v_fma_f64 v[6:7], v[78:79], v[110:111], -v[6:7]
	v_add_co_u32_e32 v200, vcc, s12, v200
	v_mul_f64 v[14:15], v[50:51], v[72:73]
	v_add_f64 v[2:3], v[2:3], v[10:11]
	v_fmac_f64_e32 v[12:13], v[48:49], v[62:63]
	v_add_f64 v[0:1], v[0:1], v[6:7]
	v_mul_f64 v[6:7], v[100:101], v[120:121]
	v_addc_co_u32_e32 v197, vcc, v197, v5, vcc
	v_add_f64 v[2:3], v[2:3], v[12:13]
	v_fmac_f64_e32 v[14:15], v[52:53], v[70:71]
	v_mul_f64 v[8:9], v[66:67], v[104:105]
	v_fma_f64 v[6:7], v[98:99], v[118:119], -v[6:7]
	v_add_co_u32_e32 v202, vcc, s12, v202
	v_add_f64 v[2:3], v[2:3], v[14:15]
	v_mul_f64 v[10:11], v[74:75], v[108:109]
	v_add_f64 v[0:1], v[0:1], v[6:7]
	v_fmac_f64_e32 v[8:9], v[68:69], v[102:103]
	v_mul_f64 v[6:7], v[116:117], v[88:89]
	v_addc_co_u32_e32 v199, vcc, v199, v5, vcc
	v_mul_f64 v[12:13], v[78:79], v[112:113]
	v_add_f64 v[2:3], v[2:3], v[8:9]
	v_fmac_f64_e32 v[10:11], v[76:77], v[106:107]
	v_fma_f64 v[6:7], v[114:115], v[86:87], -v[6:7]
	v_add_co_u32_e32 v204, vcc, s12, v204
	v_mul_f64 v[14:15], v[98:99], v[120:121]
	v_add_f64 v[2:3], v[2:3], v[10:11]
	v_fmac_f64_e32 v[12:13], v[80:81], v[110:111]
	v_add_f64 v[0:1], v[0:1], v[6:7]
	v_mul_f64 v[6:7], v[124:125], v[92:93]
	v_addc_co_u32_e32 v201, vcc, v201, v5, vcc
	v_add_f64 v[2:3], v[2:3], v[12:13]
	v_fmac_f64_e32 v[14:15], v[100:101], v[118:119]
	v_mul_f64 v[8:9], v[114:115], v[88:89]
	v_fma_f64 v[6:7], v[122:123], v[90:91], -v[6:7]
	v_add_co_u32_e32 v206, vcc, s12, v206
	v_add_f64 v[2:3], v[2:3], v[14:15]
	v_mul_f64 v[10:11], v[122:123], v[92:93]
	v_add_f64 v[0:1], v[0:1], v[6:7]
	v_mul_f64 v[6:7], v[128:129], v[96:97]
	v_fmac_f64_e32 v[8:9], v[116:117], v[86:87]
	v_addc_co_u32_e32 v203, vcc, v203, v5, vcc
	v_fma_f64 v[6:7], v[126:127], v[94:95], -v[6:7]
	v_mul_f64 v[12:13], v[126:127], v[96:97]
	v_fmac_f64_e32 v[10:11], v[124:125], v[90:91]
	v_add_f64 v[2:3], v[2:3], v[8:9]
	v_add_co_u32_e32 v208, vcc, s12, v208
	v_add_f64 v[0:1], v[0:1], v[6:7]
	v_mul_f64 v[6:7], v[132:133], v[136:137]
	v_mul_f64 v[14:15], v[130:131], v[136:137]
	v_fmac_f64_e32 v[12:13], v[128:129], v[94:95]
	v_add_f64 v[2:3], v[2:3], v[10:11]
	v_addc_co_u32_e32 v205, vcc, v205, v5, vcc
	v_fma_f64 v[6:7], v[130:131], v[134:135], -v[6:7]
	v_fmac_f64_e32 v[14:15], v[132:133], v[134:135]
	v_add_f64 v[2:3], v[2:3], v[12:13]
	s_add_i32 s4, s6, 1
	s_add_i32 s10, s10, s31
	;; [unrolled: 1-line block ×3, first 2 shown]
	v_add_co_u32_e32 v210, vcc, s12, v210
	v_add_f64 v[0:1], v[0:1], v[6:7]
	v_add_f64 v[2:3], v[2:3], v[14:15]
	v_add_u32_e32 v170, 64, v170
	s_cmp_ge_u32 s5, s33
	v_addc_co_u32_e32 v207, vcc, v207, v5, vcc
	s_barrier
	s_cbranch_scc1 .LBB22_184
; %bb.183:                              ;   in Loop: Header=BB22_132 Depth=1
	s_mov_b32 s6, s4
	s_cmp_eq_u32 s30, s6
	s_cselect_b32 s24, s38, 0
	s_and_saveexec_b64 s[4:5], s[0:1]
	s_cbranch_execnz .LBB22_128
	s_branch .LBB22_132
.LBB22_184:
	s_movk_i32 s2, 0x430
	v_cmp_gt_i32_e32 vcc, s18, v168
	v_mad_u32_u24 v4, v209, s2, v211
	s_or_b64 s[2:3], s[20:21], vcc
	s_and_b64 s[0:1], s[0:1], s[2:3]
	ds_write_b128 v4, v[0:3]
	s_waitcnt lgkmcnt(0)
	s_barrier
	s_and_saveexec_b64 s[2:3], s[0:1]
	s_cbranch_execz .LBB22_186
; %bb.185:
	ds_read_b128 v[0:3], v211 offset:1072
	ds_read_b128 v[4:7], v211
	ds_read_b128 v[8:11], v211 offset:2144
	ds_read_b128 v[12:15], v211 offset:3216
	v_ashrrev_i32_e32 v167, 31, v166
	s_waitcnt lgkmcnt(2)
	v_add_f64 v[0:1], v[0:1], v[4:5]
	v_add_f64 v[2:3], v[2:3], v[6:7]
	v_lshlrev_b64 v[4:5], 4, v[166:167]
	s_waitcnt lgkmcnt(1)
	v_add_f64 v[0:1], v[0:1], v[8:9]
	v_add_f64 v[2:3], v[2:3], v[10:11]
	v_mov_b32_e32 v6, s19
	v_add_co_u32_e32 v4, vcc, s7, v4
	s_waitcnt lgkmcnt(0)
	v_add_f64 v[0:1], v[0:1], v[12:13]
	v_add_f64 v[2:3], v[2:3], v[14:15]
	v_addc_co_u32_e32 v5, vcc, v6, v5, vcc
	global_store_dwordx4 v[4:5], v[0:3], off
.LBB22_186:
	s_endpgm
	.section	.rodata,"a",@progbits
	.p2align	6, 0x0
	.amdhsa_kernel _ZL26rocblas_hemvn_kernel_upperILb1ELi64ELi4ELi33ELi32ELi16Ei19rocblas_complex_numIdEPKS1_PS1_EviT6_lT7_lT5_lS6_lS7_lS5_lT8_i
		.amdhsa_group_segment_fixed_size 19200
		.amdhsa_private_segment_fixed_size 0
		.amdhsa_kernarg_size 392
		.amdhsa_user_sgpr_count 6
		.amdhsa_user_sgpr_private_segment_buffer 1
		.amdhsa_user_sgpr_dispatch_ptr 0
		.amdhsa_user_sgpr_queue_ptr 0
		.amdhsa_user_sgpr_kernarg_segment_ptr 1
		.amdhsa_user_sgpr_dispatch_id 0
		.amdhsa_user_sgpr_flat_scratch_init 0
		.amdhsa_user_sgpr_kernarg_preload_length 0
		.amdhsa_user_sgpr_kernarg_preload_offset 0
		.amdhsa_user_sgpr_private_segment_size 0
		.amdhsa_uses_dynamic_stack 0
		.amdhsa_system_sgpr_private_segment_wavefront_offset 0
		.amdhsa_system_sgpr_workgroup_id_x 1
		.amdhsa_system_sgpr_workgroup_id_y 0
		.amdhsa_system_sgpr_workgroup_id_z 1
		.amdhsa_system_sgpr_workgroup_info 0
		.amdhsa_system_vgpr_workitem_id 1
		.amdhsa_next_free_vgpr 240
		.amdhsa_next_free_sgpr 44
		.amdhsa_accum_offset 240
		.amdhsa_reserve_vcc 1
		.amdhsa_reserve_flat_scratch 0
		.amdhsa_float_round_mode_32 0
		.amdhsa_float_round_mode_16_64 0
		.amdhsa_float_denorm_mode_32 3
		.amdhsa_float_denorm_mode_16_64 3
		.amdhsa_dx10_clamp 1
		.amdhsa_ieee_mode 1
		.amdhsa_fp16_overflow 0
		.amdhsa_tg_split 0
		.amdhsa_exception_fp_ieee_invalid_op 0
		.amdhsa_exception_fp_denorm_src 0
		.amdhsa_exception_fp_ieee_div_zero 0
		.amdhsa_exception_fp_ieee_overflow 0
		.amdhsa_exception_fp_ieee_underflow 0
		.amdhsa_exception_fp_ieee_inexact 0
		.amdhsa_exception_int_div_zero 0
	.end_amdhsa_kernel
	.section	.text._ZL26rocblas_hemvn_kernel_upperILb1ELi64ELi4ELi33ELi32ELi16Ei19rocblas_complex_numIdEPKS1_PS1_EviT6_lT7_lT5_lS6_lS7_lS5_lT8_i,"axG",@progbits,_ZL26rocblas_hemvn_kernel_upperILb1ELi64ELi4ELi33ELi32ELi16Ei19rocblas_complex_numIdEPKS1_PS1_EviT6_lT7_lT5_lS6_lS7_lS5_lT8_i,comdat
.Lfunc_end22:
	.size	_ZL26rocblas_hemvn_kernel_upperILb1ELi64ELi4ELi33ELi32ELi16Ei19rocblas_complex_numIdEPKS1_PS1_EviT6_lT7_lT5_lS6_lS7_lS5_lT8_i, .Lfunc_end22-_ZL26rocblas_hemvn_kernel_upperILb1ELi64ELi4ELi33ELi32ELi16Ei19rocblas_complex_numIdEPKS1_PS1_EviT6_lT7_lT5_lS6_lS7_lS5_lT8_i
                                        ; -- End function
	.section	.AMDGPU.csdata,"",@progbits
; Kernel info:
; codeLenInByte = 11220
; NumSgprs: 48
; NumVgprs: 240
; NumAgprs: 0
; TotalNumVgprs: 240
; ScratchSize: 0
; MemoryBound: 1
; FloatMode: 240
; IeeeMode: 1
; LDSByteSize: 19200 bytes/workgroup (compile time only)
; SGPRBlocks: 5
; VGPRBlocks: 29
; NumSGPRsForWavesPerEU: 48
; NumVGPRsForWavesPerEU: 240
; AccumOffset: 240
; Occupancy: 2
; WaveLimiterHint : 1
; COMPUTE_PGM_RSRC2:SCRATCH_EN: 0
; COMPUTE_PGM_RSRC2:USER_SGPR: 6
; COMPUTE_PGM_RSRC2:TRAP_HANDLER: 0
; COMPUTE_PGM_RSRC2:TGID_X_EN: 1
; COMPUTE_PGM_RSRC2:TGID_Y_EN: 0
; COMPUTE_PGM_RSRC2:TGID_Z_EN: 1
; COMPUTE_PGM_RSRC2:TIDIG_COMP_CNT: 1
; COMPUTE_PGM_RSRC3_GFX90A:ACCUM_OFFSET: 59
; COMPUTE_PGM_RSRC3_GFX90A:TG_SPLIT: 0
	.section	.text._ZL36rocblas_hemvn_kernel_upper_block_sumILi64Ei19rocblas_complex_numIdEPS1_S1_EviT1_lS3_lT2_lT0_lPT3_i,"axG",@progbits,_ZL36rocblas_hemvn_kernel_upper_block_sumILi64Ei19rocblas_complex_numIdEPS1_S1_EviT1_lS3_lT2_lT0_lPT3_i,comdat
	.globl	_ZL36rocblas_hemvn_kernel_upper_block_sumILi64Ei19rocblas_complex_numIdEPS1_S1_EviT1_lS3_lT2_lT0_lPT3_i ; -- Begin function _ZL36rocblas_hemvn_kernel_upper_block_sumILi64Ei19rocblas_complex_numIdEPS1_S1_EviT1_lS3_lT2_lT0_lPT3_i
	.p2align	8
	.type	_ZL36rocblas_hemvn_kernel_upper_block_sumILi64Ei19rocblas_complex_numIdEPS1_S1_EviT1_lS3_lT2_lT0_lPT3_i,@function
_ZL36rocblas_hemvn_kernel_upper_block_sumILi64Ei19rocblas_complex_numIdEPS1_S1_EviT1_lS3_lT2_lT0_lPT3_i: ; @_ZL36rocblas_hemvn_kernel_upper_block_sumILi64Ei19rocblas_complex_numIdEPS1_S1_EviT1_lS3_lT2_lT0_lPT3_i
; %bb.0:
	s_load_dwordx4 s[12:15], s[4:5], 0x8
	s_load_dwordx4 s[8:11], s[4:5], 0x20
	s_waitcnt lgkmcnt(0)
	v_cmp_neq_f64_e64 s[0:1], s[12:13], 0
	v_cmp_neq_f64_e64 s[2:3], s[14:15], 0
	s_or_b64 s[16:17], s[0:1], s[2:3]
	s_mov_b64 s[0:1], -1
	s_and_b64 vcc, exec, s[16:17]
	s_cbranch_vccnz .LBB23_2
; %bb.1:
	v_cmp_neq_f64_e64 s[0:1], s[8:9], 1.0
	v_cmp_neq_f64_e64 s[2:3], s[10:11], 0
	s_or_b64 s[0:1], s[0:1], s[2:3]
.LBB23_2:
	s_andn2_b64 vcc, exec, s[0:1]
	s_cbranch_vccnz .LBB23_22
; %bb.3:
	s_load_dwordx4 s[0:3], s[4:5], 0x50
	s_load_dword s26, s[4:5], 0x48
	s_load_dwordx4 s[20:23], s[4:5], 0x38
	s_load_dword s18, s[4:5], 0x0
	s_xor_b64 s[16:17], s[16:17], -1
	s_waitcnt lgkmcnt(0)
	s_mul_i32 s1, s7, s1
	s_mul_hi_u32 s19, s7, s0
	s_add_i32 s1, s19, s1
	s_mul_i32 s0, s7, s0
	s_lshl_b64 s[0:1], s[0:1], 4
	s_add_u32 s19, s20, s0
	s_addc_u32 s20, s21, s1
	s_lshl_b64 s[0:1], s[22:23], 4
	s_add_u32 s24, s19, s0
	v_lshl_or_b32 v4, s6, 6, v0
	s_addc_u32 s25, s20, s1
	s_andn2_b64 vcc, exec, s[16:17]
	v_cmp_gt_i32_e64 s[0:1], s18, v4
	s_cbranch_vccnz .LBB23_8
; %bb.4:
	s_mov_b64 s[20:21], 0
	s_mov_b64 s[16:17], 0
                                        ; implicit-def: $vgpr2_vgpr3
                                        ; implicit-def: $vgpr6_vgpr7
	s_and_saveexec_b64 s[22:23], s[0:1]
	s_cbranch_execz .LBB23_9
; %bb.5:
	v_cmp_neq_f64_e64 s[0:1], s[8:9], 0
	v_cmp_neq_f64_e64 s[16:17], s[10:11], 0
	v_pk_mov_b32 v[2:3], 0, 0
	v_mul_lo_u32 v6, v4, s26
	s_or_b64 s[0:1], s[0:1], s[16:17]
	v_ashrrev_i32_e32 v7, 31, v6
	s_andn2_b64 vcc, exec, s[0:1]
	v_pk_mov_b32 v[0:1], v[2:3], v[2:3] op_sel:[0,1]
	s_cbranch_vccnz .LBB23_7
; %bb.6:
	v_lshlrev_b64 v[0:1], 4, v[6:7]
	v_mov_b32_e32 v2, s25
	v_add_co_u32_e32 v0, vcc, s24, v0
	v_addc_co_u32_e32 v1, vcc, v2, v1, vcc
	global_load_dwordx4 v[8:11], v[0:1], off
	s_waitcnt vmcnt(0)
	v_mul_f64 v[0:1], s[10:11], v[10:11]
	v_mul_f64 v[2:3], s[8:9], v[10:11]
	v_fma_f64 v[0:1], s[8:9], v[8:9], -v[0:1]
	v_fmac_f64_e32 v[2:3], s[10:11], v[8:9]
.LBB23_7:
	s_mov_b64 s[16:17], exec
	s_or_b64 exec, exec, s[22:23]
	s_and_b64 vcc, exec, s[20:21]
	s_cbranch_vccnz .LBB23_10
	s_branch .LBB23_20
.LBB23_8:
	s_mov_b64 s[16:17], 0
                                        ; implicit-def: $vgpr2_vgpr3
                                        ; implicit-def: $vgpr6_vgpr7
	s_cbranch_execnz .LBB23_10
	s_branch .LBB23_20
.LBB23_9:
	s_or_b64 exec, exec, s[22:23]
	s_and_b64 vcc, exec, s[20:21]
	s_cbranch_vccz .LBB23_20
.LBB23_10:
	v_cmp_gt_i32_e32 vcc, s18, v4
                                        ; implicit-def: $vgpr2_vgpr3
                                        ; implicit-def: $vgpr6_vgpr7
	s_and_saveexec_b64 s[0:1], vcc
	s_cbranch_execz .LBB23_19
; %bb.11:
	v_pk_mov_b32 v[0:1], 0, 0
	s_cmp_lt_i32 s6, 0
	v_pk_mov_b32 v[8:9], v[0:1], v[0:1] op_sel:[0,1]
	s_cbranch_scc1 .LBB23_14
; %bb.12:
	s_load_dword s5, s[4:5], 0x68
	s_ashr_i32 s19, s18, 31
	s_add_i32 s4, s6, 1
	s_mul_hi_u32 s6, s18, s7
	s_mul_i32 s20, s19, s7
	s_add_i32 s6, s6, s20
	s_mul_i32 s20, s18, s7
	s_waitcnt lgkmcnt(0)
	s_mul_i32 s6, s6, s5
	s_mul_hi_u32 s7, s20, s5
	s_add_i32 s7, s7, s6
	s_mul_i32 s6, s20, s5
	s_lshl_b64 s[6:7], s[6:7], 4
	v_mov_b32_e32 v5, 0
	s_add_u32 s2, s2, s6
	v_lshlrev_b64 v[0:1], 4, v[4:5]
	s_addc_u32 s3, s3, s7
	v_mov_b32_e32 v2, s3
	v_add_co_u32_e32 v0, vcc, s2, v0
	v_addc_co_u32_e32 v1, vcc, v2, v1, vcc
	v_add_co_u32_e32 v2, vcc, 8, v0
	v_addc_co_u32_e32 v3, vcc, 0, v1, vcc
	s_lshl_b64 s[2:3], s[18:19], 4
	v_pk_mov_b32 v[0:1], 0, 0
	v_mov_b32_e32 v5, s3
	v_pk_mov_b32 v[8:9], v[0:1], v[0:1] op_sel:[0,1]
.LBB23_13:                              ; =>This Inner Loop Header: Depth=1
	global_load_dwordx4 v[10:13], v[2:3], off offset:-8
	s_add_i32 s4, s4, -1
	v_add_co_u32_e32 v2, vcc, s2, v2
	v_addc_co_u32_e32 v3, vcc, v3, v5, vcc
	s_cmp_eq_u32 s4, 0
	s_waitcnt vmcnt(0)
	v_add_f64 v[8:9], v[8:9], v[10:11]
	v_add_f64 v[0:1], v[0:1], v[12:13]
	s_cbranch_scc0 .LBB23_13
.LBB23_14:
	v_cmp_neq_f64_e64 s[4:5], s[8:9], 0
	v_cmp_neq_f64_e64 s[6:7], s[10:11], 0
	s_or_b64 s[4:5], s[4:5], s[6:7]
	v_mul_f64 v[10:11], s[14:15], v[0:1]
	v_mul_f64 v[2:3], s[12:13], v[0:1]
	v_mul_lo_u32 v6, v4, s26
	s_mov_b64 s[2:3], 0
	s_andn2_b64 vcc, exec, s[4:5]
	v_fma_f64 v[0:1], s[12:13], v[8:9], -v[10:11]
	v_fmac_f64_e32 v[2:3], s[14:15], v[8:9]
	v_ashrrev_i32_e32 v7, 31, v6
	s_cbranch_vccnz .LBB23_16
; %bb.15:
	s_mov_b64 s[2:3], -1
.LBB23_16:
	s_andn2_b64 vcc, exec, s[2:3]
	s_cbranch_vccnz .LBB23_18
; %bb.17:
	v_lshlrev_b64 v[4:5], 4, v[6:7]
	v_mov_b32_e32 v8, s25
	v_add_co_u32_e32 v4, vcc, s24, v4
	v_addc_co_u32_e32 v5, vcc, v8, v5, vcc
	global_load_dwordx4 v[8:11], v[4:5], off
	s_waitcnt vmcnt(0)
	v_mul_f64 v[4:5], s[10:11], v[10:11]
	v_mul_f64 v[10:11], s[8:9], v[10:11]
	v_fma_f64 v[4:5], s[8:9], v[8:9], -v[4:5]
	v_fmac_f64_e32 v[10:11], s[10:11], v[8:9]
	v_add_f64 v[0:1], v[0:1], v[4:5]
	v_add_f64 v[2:3], v[2:3], v[10:11]
.LBB23_18:
	s_or_b64 s[16:17], s[16:17], exec
.LBB23_19:
	s_or_b64 exec, exec, s[0:1]
.LBB23_20:
	s_and_saveexec_b64 s[0:1], s[16:17]
	s_cbranch_execz .LBB23_22
; %bb.21:
	v_lshlrev_b64 v[4:5], 4, v[6:7]
	v_mov_b32_e32 v6, s25
	v_add_co_u32_e32 v4, vcc, s24, v4
	v_addc_co_u32_e32 v5, vcc, v6, v5, vcc
	global_store_dwordx4 v[4:5], v[0:3], off
.LBB23_22:
	s_endpgm
	.section	.rodata,"a",@progbits
	.p2align	6, 0x0
	.amdhsa_kernel _ZL36rocblas_hemvn_kernel_upper_block_sumILi64Ei19rocblas_complex_numIdEPS1_S1_EviT1_lS3_lT2_lT0_lPT3_i
		.amdhsa_group_segment_fixed_size 0
		.amdhsa_private_segment_fixed_size 0
		.amdhsa_kernarg_size 360
		.amdhsa_user_sgpr_count 6
		.amdhsa_user_sgpr_private_segment_buffer 1
		.amdhsa_user_sgpr_dispatch_ptr 0
		.amdhsa_user_sgpr_queue_ptr 0
		.amdhsa_user_sgpr_kernarg_segment_ptr 1
		.amdhsa_user_sgpr_dispatch_id 0
		.amdhsa_user_sgpr_flat_scratch_init 0
		.amdhsa_user_sgpr_kernarg_preload_length 0
		.amdhsa_user_sgpr_kernarg_preload_offset 0
		.amdhsa_user_sgpr_private_segment_size 0
		.amdhsa_uses_dynamic_stack 0
		.amdhsa_system_sgpr_private_segment_wavefront_offset 0
		.amdhsa_system_sgpr_workgroup_id_x 1
		.amdhsa_system_sgpr_workgroup_id_y 0
		.amdhsa_system_sgpr_workgroup_id_z 1
		.amdhsa_system_sgpr_workgroup_info 0
		.amdhsa_system_vgpr_workitem_id 0
		.amdhsa_next_free_vgpr 14
		.amdhsa_next_free_sgpr 27
		.amdhsa_accum_offset 16
		.amdhsa_reserve_vcc 1
		.amdhsa_reserve_flat_scratch 0
		.amdhsa_float_round_mode_32 0
		.amdhsa_float_round_mode_16_64 0
		.amdhsa_float_denorm_mode_32 3
		.amdhsa_float_denorm_mode_16_64 3
		.amdhsa_dx10_clamp 1
		.amdhsa_ieee_mode 1
		.amdhsa_fp16_overflow 0
		.amdhsa_tg_split 0
		.amdhsa_exception_fp_ieee_invalid_op 0
		.amdhsa_exception_fp_denorm_src 0
		.amdhsa_exception_fp_ieee_div_zero 0
		.amdhsa_exception_fp_ieee_overflow 0
		.amdhsa_exception_fp_ieee_underflow 0
		.amdhsa_exception_fp_ieee_inexact 0
		.amdhsa_exception_int_div_zero 0
	.end_amdhsa_kernel
	.section	.text._ZL36rocblas_hemvn_kernel_upper_block_sumILi64Ei19rocblas_complex_numIdEPS1_S1_EviT1_lS3_lT2_lT0_lPT3_i,"axG",@progbits,_ZL36rocblas_hemvn_kernel_upper_block_sumILi64Ei19rocblas_complex_numIdEPS1_S1_EviT1_lS3_lT2_lT0_lPT3_i,comdat
.Lfunc_end23:
	.size	_ZL36rocblas_hemvn_kernel_upper_block_sumILi64Ei19rocblas_complex_numIdEPS1_S1_EviT1_lS3_lT2_lT0_lPT3_i, .Lfunc_end23-_ZL36rocblas_hemvn_kernel_upper_block_sumILi64Ei19rocblas_complex_numIdEPS1_S1_EviT1_lS3_lT2_lT0_lPT3_i
                                        ; -- End function
	.section	.AMDGPU.csdata,"",@progbits
; Kernel info:
; codeLenInByte = 772
; NumSgprs: 31
; NumVgprs: 14
; NumAgprs: 0
; TotalNumVgprs: 14
; ScratchSize: 0
; MemoryBound: 0
; FloatMode: 240
; IeeeMode: 1
; LDSByteSize: 0 bytes/workgroup (compile time only)
; SGPRBlocks: 3
; VGPRBlocks: 1
; NumSGPRsForWavesPerEU: 31
; NumVGPRsForWavesPerEU: 14
; AccumOffset: 16
; Occupancy: 8
; WaveLimiterHint : 0
; COMPUTE_PGM_RSRC2:SCRATCH_EN: 0
; COMPUTE_PGM_RSRC2:USER_SGPR: 6
; COMPUTE_PGM_RSRC2:TRAP_HANDLER: 0
; COMPUTE_PGM_RSRC2:TGID_X_EN: 1
; COMPUTE_PGM_RSRC2:TGID_Y_EN: 0
; COMPUTE_PGM_RSRC2:TGID_Z_EN: 1
; COMPUTE_PGM_RSRC2:TIDIG_COMP_CNT: 0
; COMPUTE_PGM_RSRC3_GFX90A:ACCUM_OFFSET: 3
; COMPUTE_PGM_RSRC3_GFX90A:TG_SPLIT: 0
	.section	.text._ZL26rocblas_hemvn_kernel_lowerILb1ELi64ELi4ELi33ELi32ELi16ElPK19rocblas_complex_numIdES3_PS1_EviT6_lT7_lT5_lS6_lS7_lS5_lT8_i,"axG",@progbits,_ZL26rocblas_hemvn_kernel_lowerILb1ELi64ELi4ELi33ELi32ELi16ElPK19rocblas_complex_numIdES3_PS1_EviT6_lT7_lT5_lS6_lS7_lS5_lT8_i,comdat
	.globl	_ZL26rocblas_hemvn_kernel_lowerILb1ELi64ELi4ELi33ELi32ELi16ElPK19rocblas_complex_numIdES3_PS1_EviT6_lT7_lT5_lS6_lS7_lS5_lT8_i ; -- Begin function _ZL26rocblas_hemvn_kernel_lowerILb1ELi64ELi4ELi33ELi32ELi16ElPK19rocblas_complex_numIdES3_PS1_EviT6_lT7_lT5_lS6_lS7_lS5_lT8_i
	.p2align	8
	.type	_ZL26rocblas_hemvn_kernel_lowerILb1ELi64ELi4ELi33ELi32ELi16ElPK19rocblas_complex_numIdES3_PS1_EviT6_lT7_lT5_lS6_lS7_lS5_lT8_i,@function
_ZL26rocblas_hemvn_kernel_lowerILb1ELi64ELi4ELi33ELi32ELi16ElPK19rocblas_complex_numIdES3_PS1_EviT6_lT7_lT5_lS6_lS7_lS5_lT8_i: ; @_ZL26rocblas_hemvn_kernel_lowerILb1ELi64ELi4ELi33ELi32ELi16ElPK19rocblas_complex_numIdES3_PS1_EviT6_lT7_lT5_lS6_lS7_lS5_lT8_i
; %bb.0:
	s_load_dwordx2 s[2:3], s[4:5], 0x84
	s_add_u32 s0, s4, 0x78
	s_addc_u32 s1, s5, 0
	s_waitcnt lgkmcnt(0)
	s_lshr_b32 s8, s2, 16
	s_and_b32 s2, s2, 0xffff
	s_and_b32 s3, s3, 0xffff
	s_mul_i32 s2, s8, s2
	s_mul_i32 s2, s2, s3
	s_cmpk_lg_i32 s2, 0x100
	s_cbranch_scc1 .LBB24_135
; %bb.1:
	s_load_dwordx16 s[12:27], s[4:5], 0x8
	s_waitcnt lgkmcnt(0)
	s_mul_i32 s3, s7, s15
	s_mul_hi_u32 s8, s7, s14
	s_mul_i32 s2, s7, s14
	s_add_i32 s3, s8, s3
	s_lshl_b64 s[2:3], s[2:3], 4
	s_add_u32 s2, s12, s2
	s_addc_u32 s3, s13, s3
	s_load_dwordx4 s[8:11], s[2:3], 0x0
	s_load_dwordx2 s[28:29], s[4:5], 0x68
	s_load_dwordx8 s[36:43], s[4:5], 0x48
	s_waitcnt lgkmcnt(0)
	v_cmp_neq_f64_e64 s[2:3], s[8:9], 0
	v_cmp_neq_f64_e64 s[8:9], s[10:11], 0
	s_or_b64 s[2:3], s[2:3], s[8:9]
	s_mov_b64 s[8:9], -1
	s_and_b64 vcc, exec, s[2:3]
	s_cbranch_vccnz .LBB24_3
; %bb.2:
	s_mul_i32 s8, s7, s43
	s_mul_hi_u32 s9, s7, s42
	s_add_i32 s9, s9, s8
	s_mul_i32 s8, s7, s42
	s_lshl_b64 s[8:9], s[8:9], 4
	s_add_u32 s8, s40, s8
	s_addc_u32 s9, s41, s9
	s_load_dwordx4 s[8:11], s[8:9], 0x0
	s_waitcnt lgkmcnt(0)
	v_cmp_neq_f64_e64 s[8:9], s[8:9], 1.0
	v_cmp_neq_f64_e64 s[10:11], s[10:11], 0
	s_or_b64 s[8:9], s[8:9], s[10:11]
.LBB24_3:
	s_andn2_b64 vcc, exec, s[8:9]
	s_cbranch_vccnz .LBB24_135
; %bb.4:
	s_andn2_b64 vcc, exec, s[2:3]
	s_cbranch_vccnz .LBB24_135
; %bb.5:
	s_load_dword s40, s[0:1], 0x0
	s_load_dword s33, s[4:5], 0x0
	s_mul_i32 s0, s7, s39
	s_mul_hi_u32 s1, s7, s38
	s_add_i32 s1, s1, s0
	s_mul_i32 s0, s7, s38
	s_lshl_b64 s[0:1], s[0:1], 4
	s_add_u32 s2, s24, s0
	s_addc_u32 s3, s25, s1
	s_lshl_b64 s[0:1], s[26:27], 4
	s_add_u32 s2, s2, s0
	s_addc_u32 s3, s3, s1
	s_waitcnt lgkmcnt(0)
	s_ashr_i32 s41, s33, 31
	s_lshr_b32 s1, s41, 26
	s_add_i32 s1, s33, s1
	v_and_b32_e32 v42, 0x3ff, v0
	s_lshl_b32 s26, s6, 6
	s_andn2_b32 s1, s1, 63
	s_add_i32 s0, s40, -1
	s_sub_i32 s1, s33, s1
	v_add_u32_e32 v148, s26, v42
	s_cmp_eq_u32 s6, s0
	v_ashrrev_i32_e32 v149, 31, v148
	v_bfe_u32 v154, v0, 10, 10
	s_cselect_b32 s24, s1, 0
	v_mul_lo_u32 v2, v149, s36
	v_mul_lo_u32 v3, v148, s37
	v_mad_u64_u32 v[0:1], s[0:1], v148, s36, 0
	v_add3_u32 v1, v1, v3, v2
	v_lshlrev_b64 v[0:1], 4, v[0:1]
	v_mov_b32_e32 v2, s3
	v_add_co_u32_e32 v36, vcc, s2, v0
	v_addc_co_u32_e32 v37, vcc, v2, v1, vcc
	v_cmp_ne_u32_e64 s[0:1], 0, v154
	v_cmp_eq_u32_e64 s[2:3], 0, v154
	s_and_saveexec_b64 s[4:5], s[2:3]
	s_cbranch_execz .LBB24_10
; %bb.6:
	s_cmp_lg_u32 s24, 0
	s_cselect_b64 s[8:9], -1, 0
	v_cmp_le_i32_e32 vcc, s24, v42
	v_mov_b32_e32 v0, 0x4700
	s_and_b64 s[8:9], s[8:9], vcc
	v_lshl_add_u32 v0, v42, 4, v0
	s_and_saveexec_b64 s[10:11], s[8:9]
	s_xor_b64 s[8:9], exec, s[10:11]
	s_cbranch_execz .LBB24_8
; %bb.7:
	v_mov_b32_e32 v2, 0
	v_mov_b32_e32 v3, v2
	;; [unrolled: 1-line block ×4, first 2 shown]
	ds_write_b128 v0, v[2:5]
                                        ; implicit-def: $vgpr0
.LBB24_8:
	s_andn2_saveexec_b64 s[8:9], s[8:9]
	s_cbranch_execz .LBB24_10
; %bb.9:
	global_load_dwordx4 v[2:5], v[36:37], off
	s_waitcnt vmcnt(0)
	ds_write2_b64 v0, v[2:3], v[4:5] offset1:1
.LBB24_10:
	s_or_b64 exec, exec, s[4:5]
	s_mul_i32 s4, s7, s23
	s_mul_hi_u32 s5, s7, s22
	s_add_i32 s5, s5, s4
	s_mul_i32 s4, s7, s22
	s_lshl_b64 s[4:5], s[4:5], 4
	s_add_u32 s8, s16, s4
	s_addc_u32 s9, s17, s5
	s_lshl_b64 s[4:5], s[18:19], 4
	s_add_u32 s8, s8, s4
	s_addc_u32 s9, s9, s5
	s_ashr_i32 s27, s26, 31
	v_lshl_add_u32 v43, v154, 6, v42
	s_lshl_b64 s[4:5], s[26:27], 4
	v_and_b32_e32 v4, 31, v42
	v_lshrrev_b32_e32 v10, 5, v43
	s_add_u32 s8, s8, s4
	v_mov_b32_e32 v5, 0
	s_addc_u32 s9, s9, s5
	v_mad_u64_u32 v[0:1], s[4:5], v10, s20, v[4:5]
	v_mov_b32_e32 v2, v1
	v_mad_u64_u32 v[2:3], s[4:5], v10, s21, v[2:3]
	s_mul_i32 s4, s26, s21
	s_mul_hi_u32 s5, s26, s20
	s_add_i32 s4, s5, s4
	s_mul_i32 s5, s27, s20
	s_add_i32 s5, s4, s5
	s_mul_i32 s4, s26, s20
	s_lshl_b64 s[22:23], s[4:5], 4
	v_mov_b32_e32 v1, v2
	s_add_u32 s4, s22, s8
	v_lshlrev_b64 v[38:39], 4, v[0:1]
	s_addc_u32 s5, s23, s9
	v_mov_b32_e32 v0, s5
	v_add_co_u32_e32 v6, vcc, s4, v38
	s_cmp_lg_u32 s24, 0
	v_addc_co_u32_e32 v7, vcc, v0, v39, vcc
	s_cselect_b64 s[30:31], -1, 0
	s_cmp_eq_u32 s24, 0
	s_cselect_b64 s[34:35], -1, 0
	s_and_b64 vcc, exec, s[30:31]
	s_cbranch_vccnz .LBB24_12
; %bb.11:
	s_lshl_b64 s[4:5], s[20:21], 7
	v_mov_b32_e32 v5, s5
	v_add_co_u32_e32 v8, vcc, s4, v6
	v_addc_co_u32_e32 v9, vcc, v7, v5, vcc
	global_load_dwordx4 v[0:3], v[8:9], off
	global_load_dwordx4 v[12:15], v[6:7], off
	v_add_co_u32_e32 v8, vcc, s4, v8
	v_addc_co_u32_e32 v9, vcc, v9, v5, vcc
	v_mov_b32_e32 v5, 0x180
	v_mad_u64_u32 v[24:25], s[4:5], s20, v5, v[6:7]
	s_mul_i32 s4, s21, 0x180
	v_add_u32_e32 v25, s4, v25
	global_load_dwordx4 v[16:19], v[24:25], off
	global_load_dwordx4 v[20:23], v[8:9], off
	v_mul_u32_u24_e32 v5, 33, v10
	v_add_lshl_u32 v5, v5, v4, 4
	v_add_u32_e32 v8, 0x1080, v5
	v_add_u32_e32 v9, 0x2100, v5
	;; [unrolled: 1-line block ×3, first 2 shown]
	s_waitcnt vmcnt(2)
	ds_write2_b64 v5, v[12:13], v[14:15] offset1:1
	ds_write2_b64 v8, v[0:1], v[2:3] offset1:1
	s_waitcnt vmcnt(1)
	ds_write2_b64 v11, v[16:17], v[18:19] offset1:1
	s_waitcnt vmcnt(0)
	ds_write2_b64 v9, v[20:21], v[22:23] offset1:1
	s_cbranch_execz .LBB24_13
	s_branch .LBB24_30
.LBB24_12:
.LBB24_13:
	v_lshlrev_b32_e32 v2, 4, v4
	v_sub_co_u32_e32 v0, vcc, v6, v2
	s_ashr_i32 s25, s24, 31
	v_subbrev_co_u32_e32 v1, vcc, 0, v7, vcc
	s_lshl_b64 s[8:9], s[24:25], 4
	v_mov_b32_e32 v3, s9
	v_add_co_u32_e32 v0, vcc, s8, v0
	v_addc_co_u32_e32 v1, vcc, v1, v3, vcc
	v_add_co_u32_e32 v0, vcc, -16, v0
	v_addc_co_u32_e32 v1, vcc, -1, v1, vcc
	v_cmp_gt_i32_e32 vcc, s24, v4
	v_mul_u32_u24_e32 v3, 33, v10
	v_cndmask_b32_e32 v1, v1, v7, vcc
	v_cndmask_b32_e32 v0, v0, v6, vcc
	v_cmp_le_i32_e64 s[4:5], s24, v10
	v_add_lshl_u32 v3, v3, v4, 4
	s_and_saveexec_b64 s[10:11], s[4:5]
	s_xor_b64 s[4:5], exec, s[10:11]
	s_cbranch_execz .LBB24_15
; %bb.14:
	v_mov_b32_e32 v12, 0
	v_mov_b32_e32 v13, v12
	;; [unrolled: 1-line block ×4, first 2 shown]
	ds_write_b128 v3, v[12:15]
.LBB24_15:
	s_andn2_saveexec_b64 s[4:5], s[4:5]
	s_cbranch_execz .LBB24_17
; %bb.16:
	global_load_dwordx4 v[12:15], v[0:1], off
	s_waitcnt vmcnt(0)
	ds_write2_b64 v3, v[12:13], v[14:15] offset1:1
.LBB24_17:
	s_or_b64 exec, exec, s[4:5]
	v_add_u32_e32 v5, 8, v10
	v_cmp_le_i32_e64 s[4:5], s24, v5
	s_and_saveexec_b64 s[10:11], s[4:5]
	s_xor_b64 s[4:5], exec, s[10:11]
	s_cbranch_execz .LBB24_19
; %bb.18:
	v_mul_u32_u24_e32 v5, 33, v5
	v_mov_b32_e32 v12, 0
	v_add_lshl_u32 v5, v5, v4, 4
	v_mov_b32_e32 v13, v12
	v_mov_b32_e32 v14, v12
	;; [unrolled: 1-line block ×3, first 2 shown]
	ds_write_b128 v5, v[12:15]
.LBB24_19:
	s_andn2_saveexec_b64 s[10:11], s[4:5]
	s_cbranch_execz .LBB24_21
; %bb.20:
	s_lshl_b64 s[4:5], s[20:21], 7
	v_mov_b32_e32 v5, s5
	v_add_co_u32_e64 v8, s[4:5], s4, v0
	v_addc_co_u32_e64 v9, s[4:5], v1, v5, s[4:5]
	global_load_dwordx4 v[12:15], v[8:9], off
	v_add_u32_e32 v5, 0x1080, v3
	s_waitcnt vmcnt(0)
	ds_write2_b64 v5, v[12:13], v[14:15] offset1:1
.LBB24_21:
	s_or_b64 exec, exec, s[10:11]
	v_add_u32_e32 v5, 16, v10
	v_cmp_le_i32_e64 s[4:5], s24, v5
	s_and_saveexec_b64 s[10:11], s[4:5]
	s_xor_b64 s[4:5], exec, s[10:11]
	s_cbranch_execz .LBB24_23
; %bb.22:
	v_mov_b32_e32 v12, 0
	v_mov_b32_e32 v13, v12
	;; [unrolled: 1-line block ×4, first 2 shown]
	ds_write_b128 v3, v[12:15] offset:8448
.LBB24_23:
	s_andn2_saveexec_b64 s[10:11], s[4:5]
	s_cbranch_execz .LBB24_25
; %bb.24:
	s_lshl_b64 s[4:5], s[20:21], 8
	v_mov_b32_e32 v5, s5
	v_add_co_u32_e64 v8, s[4:5], s4, v0
	v_addc_co_u32_e64 v9, s[4:5], v1, v5, s[4:5]
	global_load_dwordx4 v[12:15], v[8:9], off
	v_add_u32_e32 v5, 0x2100, v3
	s_waitcnt vmcnt(0)
	ds_write2_b64 v5, v[12:13], v[14:15] offset1:1
.LBB24_25:
	s_or_b64 exec, exec, s[10:11]
	v_add_u32_e32 v5, 24, v10
	v_cmp_le_i32_e64 s[4:5], s24, v5
	s_and_saveexec_b64 s[10:11], s[4:5]
	s_xor_b64 s[4:5], exec, s[10:11]
	s_cbranch_execz .LBB24_27
; %bb.26:
	v_mov_b32_e32 v12, 0
	v_mov_b32_e32 v13, v12
	;; [unrolled: 1-line block ×4, first 2 shown]
	ds_write_b128 v3, v[12:15] offset:12672
                                        ; implicit-def: $vgpr3
.LBB24_27:
	s_andn2_saveexec_b64 s[4:5], s[4:5]
	s_cbranch_execz .LBB24_29
; %bb.28:
	v_mov_b32_e32 v5, 0x180
	v_mad_u64_u32 v[8:9], s[10:11], s20, v5, v[0:1]
	s_mul_i32 s10, s21, 0x180
	v_add_u32_e32 v9, s10, v9
	global_load_dwordx4 v[12:15], v[8:9], off
	v_add_u32_e32 v3, 0x3180, v3
	s_waitcnt vmcnt(0)
	ds_write2_b64 v3, v[12:13], v[14:15] offset1:1
.LBB24_29:
	s_or_b64 exec, exec, s[4:5]
	v_add_co_u32_e64 v0, s[4:5], v0, v2
	v_addc_co_u32_e64 v1, s[4:5], 0, v1, s[4:5]
	v_mov_b32_e32 v2, s9
	v_subrev_co_u32_e64 v0, s[4:5], s8, v0
	v_subb_co_u32_e64 v1, s[4:5], v1, v2, s[4:5]
	v_add_co_u32_e64 v0, s[4:5], 16, v0
	v_addc_co_u32_e64 v1, s[4:5], 0, v1, s[4:5]
	v_cndmask_b32_e32 v7, v1, v7, vcc
	v_cndmask_b32_e32 v6, v0, v6, vcc
.LBB24_30:
	v_lshlrev_b32_e32 v12, 2, v10
	v_cmp_ge_u32_e64 s[18:19], v12, v4
	s_waitcnt lgkmcnt(0)
	s_barrier
	s_and_saveexec_b64 s[4:5], s[18:19]
	s_xor_b64 s[4:5], exec, s[4:5]
	s_cbranch_execz .LBB24_34
; %bb.31:
	v_cmp_eq_u32_e32 vcc, v12, v4
	s_and_saveexec_b64 s[8:9], vcc
	s_cbranch_execz .LBB24_33
; %bb.32:
	v_mul_u32_u24_e32 v0, 34, v4
	v_lshlrev_b32_e32 v2, 4, v0
	v_mov_b32_e32 v0, 0
	v_mov_b32_e32 v1, v0
	ds_write_b64 v2, v[0:1] offset:8
.LBB24_33:
	s_or_b64 exec, exec, s[8:9]
.LBB24_34:
	s_or_saveexec_b64 s[4:5], s[4:5]
	v_mul_u32_u24_e32 v44, 33, v4
	v_add_lshl_u32 v5, v12, v44, 4
	s_xor_b64 exec, exec, s[4:5]
	s_cbranch_execz .LBB24_36
; %bb.35:
	v_mul_u32_u24_e32 v0, 0x84, v10
	v_add_lshl_u32 v0, v0, v4, 4
	ds_read_b128 v[0:3], v0
	s_waitcnt lgkmcnt(0)
	v_xor_b32_e32 v3, 0x80000000, v3
	ds_write_b128 v5, v[0:3]
.LBB24_36:
	s_or_b64 exec, exec, s[4:5]
	v_or_b32_e32 v13, 1, v12
	v_cmp_ge_u32_e64 s[8:9], v13, v4
	s_and_saveexec_b64 s[4:5], s[8:9]
	s_xor_b64 s[4:5], exec, s[4:5]
	s_cbranch_execz .LBB24_40
; %bb.37:
	v_cmp_eq_u32_e32 vcc, v13, v4
	s_and_saveexec_b64 s[10:11], vcc
	s_cbranch_execz .LBB24_39
; %bb.38:
	v_mul_u32_u24_e32 v0, 34, v4
	v_lshlrev_b32_e32 v2, 4, v0
	v_mov_b32_e32 v0, 0
	v_mov_b32_e32 v1, v0
	ds_write_b64 v2, v[0:1] offset:8
.LBB24_39:
	s_or_b64 exec, exec, s[10:11]
.LBB24_40:
	s_or_saveexec_b64 s[4:5], s[4:5]
	v_mul_u32_u24_e32 v0, 33, v13
	s_xor_b64 exec, exec, s[4:5]
	s_cbranch_execz .LBB24_42
; %bb.41:
	v_add_lshl_u32 v1, v0, v4, 4
	ds_read_b128 v[14:17], v1
	s_waitcnt lgkmcnt(0)
	v_xor_b32_e32 v17, 0x80000000, v17
	ds_write_b128 v5, v[14:17] offset:16
.LBB24_42:
	s_or_b64 exec, exec, s[4:5]
	v_or_b32_e32 v14, 2, v12
	v_cmp_ge_u32_e64 s[10:11], v14, v4
	s_and_saveexec_b64 s[4:5], s[10:11]
	s_xor_b64 s[4:5], exec, s[4:5]
	s_cbranch_execz .LBB24_46
; %bb.43:
	v_cmp_eq_u32_e32 vcc, v14, v4
	s_and_saveexec_b64 s[12:13], vcc
	s_cbranch_execz .LBB24_45
; %bb.44:
	v_mul_u32_u24_e32 v1, 34, v4
	v_mov_b32_e32 v2, 0
	v_lshlrev_b32_e32 v1, 4, v1
	v_mov_b32_e32 v3, v2
	ds_write_b64 v1, v[2:3] offset:8
.LBB24_45:
	s_or_b64 exec, exec, s[12:13]
.LBB24_46:
	s_andn2_saveexec_b64 s[4:5], s[4:5]
	s_cbranch_execz .LBB24_48
; %bb.47:
	v_mul_u32_u24_e32 v1, 33, v14
	v_add_lshl_u32 v1, v1, v4, 4
	ds_read_b128 v[16:19], v1
	s_waitcnt lgkmcnt(0)
	v_xor_b32_e32 v19, 0x80000000, v19
	ds_write_b128 v5, v[16:19] offset:32
.LBB24_48:
	s_or_b64 exec, exec, s[4:5]
	v_or_b32_e32 v15, 3, v12
	v_cmp_ge_u32_e64 s[12:13], v15, v4
	s_and_saveexec_b64 s[4:5], s[12:13]
	s_xor_b64 s[4:5], exec, s[4:5]
	s_cbranch_execz .LBB24_52
; %bb.49:
	v_cmp_eq_u32_e32 vcc, v15, v4
	s_and_saveexec_b64 s[14:15], vcc
	s_cbranch_execz .LBB24_51
; %bb.50:
	v_mul_u32_u24_e32 v1, 34, v4
	v_mov_b32_e32 v2, 0
	v_lshlrev_b32_e32 v1, 4, v1
	v_mov_b32_e32 v3, v2
	ds_write_b64 v1, v[2:3] offset:8
.LBB24_51:
	s_or_b64 exec, exec, s[14:15]
.LBB24_52:
	s_andn2_saveexec_b64 s[4:5], s[4:5]
	s_cbranch_execz .LBB24_54
; %bb.53:
	v_mul_u32_u24_e32 v1, 33, v15
	v_add_lshl_u32 v1, v1, v4, 4
	ds_read_b128 v[16:19], v1
	s_waitcnt lgkmcnt(0)
	v_xor_b32_e32 v19, 0x80000000, v19
	ds_write_b128 v5, v[16:19] offset:48
.LBB24_54:
	s_or_b64 exec, exec, s[4:5]
	v_mul_u32_u24_e32 v1, 0x84, v10
	v_lshlrev_b32_e32 v17, 4, v12
	s_waitcnt lgkmcnt(0)
	s_barrier
	v_add_lshl_u32 v16, v1, v4, 4
	ds_read_b128 v[18:21], v17 offset:18176
	ds_read_b128 v[22:25], v17 offset:18192
	ds_read_b128 v[26:29], v16
	ds_read_b128 v[30:33], v17 offset:18208
	ds_read_b128 v[46:49], v17 offset:18224
	v_add_lshl_u32 v11, v0, v4, 4
	ds_read_b128 v[0:3], v11
	s_waitcnt lgkmcnt(3)
	v_mul_f64 v[8:9], v[20:21], v[28:29]
	v_fma_f64 v[8:9], v[18:19], v[26:27], -v[8:9]
	v_mul_f64 v[18:19], v[18:19], v[28:29]
	v_fmac_f64_e32 v[18:19], v[20:21], v[26:27]
	v_add_f64 v[26:27], v[18:19], 0
	s_waitcnt lgkmcnt(0)
	v_mul_f64 v[18:19], v[24:25], v[2:3]
	v_fma_f64 v[28:29], v[22:23], v[0:1], -v[18:19]
	v_mul_f64 v[2:3], v[22:23], v[2:3]
	ds_read_b128 v[18:21], v11 offset:528
	v_fmac_f64_e32 v[2:3], v[24:25], v[0:1]
	v_add_f64 v[22:23], v[26:27], v[2:3]
	ds_read_b128 v[0:3], v11 offset:1056
	v_add_f64 v[8:9], v[8:9], 0
	s_waitcnt lgkmcnt(1)
	v_mul_f64 v[24:25], v[32:33], v[20:21]
	v_mul_f64 v[20:21], v[30:31], v[20:21]
	v_fmac_f64_e32 v[20:21], v[32:33], v[18:19]
	v_add_f64 v[8:9], v[8:9], v[28:29]
	v_fma_f64 v[24:25], v[30:31], v[18:19], -v[24:25]
	v_add_f64 v[18:19], v[22:23], v[20:21]
	s_waitcnt lgkmcnt(0)
	v_mul_f64 v[20:21], v[48:49], v[2:3]
	v_mul_f64 v[2:3], v[46:47], v[2:3]
	v_add_f64 v[8:9], v[8:9], v[24:25]
	v_fma_f64 v[20:21], v[46:47], v[0:1], -v[20:21]
	v_fmac_f64_e32 v[2:3], v[48:49], v[0:1]
	v_add_f64 v[0:1], v[8:9], v[20:21]
	v_add_f64 v[2:3], v[18:19], v[2:3]
	v_add_lshl_u32 v45, v10, v44, 4
	s_barrier
	ds_write_b128 v45, v[0:3]
	v_pk_mov_b32 v[0:1], 0, 0
	v_cmp_gt_u32_e64 s[4:5], 32, v43
	v_pk_mov_b32 v[2:3], v[0:1], v[0:1] op_sel:[0,1]
	s_waitcnt lgkmcnt(0)
	s_barrier
	s_and_saveexec_b64 s[14:15], s[4:5]
	s_cbranch_execz .LBB24_56
; %bb.55:
	v_lshlrev_b32_e32 v30, 4, v44
	ds_read_b128 v[0:3], v30
	ds_read_b128 v[18:21], v30 offset:16
	ds_read_b128 v[22:25], v30 offset:32
	;; [unrolled: 1-line block ×3, first 2 shown]
	s_waitcnt lgkmcnt(2)
	v_add_f64 v[0:1], v[18:19], v[0:1]
	v_add_f64 v[8:9], v[20:21], v[2:3]
	s_waitcnt lgkmcnt(1)
	v_add_f64 v[18:19], v[0:1], v[22:23]
	ds_read_b128 v[0:3], v30 offset:64
	v_add_f64 v[8:9], v[8:9], v[24:25]
	s_waitcnt lgkmcnt(1)
	v_add_f64 v[22:23], v[18:19], v[26:27]
	ds_read_b128 v[18:21], v30 offset:80
	;; [unrolled: 4-line block ×3, first 2 shown]
	v_add_f64 v[8:9], v[8:9], v[2:3]
	ds_read_b128 v[0:3], v30 offset:112
	s_waitcnt lgkmcnt(2)
	v_add_f64 v[18:19], v[26:27], v[18:19]
	v_add_f64 v[8:9], v[8:9], v[20:21]
	s_waitcnt lgkmcnt(1)
	v_add_f64 v[18:19], v[18:19], v[22:23]
	v_add_f64 v[8:9], v[8:9], v[24:25]
	;; [unrolled: 3-line block ×3, first 2 shown]
.LBB24_56:
	s_or_b64 exec, exec, s[14:15]
	s_lshl_b64 s[14:15], s[20:21], 9
	v_mov_b32_e32 v9, s15
	v_add_co_u32_e32 v8, vcc, s14, v6
	v_addc_co_u32_e32 v9, vcc, v7, v9, vcc
	v_add_co_u32_e32 v6, vcc, 0x200, v8
	v_cndmask_b32_e64 v7, 0, 1, s[34:35]
	s_mov_b64 s[16:17], vcc
	v_cmp_ne_u32_e64 s[14:15], 1, v7
	s_andn2_b64 vcc, exec, s[34:35]
	v_addc_co_u32_e64 v7, s[16:17], 0, v9, s[16:17]
	s_barrier
	s_cbranch_vccnz .LBB24_58
; %bb.57:
	s_lshl_b64 s[16:17], s[20:21], 7
	v_mov_b32_e32 v24, s17
	v_add_co_u32_e32 v22, vcc, s16, v8
	v_addc_co_u32_e32 v23, vcc, v9, v24, vcc
	global_load_dwordx4 v[18:21], v[22:23], off offset:512
	v_add_co_u32_e32 v34, vcc, s16, v22
	v_mov_b32_e32 v22, 0x180
	v_mad_u64_u32 v[8:9], s[16:17], s20, v22, v[8:9]
	s_mul_i32 s16, s21, 0x180
	v_add_u32_e32 v9, s16, v9
	v_addc_co_u32_e32 v35, vcc, v23, v24, vcc
	global_load_dwordx4 v[22:25], v[6:7], off
	global_load_dwordx4 v[26:29], v[8:9], off offset:512
	global_load_dwordx4 v[30:33], v[34:35], off offset:512
	v_mul_u32_u24_e32 v8, 33, v10
	v_add_lshl_u32 v8, v8, v4, 4
	v_add_u32_e32 v9, 0x1080, v8
	v_add_u32_e32 v34, 0x2100, v8
	v_add_u32_e32 v35, 0x3180, v8
	s_waitcnt vmcnt(2)
	ds_write2_b64 v8, v[22:23], v[24:25] offset1:1
	ds_write2_b64 v9, v[18:19], v[20:21] offset1:1
	s_waitcnt vmcnt(1)
	ds_write2_b64 v35, v[26:27], v[28:29] offset1:1
	s_waitcnt vmcnt(0)
	ds_write2_b64 v34, v[30:31], v[32:33] offset1:1
	s_cbranch_execz .LBB24_59
	s_branch .LBB24_76
.LBB24_58:
.LBB24_59:
	v_lshlrev_b32_e32 v18, 4, v4
	v_sub_co_u32_e32 v9, vcc, v6, v18
	s_ashr_i32 s25, s24, 31
	v_subbrev_co_u32_e32 v19, vcc, 0, v7, vcc
	s_lshl_b64 s[34:35], s[24:25], 4
	v_mov_b32_e32 v20, s35
	v_add_co_u32_e32 v9, vcc, s34, v9
	v_addc_co_u32_e32 v19, vcc, v19, v20, vcc
	v_or_b32_e32 v8, 32, v4
	v_add_co_u32_e32 v20, vcc, 0xfffffdf0, v9
	v_addc_co_u32_e32 v9, vcc, -1, v19, vcc
	v_cmp_gt_i32_e64 s[16:17], s24, v8
	s_sub_i32 s25, s24, 32
	v_mul_u32_u24_e32 v19, 33, v10
	v_cndmask_b32_e64 v9, v9, v7, s[16:17]
	v_cndmask_b32_e64 v8, v20, v6, s[16:17]
	v_cmp_le_i32_e32 vcc, s25, v10
	v_add_lshl_u32 v19, v19, v4, 4
	s_and_saveexec_b64 s[38:39], vcc
	s_xor_b64 s[38:39], exec, s[38:39]
	s_cbranch_execz .LBB24_61
; %bb.60:
	v_mov_b32_e32 v20, 0
	v_mov_b32_e32 v21, v20
	;; [unrolled: 1-line block ×4, first 2 shown]
	ds_write_b128 v19, v[20:23]
.LBB24_61:
	s_andn2_saveexec_b64 s[38:39], s[38:39]
	s_cbranch_execz .LBB24_63
; %bb.62:
	global_load_dwordx4 v[20:23], v[8:9], off
	s_waitcnt vmcnt(0)
	ds_write2_b64 v19, v[20:21], v[22:23] offset1:1
.LBB24_63:
	s_or_b64 exec, exec, s[38:39]
	v_add_u32_e32 v20, 8, v10
	v_cmp_le_i32_e32 vcc, s25, v20
	s_and_saveexec_b64 s[38:39], vcc
	s_xor_b64 s[38:39], exec, s[38:39]
	s_cbranch_execz .LBB24_65
; %bb.64:
	v_mul_u32_u24_e32 v20, 33, v20
	v_add_lshl_u32 v24, v20, v4, 4
	v_mov_b32_e32 v20, 0
	v_mov_b32_e32 v21, v20
	v_mov_b32_e32 v22, v20
	v_mov_b32_e32 v23, v20
	ds_write_b128 v24, v[20:23]
.LBB24_65:
	s_andn2_saveexec_b64 s[38:39], s[38:39]
	s_cbranch_execz .LBB24_67
; %bb.66:
	s_lshl_b64 s[42:43], s[20:21], 7
	v_mov_b32_e32 v21, s43
	v_add_co_u32_e32 v20, vcc, s42, v8
	v_addc_co_u32_e32 v21, vcc, v9, v21, vcc
	global_load_dwordx4 v[20:23], v[20:21], off
	v_add_u32_e32 v24, 0x1080, v19
	s_waitcnt vmcnt(0)
	ds_write2_b64 v24, v[20:21], v[22:23] offset1:1
.LBB24_67:
	s_or_b64 exec, exec, s[38:39]
	v_add_u32_e32 v20, 16, v10
	v_cmp_le_i32_e32 vcc, s25, v20
	s_and_saveexec_b64 s[38:39], vcc
	s_xor_b64 s[38:39], exec, s[38:39]
	s_cbranch_execz .LBB24_69
; %bb.68:
	v_mov_b32_e32 v20, 0
	v_mov_b32_e32 v21, v20
	;; [unrolled: 1-line block ×4, first 2 shown]
	ds_write_b128 v19, v[20:23] offset:8448
.LBB24_69:
	s_andn2_saveexec_b64 s[38:39], s[38:39]
	s_cbranch_execz .LBB24_71
; %bb.70:
	s_lshl_b64 s[42:43], s[20:21], 8
	v_mov_b32_e32 v21, s43
	v_add_co_u32_e32 v20, vcc, s42, v8
	v_addc_co_u32_e32 v21, vcc, v9, v21, vcc
	global_load_dwordx4 v[20:23], v[20:21], off
	v_add_u32_e32 v24, 0x2100, v19
	s_waitcnt vmcnt(0)
	ds_write2_b64 v24, v[20:21], v[22:23] offset1:1
.LBB24_71:
	s_or_b64 exec, exec, s[38:39]
	v_add_u32_e32 v20, 24, v10
	v_cmp_le_i32_e32 vcc, s25, v20
	s_and_saveexec_b64 s[38:39], vcc
	s_xor_b64 s[38:39], exec, s[38:39]
	s_cbranch_execz .LBB24_73
; %bb.72:
	v_mov_b32_e32 v20, 0
	v_mov_b32_e32 v21, v20
	;; [unrolled: 1-line block ×4, first 2 shown]
	ds_write_b128 v19, v[20:23] offset:12672
                                        ; implicit-def: $vgpr19
.LBB24_73:
	s_andn2_saveexec_b64 s[38:39], s[38:39]
	s_cbranch_execz .LBB24_75
; %bb.74:
	v_mov_b32_e32 v20, 0x180
	v_mad_u64_u32 v[20:21], s[42:43], s20, v20, v[8:9]
	s_mul_i32 s25, s21, 0x180
	v_add_u32_e32 v21, s25, v21
	global_load_dwordx4 v[20:23], v[20:21], off
	v_add_u32_e32 v19, 0x3180, v19
	s_waitcnt vmcnt(0)
	ds_write2_b64 v19, v[20:21], v[22:23] offset1:1
.LBB24_75:
	s_or_b64 exec, exec, s[38:39]
	v_add_co_u32_e32 v8, vcc, v8, v18
	v_addc_co_u32_e32 v9, vcc, 0, v9, vcc
	v_mov_b32_e32 v18, s35
	v_subrev_co_u32_e32 v8, vcc, s34, v8
	v_subb_co_u32_e32 v9, vcc, v9, v18, vcc
	v_add_co_u32_e32 v8, vcc, 0x210, v8
	v_addc_co_u32_e32 v9, vcc, 0, v9, vcc
	v_cndmask_b32_e64 v7, v9, v7, s[16:17]
	v_cndmask_b32_e64 v6, v8, v6, s[16:17]
.LBB24_76:
	v_add_u32_e32 v8, 0x4700, v17
	s_lshl_b64 s[16:17], s[20:21], 5
	s_waitcnt lgkmcnt(0)
	s_barrier
	s_and_saveexec_b64 s[34:35], s[18:19]
	s_xor_b64 s[18:19], exec, s[34:35]
	s_cbranch_execnz .LBB24_89
; %bb.77:
	s_andn2_saveexec_b64 s[18:19], s[18:19]
	s_cbranch_execnz .LBB24_92
.LBB24_78:
	s_or_b64 exec, exec, s[18:19]
	s_and_saveexec_b64 s[18:19], s[8:9]
	s_xor_b64 s[8:9], exec, s[18:19]
	s_cbranch_execnz .LBB24_93
.LBB24_79:
	s_andn2_saveexec_b64 s[8:9], s[8:9]
	s_cbranch_execnz .LBB24_96
.LBB24_80:
	s_or_b64 exec, exec, s[8:9]
	s_and_saveexec_b64 s[8:9], s[10:11]
	s_xor_b64 s[8:9], exec, s[8:9]
	s_cbranch_execnz .LBB24_97
.LBB24_81:
	s_andn2_saveexec_b64 s[8:9], s[8:9]
	s_cbranch_execnz .LBB24_100
.LBB24_82:
	s_or_b64 exec, exec, s[8:9]
	s_and_saveexec_b64 s[8:9], s[12:13]
	s_xor_b64 s[8:9], exec, s[8:9]
	s_cbranch_execnz .LBB24_101
.LBB24_83:
	s_andn2_saveexec_b64 s[8:9], s[8:9]
	s_cbranch_execz .LBB24_85
.LBB24_84:
	ds_read_b128 v[12:15], v11 offset:1056
	s_waitcnt lgkmcnt(0)
	v_xor_b32_e32 v15, 0x80000000, v15
	ds_write_b128 v5, v[12:15] offset:48
.LBB24_85:
	s_or_b64 exec, exec, s[8:9]
	s_waitcnt lgkmcnt(0)
	s_barrier
	ds_read_b128 v[12:15], v8 offset:512
	ds_read_b128 v[16:19], v16
	ds_read_b128 v[20:23], v8 offset:528
	ds_read_b128 v[24:27], v8 offset:544
	v_cmp_eq_u32_e64 s[10:11], 1, v10
	s_waitcnt lgkmcnt(2)
	v_mul_f64 v[28:29], v[14:15], v[18:19]
	v_fma_f64 v[40:41], v[12:13], v[16:17], -v[28:29]
	ds_read_b128 v[28:31], v8 offset:560
	ds_read_b128 v[32:35], v11
	v_mul_f64 v[12:13], v[12:13], v[18:19]
	v_fmac_f64_e32 v[12:13], v[14:15], v[16:17]
	v_add_f64 v[18:19], v[12:13], 0
	v_add_f64 v[16:17], v[40:41], 0
	s_waitcnt lgkmcnt(0)
	v_mul_f64 v[12:13], v[22:23], v[34:35]
	v_fma_f64 v[40:41], v[20:21], v[32:33], -v[12:13]
	v_mul_f64 v[20:21], v[20:21], v[34:35]
	ds_read_b128 v[12:15], v11 offset:528
	v_fmac_f64_e32 v[20:21], v[22:23], v[32:33]
	v_add_f64 v[22:23], v[16:17], v[40:41]
	v_add_f64 v[20:21], v[18:19], v[20:21]
	ds_read_b128 v[16:19], v11 offset:1056
	s_waitcnt lgkmcnt(1)
	v_mul_f64 v[32:33], v[26:27], v[14:15]
	v_mul_f64 v[14:15], v[24:25], v[14:15]
	v_fmac_f64_e32 v[14:15], v[26:27], v[12:13]
	v_fma_f64 v[32:33], v[24:25], v[12:13], -v[32:33]
	v_add_f64 v[14:15], v[20:21], v[14:15]
	s_waitcnt lgkmcnt(0)
	v_mul_f64 v[20:21], v[30:31], v[18:19]
	v_mul_f64 v[18:19], v[28:29], v[18:19]
	v_add_f64 v[12:13], v[22:23], v[32:33]
	v_fma_f64 v[20:21], v[28:29], v[16:17], -v[20:21]
	v_fmac_f64_e32 v[18:19], v[30:31], v[16:17]
	v_add_f64 v[12:13], v[12:13], v[20:21]
	v_add_f64 v[14:15], v[14:15], v[18:19]
	s_barrier
	ds_write_b128 v45, v[12:15]
	s_waitcnt lgkmcnt(0)
	s_barrier
	s_and_saveexec_b64 s[8:9], s[10:11]
	s_cbranch_execz .LBB24_87
; %bb.86:
	v_lshlrev_b32_e32 v9, 4, v44
	ds_read_b128 v[0:3], v9
	ds_read_b128 v[12:15], v9 offset:16
	ds_read_b128 v[16:19], v9 offset:32
	;; [unrolled: 1-line block ×3, first 2 shown]
	s_waitcnt lgkmcnt(2)
	v_add_f64 v[0:1], v[12:13], v[0:1]
	v_add_f64 v[12:13], v[14:15], v[2:3]
	s_waitcnt lgkmcnt(1)
	v_add_f64 v[14:15], v[0:1], v[16:17]
	ds_read_b128 v[0:3], v9 offset:64
	v_add_f64 v[12:13], v[12:13], v[18:19]
	s_waitcnt lgkmcnt(1)
	v_add_f64 v[16:17], v[14:15], v[20:21]
	v_add_f64 v[20:21], v[12:13], v[22:23]
	ds_read_b128 v[12:15], v9 offset:80
	s_waitcnt lgkmcnt(1)
	v_add_f64 v[22:23], v[16:17], v[0:1]
	ds_read_b128 v[16:19], v9 offset:96
	v_add_f64 v[20:21], v[20:21], v[2:3]
	ds_read_b128 v[0:3], v9 offset:112
	s_waitcnt lgkmcnt(2)
	v_add_f64 v[12:13], v[22:23], v[12:13]
	v_add_f64 v[14:15], v[20:21], v[14:15]
	s_waitcnt lgkmcnt(1)
	v_add_f64 v[12:13], v[12:13], v[16:17]
	v_add_f64 v[14:15], v[14:15], v[18:19]
	;; [unrolled: 3-line block ×3, first 2 shown]
.LBB24_87:
	s_or_b64 exec, exec, s[8:9]
	s_lshl_b64 s[8:9], s[16:17], 4
	v_mov_b32_e32 v9, s9
	v_subrev_co_u32_e64 v40, s[8:9], s8, v6
	s_and_b64 vcc, exec, s[14:15]
	v_subb_co_u32_e64 v41, s[8:9], v7, v9, s[8:9]
	s_barrier
	s_cbranch_vccnz .LBB24_104
; %bb.88:
	s_lshl_b64 s[8:9], s[20:21], 7
	v_mov_b32_e32 v9, s9
	v_add_co_u32_e32 v6, vcc, s8, v40
	v_addc_co_u32_e32 v7, vcc, v41, v9, vcc
	global_load_dwordx4 v[16:19], v[40:41], off
	global_load_dwordx4 v[20:23], v[6:7], off
	v_add_co_u32_e32 v6, vcc, s8, v6
	v_addc_co_u32_e32 v7, vcc, v7, v9, vcc
	v_mov_b32_e32 v9, 0x180
	v_mad_u64_u32 v[12:13], s[8:9], s20, v9, v[40:41]
	s_mul_i32 s8, s21, 0x180
	v_add_u32_e32 v13, s8, v13
	global_load_dwordx4 v[24:27], v[6:7], off
	global_load_dwordx4 v[28:31], v[12:13], off
	v_mad_u32_u24 v9, v10, 33, v4
	v_add_u32_e32 v11, 8, v10
	v_add_u32_e32 v12, 16, v10
	;; [unrolled: 1-line block ×3, first 2 shown]
	v_lshlrev_b32_e32 v15, 4, v9
	v_add_u32_e32 v7, 0x108, v9
	v_add_u32_e32 v6, 0x210, v9
	;; [unrolled: 1-line block ×6, first 2 shown]
	s_waitcnt vmcnt(3)
	ds_write2_b64 v15, v[16:17], v[18:19] offset1:1
	s_waitcnt vmcnt(2)
	ds_write2_b64 v32, v[20:21], v[22:23] offset1:1
	;; [unrolled: 2-line block ×4, first 2 shown]
	s_cbranch_execz .LBB24_105
	s_branch .LBB24_122
.LBB24_89:
	v_cmp_eq_u32_e32 vcc, v12, v4
	s_and_saveexec_b64 s[34:35], vcc
	s_cbranch_execz .LBB24_91
; %bb.90:
	v_mul_u32_u24_e32 v9, 34, v4
	v_mov_b32_e32 v18, 0
	v_lshlrev_b32_e32 v9, 4, v9
	v_mov_b32_e32 v19, v18
	ds_write_b64 v9, v[18:19] offset:8
.LBB24_91:
	s_or_b64 exec, exec, s[34:35]
	s_andn2_saveexec_b64 s[18:19], s[18:19]
	s_cbranch_execz .LBB24_78
.LBB24_92:
	ds_read_b128 v[18:21], v16
	s_waitcnt lgkmcnt(0)
	v_xor_b32_e32 v21, 0x80000000, v21
	ds_write_b128 v5, v[18:21]
	s_or_b64 exec, exec, s[18:19]
	s_and_saveexec_b64 s[18:19], s[8:9]
	s_xor_b64 s[8:9], exec, s[18:19]
	s_cbranch_execz .LBB24_79
.LBB24_93:
	v_cmp_eq_u32_e32 vcc, v13, v4
	s_and_saveexec_b64 s[18:19], vcc
	s_cbranch_execz .LBB24_95
; %bb.94:
	v_mul_u32_u24_e32 v9, 34, v4
	v_mov_b32_e32 v12, 0
	v_lshlrev_b32_e32 v9, 4, v9
	v_mov_b32_e32 v13, v12
	ds_write_b64 v9, v[12:13] offset:8
.LBB24_95:
	s_or_b64 exec, exec, s[18:19]
	s_andn2_saveexec_b64 s[8:9], s[8:9]
	s_cbranch_execz .LBB24_80
.LBB24_96:
	ds_read_b128 v[18:21], v11
	s_waitcnt lgkmcnt(0)
	v_xor_b32_e32 v21, 0x80000000, v21
	ds_write_b128 v5, v[18:21] offset:16
	s_or_b64 exec, exec, s[8:9]
	s_and_saveexec_b64 s[8:9], s[10:11]
	s_xor_b64 s[8:9], exec, s[8:9]
	s_cbranch_execz .LBB24_81
.LBB24_97:
	v_cmp_eq_u32_e32 vcc, v14, v4
	s_and_saveexec_b64 s[10:11], vcc
	s_cbranch_execz .LBB24_99
; %bb.98:
	v_mul_u32_u24_e32 v9, 34, v4
	v_mov_b32_e32 v12, 0
	v_lshlrev_b32_e32 v9, 4, v9
	v_mov_b32_e32 v13, v12
	ds_write_b64 v9, v[12:13] offset:8
.LBB24_99:
	s_or_b64 exec, exec, s[10:11]
	s_andn2_saveexec_b64 s[8:9], s[8:9]
	s_cbranch_execz .LBB24_82
.LBB24_100:
	ds_read_b128 v[18:21], v11 offset:528
	s_waitcnt lgkmcnt(0)
	v_xor_b32_e32 v21, 0x80000000, v21
	ds_write_b128 v5, v[18:21] offset:32
	s_or_b64 exec, exec, s[8:9]
	s_and_saveexec_b64 s[8:9], s[12:13]
	s_xor_b64 s[8:9], exec, s[8:9]
	s_cbranch_execz .LBB24_83
.LBB24_101:
	v_cmp_eq_u32_e32 vcc, v15, v4
	s_and_saveexec_b64 s[10:11], vcc
	s_cbranch_execz .LBB24_103
; %bb.102:
	v_mul_u32_u24_e32 v9, 34, v4
	v_mov_b32_e32 v12, 0
	v_lshlrev_b32_e32 v9, 4, v9
	v_mov_b32_e32 v13, v12
	ds_write_b64 v9, v[12:13] offset:8
.LBB24_103:
	s_or_b64 exec, exec, s[10:11]
	s_andn2_saveexec_b64 s[8:9], s[8:9]
	s_cbranch_execnz .LBB24_84
	s_branch .LBB24_85
.LBB24_104:
                                        ; implicit-def: $vgpr9
                                        ; implicit-def: $vgpr11
                                        ; implicit-def: $vgpr7
                                        ; implicit-def: $vgpr12
                                        ; implicit-def: $vgpr6
                                        ; implicit-def: $vgpr13
                                        ; implicit-def: $vgpr14
.LBB24_105:
	v_lshlrev_b32_e32 v15, 4, v4
	v_sub_co_u32_e32 v7, vcc, v40, v15
	s_ashr_i32 s25, s24, 31
	v_subbrev_co_u32_e32 v9, vcc, 0, v41, vcc
	s_lshl_b64 s[12:13], s[24:25], 4
	v_mov_b32_e32 v11, s13
	v_add_co_u32_e32 v7, vcc, s12, v7
	v_addc_co_u32_e32 v9, vcc, v9, v11, vcc
	v_or_b32_e32 v6, 32, v4
	v_add_co_u32_e32 v11, vcc, 0xfffffdf0, v7
	v_addc_co_u32_e32 v7, vcc, -1, v9, vcc
	v_cmp_gt_i32_e64 s[8:9], s24, v6
	v_mad_u32_u24 v9, v10, 33, v4
	v_cndmask_b32_e64 v7, v7, v41, s[8:9]
	v_cndmask_b32_e64 v6, v11, v40, s[8:9]
	v_cmp_le_i32_e32 vcc, s24, v10
	v_lshlrev_b32_e32 v16, 4, v9
	s_and_saveexec_b64 s[14:15], vcc
	s_xor_b64 s[14:15], exec, s[14:15]
	s_cbranch_execz .LBB24_107
; %bb.106:
	v_mov_b32_e32 v18, 0
	v_mov_b32_e32 v19, v18
	;; [unrolled: 1-line block ×4, first 2 shown]
	ds_write_b128 v16, v[18:21]
.LBB24_107:
	s_andn2_saveexec_b64 s[14:15], s[14:15]
	s_cbranch_execz .LBB24_109
; %bb.108:
	global_load_dwordx4 v[18:21], v[6:7], off
	s_waitcnt vmcnt(0)
	ds_write2_b64 v16, v[18:19], v[20:21] offset1:1
.LBB24_109:
	s_or_b64 exec, exec, s[14:15]
	v_add_u32_e32 v11, 8, v10
	v_cmp_le_i32_e32 vcc, s24, v11
	s_and_saveexec_b64 s[14:15], vcc
	s_xor_b64 s[14:15], exec, s[14:15]
	s_cbranch_execz .LBB24_111
; %bb.110:
	v_mul_u32_u24_e32 v12, 33, v11
	v_mov_b32_e32 v18, 0
	v_add_lshl_u32 v12, v12, v4, 4
	v_mov_b32_e32 v19, v18
	v_mov_b32_e32 v20, v18
	v_mov_b32_e32 v21, v18
	ds_write_b128 v12, v[18:21]
.LBB24_111:
	s_andn2_saveexec_b64 s[14:15], s[14:15]
	s_cbranch_execz .LBB24_113
; %bb.112:
	s_lshl_b64 s[16:17], s[20:21], 7
	v_mov_b32_e32 v13, s17
	v_add_co_u32_e32 v12, vcc, s16, v6
	v_addc_co_u32_e32 v13, vcc, v7, v13, vcc
	global_load_dwordx4 v[18:21], v[12:13], off
	v_add_u32_e32 v12, 0x1080, v16
	s_waitcnt vmcnt(0)
	ds_write2_b64 v12, v[18:19], v[20:21] offset1:1
.LBB24_113:
	s_or_b64 exec, exec, s[14:15]
	v_add_u32_e32 v12, 16, v10
	v_cmp_le_i32_e32 vcc, s24, v12
	s_and_saveexec_b64 s[14:15], vcc
	s_xor_b64 s[14:15], exec, s[14:15]
	s_cbranch_execz .LBB24_115
; %bb.114:
	v_mul_u32_u24_e32 v13, 33, v12
	v_mov_b32_e32 v18, 0
	v_add_lshl_u32 v4, v13, v4, 4
	v_mov_b32_e32 v19, v18
	v_mov_b32_e32 v20, v18
	;; [unrolled: 1-line block ×3, first 2 shown]
	ds_write_b128 v4, v[18:21]
.LBB24_115:
	s_andn2_saveexec_b64 s[14:15], s[14:15]
	s_cbranch_execz .LBB24_117
; %bb.116:
	s_lshl_b64 s[16:17], s[20:21], 8
	v_mov_b32_e32 v4, s17
	v_add_co_u32_e32 v18, vcc, s16, v6
	v_addc_co_u32_e32 v19, vcc, v7, v4, vcc
	global_load_dwordx4 v[18:21], v[18:19], off
	v_add_u32_e32 v4, 0x2100, v16
	s_waitcnt vmcnt(0)
	ds_write2_b64 v4, v[18:19], v[20:21] offset1:1
.LBB24_117:
	s_or_b64 exec, exec, s[14:15]
	v_add_u32_e32 v13, 24, v10
	v_cmp_le_i32_e32 vcc, s24, v13
                                        ; implicit-def: $vgpr14
	s_and_saveexec_b64 s[14:15], vcc
	s_xor_b64 s[14:15], exec, s[14:15]
	s_cbranch_execz .LBB24_119
; %bb.118:
	v_mov_b32_e32 v18, 0
	v_add_u32_e32 v14, 0x318, v9
	v_mov_b32_e32 v19, v18
	v_mov_b32_e32 v20, v18
	;; [unrolled: 1-line block ×3, first 2 shown]
	ds_write_b128 v16, v[18:21] offset:12672
                                        ; implicit-def: $vgpr16
.LBB24_119:
	s_andn2_saveexec_b64 s[14:15], s[14:15]
	s_cbranch_execz .LBB24_121
; %bb.120:
	v_mov_b32_e32 v4, 0x180
	v_mad_u64_u32 v[18:19], s[16:17], s20, v4, v[6:7]
	s_mul_i32 s16, s21, 0x180
	v_add_u32_e32 v19, s16, v19
	global_load_dwordx4 v[18:21], v[18:19], off
	v_add_u32_e32 v14, 0x318, v9
	v_add_u32_e32 v4, 0x3180, v16
	s_waitcnt vmcnt(0)
	ds_write2_b64 v4, v[18:19], v[20:21] offset1:1
.LBB24_121:
	s_or_b64 exec, exec, s[14:15]
	v_add_co_u32_e32 v4, vcc, v6, v15
	v_addc_co_u32_e32 v6, vcc, 0, v7, vcc
	v_mov_b32_e32 v7, s13
	v_subrev_co_u32_e32 v4, vcc, s12, v4
	v_subb_co_u32_e32 v6, vcc, v6, v7, vcc
	v_add_co_u32_e32 v4, vcc, 0x210, v4
	v_addc_co_u32_e32 v6, vcc, 0, v6, vcc
	v_cndmask_b32_e64 v41, v6, v41, s[8:9]
	v_cndmask_b32_e64 v40, v4, v40, s[8:9]
	v_add_u32_e32 v7, 0x108, v9
	v_add_u32_e32 v6, 0x210, v9
.LBB24_122:
	v_lshlrev_b32_e32 v4, 4, v9
	v_lshlrev_b32_e32 v9, 4, v10
	s_waitcnt lgkmcnt(0)
	s_barrier
	ds_read_b128 v[46:49], v9 offset:18176
	ds_read_b128 v[50:53], v4
	v_lshlrev_b32_e32 v4, 4, v7
	v_lshlrev_b32_e32 v7, 4, v11
	ds_read_b128 v[54:57], v7 offset:18176
	ds_read_b128 v[58:61], v4
	v_lshlrev_b32_e32 v4, 4, v6
	v_lshlrev_b32_e32 v6, 4, v12
	ds_read_b128 v[62:65], v6 offset:18176
	ds_read_b128 v[66:69], v4
	v_lshlrev_b32_e32 v6, 4, v13
	s_waitcnt lgkmcnt(4)
	v_mul_f64 v[10:11], v[48:49], v[52:53]
	v_lshlrev_b32_e32 v4, 4, v14
	ds_read_b128 v[70:73], v6 offset:18176
	ds_read_b128 v[74:77], v4
	v_fma_f64 v[10:11], v[46:47], v[50:51], -v[10:11]
	s_waitcnt lgkmcnt(4)
	v_mul_f64 v[16:17], v[56:57], v[60:61]
	v_add_f64 v[10:11], v[10:11], 0
	v_fma_f64 v[16:17], v[54:55], v[58:59], -v[16:17]
	v_add_f64 v[6:7], v[10:11], v[16:17]
	s_waitcnt lgkmcnt(2)
	v_mul_f64 v[10:11], v[64:65], v[68:69]
	v_fma_f64 v[10:11], v[62:63], v[66:67], -v[10:11]
	v_add_f64 v[6:7], v[6:7], v[10:11]
	s_waitcnt lgkmcnt(0)
	v_mul_f64 v[10:11], v[72:73], v[76:77]
	v_fma_f64 v[10:11], v[70:71], v[74:75], -v[10:11]
	v_add_f64 v[78:79], v[6:7], v[10:11]
	ds_read_b128 v[28:31], v5
	ds_read_b128 v[20:23], v5 offset:16
	ds_read_b128 v[12:15], v5 offset:32
	;; [unrolled: 1-line block ×7, first 2 shown]
	v_mul_f64 v[46:47], v[46:47], v[52:53]
	v_fmac_f64_e32 v[46:47], v[48:49], v[50:51]
	v_mul_f64 v[48:49], v[54:55], v[60:61]
	v_add_f64 v[46:47], v[46:47], 0
	v_fmac_f64_e32 v[48:49], v[56:57], v[58:59]
	v_add_f64 v[46:47], v[46:47], v[48:49]
	v_mul_f64 v[48:49], v[62:63], v[68:69]
	v_fmac_f64_e32 v[48:49], v[64:65], v[66:67]
	v_add_f64 v[46:47], v[46:47], v[48:49]
	v_mul_f64 v[48:49], v[70:71], v[76:77]
	v_fmac_f64_e32 v[48:49], v[72:73], v[74:75]
	v_add_f64 v[80:81], v[46:47], v[48:49]
	s_waitcnt lgkmcnt(0)
	s_barrier
	ds_write_b128 v45, v[78:81]
	s_waitcnt lgkmcnt(0)
	s_barrier
	s_and_saveexec_b64 s[8:9], s[10:11]
	s_cbranch_execz .LBB24_124
; %bb.123:
	v_lshlrev_b32_e32 v62, 4, v44
	ds_read_b128 v[46:49], v62
	ds_read_b128 v[50:53], v62 offset:16
	ds_read_b128 v[54:57], v62 offset:32
	;; [unrolled: 1-line block ×3, first 2 shown]
	s_waitcnt lgkmcnt(3)
	v_add_f64 v[0:1], v[0:1], v[46:47]
	v_add_f64 v[2:3], v[2:3], v[48:49]
	s_waitcnt lgkmcnt(2)
	v_add_f64 v[0:1], v[0:1], v[50:51]
	v_add_f64 v[46:47], v[2:3], v[52:53]
	s_waitcnt lgkmcnt(1)
	v_add_f64 v[48:49], v[0:1], v[54:55]
	ds_read_b128 v[0:3], v62 offset:64
	v_add_f64 v[46:47], v[46:47], v[56:57]
	s_waitcnt lgkmcnt(1)
	v_add_f64 v[50:51], v[48:49], v[58:59]
	v_add_f64 v[54:55], v[46:47], v[60:61]
	ds_read_b128 v[46:49], v62 offset:80
	s_waitcnt lgkmcnt(1)
	v_add_f64 v[56:57], v[50:51], v[0:1]
	ds_read_b128 v[50:53], v62 offset:96
	v_add_f64 v[54:55], v[54:55], v[2:3]
	ds_read_b128 v[0:3], v62 offset:112
	s_waitcnt lgkmcnt(2)
	v_add_f64 v[46:47], v[56:57], v[46:47]
	v_add_f64 v[48:49], v[54:55], v[48:49]
	s_waitcnt lgkmcnt(1)
	v_add_f64 v[46:47], v[46:47], v[50:51]
	v_add_f64 v[48:49], v[48:49], v[52:53]
	;; [unrolled: 3-line block ×3, first 2 shown]
.LBB24_124:
	s_or_b64 exec, exec, s[8:9]
	v_mul_f64 v[46:47], v[30:31], v[34:35]
	v_mul_f64 v[30:31], v[30:31], v[32:33]
	v_fmac_f64_e32 v[46:47], v[28:29], v[32:33]
	v_fma_f64 v[28:29], v[28:29], v[34:35], -v[30:31]
	v_mul_f64 v[32:33], v[22:23], v[26:27]
	v_mul_f64 v[22:23], v[22:23], v[24:25]
	v_add_f64 v[30:31], v[46:47], 0
	v_add_f64 v[28:29], v[28:29], 0
	v_fmac_f64_e32 v[32:33], v[20:21], v[24:25]
	v_fma_f64 v[20:21], v[20:21], v[26:27], -v[22:23]
	v_mul_f64 v[24:25], v[14:15], v[18:19]
	v_mul_f64 v[14:15], v[14:15], v[16:17]
	v_add_f64 v[22:23], v[30:31], v[32:33]
	v_add_f64 v[20:21], v[28:29], v[20:21]
	;; [unrolled: 6-line block ×3, first 2 shown]
	v_fmac_f64_e32 v[16:17], v[4:5], v[8:9]
	v_fma_f64 v[6:7], v[4:5], v[10:11], -v[6:7]
	v_add_f64 v[4:5], v[14:15], v[16:17]
	v_add_f64 v[6:7], v[12:13], v[6:7]
	s_barrier
	ds_write_b128 v45, v[4:7]
	s_waitcnt lgkmcnt(0)
	s_barrier
	s_and_saveexec_b64 s[8:9], s[4:5]
	s_cbranch_execz .LBB24_126
; %bb.125:
	v_lshlrev_b32_e32 v20, 4, v44
	ds_read_b128 v[4:7], v20
	ds_read_b128 v[8:11], v20 offset:16
	ds_read_b128 v[12:15], v20 offset:32
	;; [unrolled: 1-line block ×3, first 2 shown]
	s_waitcnt lgkmcnt(3)
	v_add_f64 v[0:1], v[0:1], v[4:5]
	v_add_f64 v[2:3], v[2:3], v[6:7]
	s_waitcnt lgkmcnt(2)
	v_add_f64 v[0:1], v[0:1], v[8:9]
	v_add_f64 v[4:5], v[2:3], v[10:11]
	s_waitcnt lgkmcnt(1)
	v_add_f64 v[6:7], v[0:1], v[12:13]
	ds_read_b128 v[0:3], v20 offset:64
	v_add_f64 v[4:5], v[4:5], v[14:15]
	s_waitcnt lgkmcnt(1)
	v_add_f64 v[8:9], v[6:7], v[16:17]
	v_add_f64 v[12:13], v[4:5], v[18:19]
	ds_read_b128 v[4:7], v20 offset:80
	s_waitcnt lgkmcnt(1)
	v_add_f64 v[14:15], v[8:9], v[0:1]
	ds_read_b128 v[8:11], v20 offset:96
	v_add_f64 v[12:13], v[12:13], v[2:3]
	ds_read_b128 v[0:3], v20 offset:112
	s_waitcnt lgkmcnt(2)
	v_add_f64 v[4:5], v[14:15], v[4:5]
	v_add_f64 v[6:7], v[12:13], v[6:7]
	s_waitcnt lgkmcnt(1)
	v_add_f64 v[4:5], v[4:5], v[8:9]
	v_add_f64 v[6:7], v[6:7], v[10:11]
	s_waitcnt lgkmcnt(0)
	v_add_f64 v[0:1], v[4:5], v[0:1]
	v_add_f64 v[2:3], v[6:7], v[2:3]
.LBB24_126:
	s_or_b64 exec, exec, s[8:9]
	s_mul_hi_u32 s4, s33, s7
	s_mul_i32 s41, s41, s7
	s_add_i32 s4, s4, s41
	s_mul_i32 s7, s33, s7
	s_mul_i32 s4, s4, s40
	s_mul_hi_u32 s5, s7, s40
	s_add_i32 s5, s5, s4
	s_mul_i32 s4, s7, s40
	s_lshl_b64 s[4:5], s[4:5], 4
	s_add_u32 s7, s28, s4
	s_mul_i32 s4, s6, s33
	s_addc_u32 s8, s29, s5
	s_ashr_i32 s5, s4, 31
	s_lshl_b64 s[4:5], s[4:5], 4
	s_add_u32 s7, s7, s4
	v_cmp_le_i32_e32 vcc, s24, v42
	s_addc_u32 s14, s8, s5
	s_and_b64 vcc, s[30:31], vcc
	s_cmp_lt_i32 s6, 1
	v_lshlrev_b32_e32 v155, 4, v42
	s_barrier
	s_cbranch_scc1 .LBB24_133
; %bb.127:
	s_mul_i32 s4, s26, s37
	s_mul_hi_u32 s5, s26, s36
	s_add_i32 s4, s5, s4
	s_mul_i32 s5, s27, s36
	s_add_i32 s5, s4, s5
	s_mul_i32 s4, s26, s36
	s_lshl_b64 s[4:5], s[4:5], 4
	v_mov_b32_e32 v4, s5
	v_subrev_co_u32_e64 v156, s[4:5], s4, v36
	v_subb_co_u32_e64 v157, s[4:5], v37, v4, s[4:5]
	v_mov_b32_e32 v4, s23
	v_subrev_co_u32_e64 v5, s[4:5], s22, v40
	v_subb_co_u32_e64 v4, s[4:5], v41, v4, s[4:5]
	v_lshlrev_b32_e32 v7, 2, v154
	v_sub_co_u32_e64 v8, s[4:5], v5, v38
	v_subb_co_u32_e64 v9, s[4:5], v4, v39, s[4:5]
	v_mad_u64_u32 v[4:5], s[4:5], v7, s20, 0
	v_mov_b32_e32 v6, v5
	v_mad_u64_u32 v[6:7], s[4:5], v7, s21, v[6:7]
	v_mov_b32_e32 v5, v6
	v_lshlrev_b64 v[4:5], 4, v[4:5]
	v_add_co_u32_e64 v4, s[4:5], v8, v4
	v_addc_co_u32_e64 v5, s[4:5], v9, v5, s[4:5]
	s_ashr_i32 s25, s24, 31
	s_lshl_b64 s[4:5], s[24:25], 4
	v_mov_b32_e32 v6, s5
	v_add_co_u32_e64 v7, s[4:5], s4, v4
	v_addc_co_u32_e64 v6, s[4:5], v5, v6, s[4:5]
	s_movk_i32 s4, 0xfdf0
	v_add_co_u32_e64 v7, s[4:5], s4, v7
	v_addc_co_u32_e64 v6, s[4:5], -1, v6, s[4:5]
	v_add_co_u32_e64 v4, s[4:5], v4, v155
	v_addc_co_u32_e64 v5, s[4:5], 0, v5, s[4:5]
	s_movk_i32 s4, 0xfe00
	v_add_co_u32_e64 v4, s[4:5], s4, v4
	v_addc_co_u32_e64 v5, s[4:5], -1, v5, s[4:5]
	v_cndmask_b32_e32 v8, v4, v7, vcc
	v_and_b32_e32 v4, 48, v42
	v_and_b32_e32 v10, 15, v42
	v_cndmask_b32_e32 v9, v5, v6, vcc
	v_lshlrev_b32_e32 v5, 4, v4
	s_movk_i32 s8, 0x430
	v_mad_u32_u24 v160, v10, s8, v5
	v_or_b32_e32 v5, 0xf0, v155
	v_mad_u32_u24 v161, v10, s8, v5
	v_lshlrev_b32_e32 v5, 2, v43
	v_and_b32_e32 v5, 0x7ffc0, v5
	v_mad_u32_u24 v162, v10, s8, v5
	v_mov_b32_e32 v5, 0x4300
	v_lshl_add_u32 v163, v154, 6, v5
	s_movk_i32 s9, 0x10c0
	v_and_b32_e32 v5, 0x1fff0, v43
	v_mad_u32_u24 v164, v154, s9, v155
	v_mad_u32_u24 v165, v10, s8, v5
	s_mul_i32 s8, s21, 0xd0
	s_mul_hi_u32 s9, s20, 0xd0
	s_lshl_b64 s[10:11], s[20:21], 4
	s_add_i32 s15, s9, s8
	v_mov_b32_e32 v151, 0
	v_add_u32_e32 v158, 0x4300, v155
	v_add_u32_e32 v159, 0x4700, v155
	v_cmp_gt_u32_e64 s[4:5], 64, v43
	s_mul_i32 s16, s20, 0xd0
	v_or_b32_e32 v166, v4, v10
	s_mov_b32 s17, 0
	v_mov_b32_e32 v167, s11
	v_mov_b32_e32 v168, s15
	s_branch .LBB24_129
.LBB24_128:                             ;   in Loop: Header=BB24_129 Depth=1
	s_or_b64 exec, exec, s[12:13]
	v_mul_f64 v[132:133], v[6:7], v[22:23]
	v_fma_f64 v[132:133], v[4:5], v[20:21], -v[132:133]
	v_mul_f64 v[4:5], v[4:5], v[22:23]
	v_mul_f64 v[22:23], v[10:11], v[42:43]
	v_add_f64 v[0:1], v[0:1], v[132:133]
	v_fma_f64 v[22:23], v[8:9], v[40:41], -v[22:23]
	v_add_f64 v[0:1], v[0:1], v[22:23]
	v_mul_f64 v[22:23], v[14:15], v[46:47]
	v_fma_f64 v[22:23], v[12:13], v[44:45], -v[22:23]
	v_add_f64 v[0:1], v[0:1], v[22:23]
	v_mul_f64 v[22:23], v[18:19], v[50:51]
	v_fmac_f64_e32 v[4:5], v[6:7], v[20:21]
	v_fma_f64 v[22:23], v[16:17], v[48:49], -v[22:23]
	v_add_f64 v[2:3], v[2:3], v[4:5]
	v_mul_f64 v[4:5], v[26:27], v[70:71]
	v_add_f64 v[0:1], v[0:1], v[22:23]
	v_fma_f64 v[4:5], v[24:25], v[68:69], -v[4:5]
	v_add_f64 v[0:1], v[0:1], v[4:5]
	v_mul_f64 v[4:5], v[34:35], v[82:83]
	v_fma_f64 v[4:5], v[32:33], v[80:81], -v[4:5]
	v_add_f64 v[0:1], v[0:1], v[4:5]
	v_mul_f64 v[4:5], v[30:31], v[78:79]
	;; [unrolled: 3-line block ×4, first 2 shown]
	v_mul_f64 v[8:9], v[8:9], v[42:43]
	v_fma_f64 v[4:5], v[52:53], v[100:101], -v[4:5]
	v_mul_f64 v[12:13], v[12:13], v[46:47]
	v_fmac_f64_e32 v[8:9], v[10:11], v[40:41]
	v_add_f64 v[0:1], v[0:1], v[4:5]
	v_mul_f64 v[4:5], v[62:63], v[118:119]
	v_mul_f64 v[16:17], v[16:17], v[50:51]
	v_add_f64 v[2:3], v[2:3], v[8:9]
	v_fmac_f64_e32 v[12:13], v[14:15], v[44:45]
	v_fma_f64 v[4:5], v[60:61], v[116:117], -v[4:5]
	v_add_f64 v[2:3], v[2:3], v[12:13]
	v_fmac_f64_e32 v[16:17], v[18:19], v[48:49]
	v_mul_f64 v[6:7], v[24:25], v[70:71]
	v_add_f64 v[0:1], v[0:1], v[4:5]
	v_mul_f64 v[4:5], v[58:59], v[114:115]
	v_add_f64 v[2:3], v[2:3], v[16:17]
	v_mul_f64 v[8:9], v[32:33], v[82:83]
	v_fmac_f64_e32 v[6:7], v[26:27], v[68:69]
	v_fma_f64 v[4:5], v[56:57], v[112:113], -v[4:5]
	v_mul_f64 v[10:11], v[28:29], v[78:79]
	v_add_f64 v[2:3], v[2:3], v[6:7]
	v_fmac_f64_e32 v[8:9], v[34:35], v[80:81]
	v_add_f64 v[0:1], v[0:1], v[4:5]
	v_mul_f64 v[4:5], v[66:67], v[110:111]
	v_mul_f64 v[12:13], v[36:37], v[74:75]
	v_add_f64 v[2:3], v[2:3], v[8:9]
	v_fmac_f64_e32 v[10:11], v[30:31], v[76:77]
	v_fma_f64 v[4:5], v[64:65], v[108:109], -v[4:5]
	v_add_f64 v[2:3], v[2:3], v[10:11]
	v_fmac_f64_e32 v[12:13], v[38:39], v[72:73]
	v_mul_f64 v[6:7], v[52:53], v[102:103]
	v_add_f64 v[0:1], v[0:1], v[4:5]
	v_mul_f64 v[4:5], v[90:91], v[106:107]
	v_add_f64 v[2:3], v[2:3], v[12:13]
	v_mul_f64 v[8:9], v[60:61], v[118:119]
	v_fmac_f64_e32 v[6:7], v[54:55], v[100:101]
	v_fma_f64 v[4:5], v[88:89], v[104:105], -v[4:5]
	v_mul_f64 v[10:11], v[56:57], v[114:115]
	v_add_f64 v[2:3], v[2:3], v[6:7]
	v_fmac_f64_e32 v[8:9], v[62:63], v[116:117]
	v_add_f64 v[0:1], v[0:1], v[4:5]
	v_mul_f64 v[4:5], v[94:95], v[122:123]
	v_mul_f64 v[12:13], v[64:65], v[110:111]
	v_add_f64 v[2:3], v[2:3], v[8:9]
	v_fmac_f64_e32 v[10:11], v[58:59], v[112:113]
	v_fma_f64 v[4:5], v[92:93], v[120:121], -v[4:5]
	v_add_f64 v[2:3], v[2:3], v[10:11]
	v_fmac_f64_e32 v[12:13], v[66:67], v[108:109]
	v_mul_f64 v[6:7], v[88:89], v[106:107]
	v_add_f64 v[0:1], v[0:1], v[4:5]
	v_mul_f64 v[4:5], v[86:87], v[126:127]
	v_add_f64 v[2:3], v[2:3], v[12:13]
	v_mul_f64 v[8:9], v[92:93], v[122:123]
	v_fma_f64 v[4:5], v[84:85], v[124:125], -v[4:5]
	v_fmac_f64_e32 v[6:7], v[90:91], v[104:105]
	v_mul_f64 v[10:11], v[84:85], v[126:127]
	v_add_f64 v[0:1], v[0:1], v[4:5]
	v_mul_f64 v[4:5], v[98:99], v[130:131]
	v_fmac_f64_e32 v[8:9], v[94:95], v[120:121]
	v_add_f64 v[2:3], v[2:3], v[6:7]
	v_fma_f64 v[4:5], v[96:97], v[128:129], -v[4:5]
	v_mul_f64 v[12:13], v[96:97], v[130:131]
	v_fmac_f64_e32 v[10:11], v[86:87], v[124:125]
	v_add_f64 v[2:3], v[2:3], v[8:9]
	v_add_f64 v[0:1], v[0:1], v[4:5]
	v_fmac_f64_e32 v[12:13], v[98:99], v[128:129]
	v_add_f64 v[2:3], v[2:3], v[10:11]
	s_add_i32 s17, s17, 64
	s_add_i32 s6, s6, -1
	v_mov_b32_e32 v4, s15
	v_add_co_u32_e64 v8, s[8:9], s16, v152
	v_add_f64 v[2:3], v[2:3], v[12:13]
	s_cmp_eq_u32 s6, 0
	v_addc_co_u32_e64 v9, s[8:9], v153, v4, s[8:9]
	s_barrier
	s_cbranch_scc1 .LBB24_133
.LBB24_129:                             ; =>This Inner Loop Header: Depth=1
	s_and_saveexec_b64 s[12:13], s[2:3]
	s_cbranch_execz .LBB24_131
; %bb.130:                              ;   in Loop: Header=BB24_129 Depth=1
	s_mul_i32 s8, s17, s37
	s_mul_hi_u32 s9, s17, s36
	s_add_i32 s9, s9, s8
	s_mul_i32 s8, s17, s36
	s_lshl_b64 s[8:9], s[8:9], 4
	v_mov_b32_e32 v5, s9
	v_add_co_u32_e64 v4, s[8:9], s8, v156
	v_addc_co_u32_e64 v5, s[8:9], v157, v5, s[8:9]
	global_load_dwordx4 v[4:7], v[4:5], off
	s_waitcnt vmcnt(0)
	ds_write2_b64 v158, v[4:5], v[6:7] offset1:1
.LBB24_131:                             ;   in Loop: Header=BB24_129 Depth=1
	s_or_b64 exec, exec, s[12:13]
	v_add_co_u32_e64 v12, s[8:9], s10, v8
	v_addc_co_u32_e64 v13, s[8:9], v9, v167, s[8:9]
	v_add_co_u32_e64 v16, s[8:9], s10, v12
	s_waitcnt lgkmcnt(0)
	s_barrier
	global_load_dwordx4 v[4:7], v[8:9], off
	v_addc_co_u32_e64 v17, s[8:9], v13, v167, s[8:9]
	global_load_dwordx4 v[8:11], v[12:13], off
	v_add_co_u32_e64 v28, s[8:9], s10, v16
	global_load_dwordx4 v[12:15], v[16:17], off
	v_addc_co_u32_e64 v29, s[8:9], v17, v167, s[8:9]
	global_load_dwordx4 v[16:19], v[28:29], off
	ds_read_b128 v[24:27], v159
	ds_read_b128 v[20:23], v163
	v_add_co_u32_e64 v36, s[8:9], s16, v28
	v_addc_co_u32_e64 v37, s[8:9], v29, v168, s[8:9]
	v_add_co_u32_e64 v38, s[8:9], s10, v36
	v_addc_co_u32_e64 v39, s[8:9], v37, v167, s[8:9]
	;; [unrolled: 2-line block ×3, first 2 shown]
	s_waitcnt vmcnt(3) lgkmcnt(1)
	v_mul_f64 v[28:29], v[6:7], v[26:27]
	v_mul_f64 v[30:31], v[6:7], v[24:25]
	v_fmac_f64_e32 v[28:29], v[4:5], v[24:25]
	v_fma_f64 v[30:31], v[4:5], v[26:27], -v[30:31]
	s_waitcnt vmcnt(2)
	v_mul_f64 v[32:33], v[10:11], v[26:27]
	v_mul_f64 v[34:35], v[10:11], v[24:25]
	ds_write_b128 v164, v[28:31]
	v_fmac_f64_e32 v[32:33], v[8:9], v[24:25]
	v_fma_f64 v[34:35], v[8:9], v[26:27], -v[34:35]
	s_waitcnt vmcnt(1)
	v_mul_f64 v[28:29], v[14:15], v[26:27]
	v_mul_f64 v[30:31], v[14:15], v[24:25]
	ds_read_b128 v[40:43], v163 offset:16
	ds_write_b128 v164, v[32:35] offset:1072
	v_fmac_f64_e32 v[28:29], v[12:13], v[24:25]
	v_fma_f64 v[30:31], v[12:13], v[26:27], -v[30:31]
	s_waitcnt vmcnt(0)
	v_mul_f64 v[32:33], v[18:19], v[26:27]
	v_mul_f64 v[34:35], v[18:19], v[24:25]
	ds_read_b128 v[44:47], v163 offset:32
	ds_write_b128 v164, v[28:31] offset:2144
	v_fmac_f64_e32 v[32:33], v[16:17], v[24:25]
	v_fma_f64 v[34:35], v[16:17], v[26:27], -v[34:35]
	ds_read_b128 v[48:51], v163 offset:48
	ds_write_b128 v164, v[32:35] offset:3216
	s_waitcnt lgkmcnt(0)
	s_barrier
	ds_read_b128 v[128:131], v162
	ds_read_b128 v[124:127], v162 offset:16
	ds_read_b128 v[120:123], v162 offset:32
	;; [unrolled: 1-line block ×3, first 2 shown]
	s_waitcnt lgkmcnt(0)
	s_barrier
	global_load_dwordx4 v[24:27], v[36:37], off
	global_load_dwordx4 v[32:35], v[38:39], off
	;; [unrolled: 1-line block ×3, first 2 shown]
	v_add_co_u32_e64 v52, s[8:9], s10, v52
	v_addc_co_u32_e64 v53, s[8:9], v53, v167, s[8:9]
	global_load_dwordx4 v[36:39], v[52:53], off
	v_add_co_u32_e64 v88, s[8:9], s16, v52
	v_addc_co_u32_e64 v89, s[8:9], v53, v168, s[8:9]
	ds_read_b128 v[52:55], v159
	ds_read_b128 v[68:71], v163 offset:256
	v_add_co_u32_e64 v90, s[8:9], s10, v88
	v_addc_co_u32_e64 v91, s[8:9], v89, v167, s[8:9]
	v_add_co_u32_e64 v92, s[8:9], s10, v90
	v_addc_co_u32_e64 v93, s[8:9], v91, v167, s[8:9]
	v_add_f64 v[128:129], v[128:129], 0
	v_add_f64 v[130:131], v[130:131], 0
	;; [unrolled: 1-line block ×6, first 2 shown]
	s_waitcnt vmcnt(3) lgkmcnt(1)
	v_mul_f64 v[56:57], v[26:27], v[54:55]
	v_mul_f64 v[58:59], v[26:27], v[52:53]
	s_waitcnt vmcnt(2)
	v_mul_f64 v[60:61], v[34:35], v[54:55]
	v_mul_f64 v[62:63], v[34:35], v[52:53]
	v_fmac_f64_e32 v[56:57], v[24:25], v[52:53]
	v_fma_f64 v[58:59], v[24:25], v[54:55], -v[58:59]
	s_waitcnt vmcnt(1)
	v_mul_f64 v[64:65], v[30:31], v[54:55]
	v_mul_f64 v[66:67], v[30:31], v[52:53]
	v_fmac_f64_e32 v[60:61], v[32:33], v[52:53]
	v_fma_f64 v[62:63], v[32:33], v[54:55], -v[62:63]
	ds_write_b128 v164, v[56:59]
	s_waitcnt vmcnt(0)
	v_mul_f64 v[84:85], v[38:39], v[54:55]
	v_mul_f64 v[72:73], v[38:39], v[52:53]
	v_fmac_f64_e32 v[64:65], v[28:29], v[52:53]
	v_fma_f64 v[66:67], v[28:29], v[54:55], -v[66:67]
	ds_read_b128 v[80:83], v163 offset:272
	ds_write_b128 v164, v[60:63] offset:1072
	v_fmac_f64_e32 v[84:85], v[36:37], v[52:53]
	v_fma_f64 v[86:87], v[36:37], v[54:55], -v[72:73]
	ds_read_b128 v[76:79], v163 offset:288
	ds_write_b128 v164, v[64:67] offset:2144
	ds_read_b128 v[72:75], v163 offset:304
	ds_write_b128 v164, v[84:87] offset:3216
	v_add_co_u32_e64 v84, s[8:9], s10, v92
	s_waitcnt lgkmcnt(0)
	s_barrier
	ds_read_b128 v[144:147], v162
	ds_read_b128 v[140:143], v162 offset:16
	ds_read_b128 v[136:139], v162 offset:32
	;; [unrolled: 1-line block ×3, first 2 shown]
	s_waitcnt lgkmcnt(0)
	s_barrier
	global_load_dwordx4 v[52:55], v[88:89], off
	global_load_dwordx4 v[60:63], v[90:91], off
	;; [unrolled: 1-line block ×3, first 2 shown]
	v_addc_co_u32_e64 v85, s[8:9], v93, v167, s[8:9]
	global_load_dwordx4 v[64:67], v[84:85], off
	v_add_co_u32_e64 v152, s[8:9], s16, v84
	v_addc_co_u32_e64 v153, s[8:9], v85, v168, s[8:9]
	ds_read_b128 v[84:87], v159
	ds_read_b128 v[100:103], v163 offset:512
	v_add_co_u32_e64 v186, s[8:9], s10, v152
	v_addc_co_u32_e64 v187, s[8:9], v153, v167, s[8:9]
	v_add_co_u32_e64 v188, s[8:9], s10, v186
	v_addc_co_u32_e64 v189, s[8:9], v187, v167, s[8:9]
	s_waitcnt vmcnt(3) lgkmcnt(1)
	v_mul_f64 v[88:89], v[54:55], v[86:87]
	v_mul_f64 v[90:91], v[54:55], v[84:85]
	s_waitcnt vmcnt(2)
	v_mul_f64 v[92:93], v[62:63], v[86:87]
	v_mul_f64 v[94:95], v[62:63], v[84:85]
	v_fmac_f64_e32 v[88:89], v[52:53], v[84:85]
	v_fma_f64 v[90:91], v[52:53], v[86:87], -v[90:91]
	s_waitcnt vmcnt(1)
	v_mul_f64 v[96:97], v[58:59], v[86:87]
	v_mul_f64 v[98:99], v[58:59], v[84:85]
	v_fmac_f64_e32 v[92:93], v[60:61], v[84:85]
	v_fma_f64 v[94:95], v[60:61], v[86:87], -v[94:95]
	ds_write_b128 v164, v[88:91]
	s_waitcnt vmcnt(0)
	v_mul_f64 v[170:171], v[66:67], v[86:87]
	v_mul_f64 v[108:109], v[66:67], v[84:85]
	v_fmac_f64_e32 v[96:97], v[56:57], v[84:85]
	v_fma_f64 v[98:99], v[56:57], v[86:87], -v[98:99]
	ds_read_b128 v[116:119], v163 offset:528
	ds_write_b128 v164, v[92:95] offset:1072
	v_fmac_f64_e32 v[170:171], v[64:65], v[84:85]
	v_fma_f64 v[172:173], v[64:65], v[86:87], -v[108:109]
	ds_read_b128 v[112:115], v163 offset:544
	ds_write_b128 v164, v[96:99] offset:2144
	ds_read_b128 v[108:111], v163 offset:560
	ds_write_b128 v164, v[170:173] offset:3216
	s_waitcnt lgkmcnt(0)
	s_barrier
	ds_read_b128 v[170:173], v162
	ds_read_b128 v[174:177], v162 offset:16
	ds_read_b128 v[178:181], v162 offset:32
	;; [unrolled: 1-line block ×3, first 2 shown]
	s_waitcnt lgkmcnt(0)
	s_barrier
	global_load_dwordx4 v[88:91], v[152:153], off
	global_load_dwordx4 v[92:95], v[186:187], off
	;; [unrolled: 1-line block ×3, first 2 shown]
	v_add_co_u32_e64 v152, s[8:9], s10, v188
	v_addc_co_u32_e64 v153, s[8:9], v189, v167, s[8:9]
	global_load_dwordx4 v[96:99], v[152:153], off
	v_add_f64 v[186:187], v[120:121], v[104:105]
	v_add_f64 v[188:189], v[122:123], v[106:107]
	;; [unrolled: 1-line block ×10, first 2 shown]
	ds_read_b128 v[120:123], v159
	ds_read_b128 v[104:107], v163 offset:768
	v_add_f64 v[124:125], v[170:171], 0
	v_add_f64 v[126:127], v[172:173], 0
	v_add_f64 v[124:125], v[124:125], v[174:175]
	v_add_f64 v[126:127], v[126:127], v[176:177]
	v_add_f64 v[124:125], v[124:125], v[178:179]
	v_add_f64 v[126:127], v[126:127], v[180:181]
	v_add_f64 v[136:137], v[124:125], v[182:183]
	v_add_f64 v[138:139], v[126:127], v[184:185]
	s_waitcnt vmcnt(3) lgkmcnt(1)
	v_mul_f64 v[124:125], v[90:91], v[122:123]
	v_mul_f64 v[126:127], v[90:91], v[120:121]
	s_waitcnt vmcnt(2)
	v_mul_f64 v[128:129], v[94:95], v[122:123]
	v_mul_f64 v[130:131], v[94:95], v[120:121]
	v_fma_f64 v[126:127], v[88:89], v[122:123], -v[126:127]
	v_fmac_f64_e32 v[124:125], v[88:89], v[120:121]
	s_waitcnt vmcnt(1)
	v_mul_f64 v[140:141], v[86:87], v[122:123]
	v_mul_f64 v[142:143], v[86:87], v[120:121]
	s_waitcnt vmcnt(0)
	v_mul_f64 v[146:147], v[98:99], v[120:121]
	v_mul_f64 v[144:145], v[98:99], v[122:123]
	v_fma_f64 v[130:131], v[92:93], v[122:123], -v[130:131]
	v_fmac_f64_e32 v[128:129], v[92:93], v[120:121]
	ds_write_b128 v164, v[124:127]
	v_fma_f64 v[142:143], v[84:85], v[122:123], -v[142:143]
	v_fma_f64 v[146:147], v[96:97], v[122:123], -v[146:147]
	v_fmac_f64_e32 v[140:141], v[84:85], v[120:121]
	v_fmac_f64_e32 v[144:145], v[96:97], v[120:121]
	ds_read_b128 v[120:123], v163 offset:784
	ds_write_b128 v164, v[128:131] offset:1072
	ds_read_b128 v[124:127], v163 offset:800
	ds_write_b128 v164, v[140:143] offset:2144
	;; [unrolled: 2-line block ×3, first 2 shown]
	s_waitcnt lgkmcnt(0)
	s_barrier
	ds_read_b128 v[140:143], v162
	ds_read_b128 v[144:147], v162 offset:16
	ds_read_b128 v[170:173], v162 offset:32
	;; [unrolled: 1-line block ×3, first 2 shown]
	s_waitcnt lgkmcnt(0)
	s_barrier
	ds_write_b128 v165, v[186:189]
	ds_write_b128 v165, v[132:135] offset:256
	ds_write_b128 v165, v[136:139] offset:512
	v_add_f64 v[132:133], v[140:141], 0
	v_add_f64 v[134:135], v[142:143], 0
	;; [unrolled: 1-line block ×8, first 2 shown]
	ds_write_b128 v165, v[132:135] offset:768
	s_waitcnt lgkmcnt(0)
	s_barrier
	s_and_saveexec_b64 s[12:13], s[4:5]
	s_cbranch_execz .LBB24_128
; %bb.132:                              ;   in Loop: Header=BB24_129 Depth=1
	ds_read_b128 v[132:135], v160
	ds_read_b128 v[136:139], v160 offset:16
	ds_read_b128 v[140:143], v160 offset:32
	;; [unrolled: 1-line block ×3, first 2 shown]
	v_add_u32_e32 v150, s17, v166
	s_waitcnt lgkmcnt(2)
	v_add_f64 v[132:133], v[136:137], v[132:133]
	v_add_f64 v[136:137], v[138:139], v[134:135]
	s_waitcnt lgkmcnt(1)
	v_add_f64 v[138:139], v[132:133], v[140:141]
	ds_read_b128 v[132:135], v160 offset:64
	v_add_f64 v[140:141], v[136:137], v[142:143]
	s_waitcnt lgkmcnt(1)
	v_add_f64 v[142:143], v[138:139], v[144:145]
	ds_read_b128 v[136:139], v160 offset:80
	;; [unrolled: 4-line block ×9, first 2 shown]
	v_add_f64 v[134:135], v[144:145], v[134:135]
	s_waitcnt lgkmcnt(1)
	v_add_f64 v[136:137], v[132:133], v[136:137]
	v_add_f64 v[144:145], v[134:135], v[138:139]
	ds_read_b128 v[132:135], v160 offset:208
	s_waitcnt lgkmcnt(1)
	v_add_f64 v[146:147], v[136:137], v[140:141]
	ds_read_b128 v[136:139], v160 offset:224
	v_add_f64 v[144:145], v[144:145], v[142:143]
	ds_read_b128 v[140:143], v161
	s_waitcnt lgkmcnt(2)
	v_add_f64 v[132:133], v[146:147], v[132:133]
	v_add_f64 v[134:135], v[144:145], v[134:135]
	s_waitcnt lgkmcnt(1)
	v_add_f64 v[132:133], v[132:133], v[136:137]
	v_lshlrev_b64 v[136:137], 4, v[150:151]
	v_add_f64 v[134:135], v[134:135], v[138:139]
	v_mov_b32_e32 v138, s14
	v_add_co_u32_e64 v136, s[8:9], s7, v136
	s_waitcnt lgkmcnt(0)
	v_add_f64 v[132:133], v[132:133], v[140:141]
	v_add_f64 v[134:135], v[134:135], v[142:143]
	v_addc_co_u32_e64 v137, s[8:9], v138, v137, s[8:9]
	global_store_dwordx4 v[136:137], v[132:135], off
	s_branch .LBB24_128
.LBB24_133:
	s_movk_i32 s2, 0x430
	s_or_b64 s[0:1], s[0:1], vcc
	v_mad_u32_u24 v4, v154, s2, v155
	s_xor_b64 s[0:1], s[0:1], -1
	ds_write_b128 v4, v[0:3]
	s_waitcnt lgkmcnt(0)
	s_barrier
	s_and_saveexec_b64 s[2:3], s[0:1]
	s_cbranch_execz .LBB24_135
; %bb.134:
	ds_read_b128 v[0:3], v155 offset:1072
	ds_read_b128 v[4:7], v155
	ds_read_b128 v[8:11], v155 offset:2144
	ds_read_b128 v[12:15], v155 offset:3216
	s_waitcnt lgkmcnt(2)
	v_add_f64 v[0:1], v[0:1], v[4:5]
	v_add_f64 v[2:3], v[2:3], v[6:7]
	v_lshlrev_b64 v[4:5], 4, v[148:149]
	s_waitcnt lgkmcnt(1)
	v_add_f64 v[0:1], v[0:1], v[8:9]
	v_add_f64 v[2:3], v[2:3], v[10:11]
	v_mov_b32_e32 v6, s14
	v_add_co_u32_e32 v4, vcc, s7, v4
	s_waitcnt lgkmcnt(0)
	v_add_f64 v[0:1], v[0:1], v[12:13]
	v_add_f64 v[2:3], v[2:3], v[14:15]
	v_addc_co_u32_e32 v5, vcc, v6, v5, vcc
	global_store_dwordx4 v[4:5], v[0:3], off
.LBB24_135:
	s_endpgm
	.section	.rodata,"a",@progbits
	.p2align	6, 0x0
	.amdhsa_kernel _ZL26rocblas_hemvn_kernel_lowerILb1ELi64ELi4ELi33ELi32ELi16ElPK19rocblas_complex_numIdES3_PS1_EviT6_lT7_lT5_lS6_lS7_lS5_lT8_i
		.amdhsa_group_segment_fixed_size 19200
		.amdhsa_private_segment_fixed_size 0
		.amdhsa_kernarg_size 376
		.amdhsa_user_sgpr_count 6
		.amdhsa_user_sgpr_private_segment_buffer 1
		.amdhsa_user_sgpr_dispatch_ptr 0
		.amdhsa_user_sgpr_queue_ptr 0
		.amdhsa_user_sgpr_kernarg_segment_ptr 1
		.amdhsa_user_sgpr_dispatch_id 0
		.amdhsa_user_sgpr_flat_scratch_init 0
		.amdhsa_user_sgpr_kernarg_preload_length 0
		.amdhsa_user_sgpr_kernarg_preload_offset 0
		.amdhsa_user_sgpr_private_segment_size 0
		.amdhsa_uses_dynamic_stack 0
		.amdhsa_system_sgpr_private_segment_wavefront_offset 0
		.amdhsa_system_sgpr_workgroup_id_x 1
		.amdhsa_system_sgpr_workgroup_id_y 0
		.amdhsa_system_sgpr_workgroup_id_z 1
		.amdhsa_system_sgpr_workgroup_info 0
		.amdhsa_system_vgpr_workitem_id 1
		.amdhsa_next_free_vgpr 190
		.amdhsa_next_free_sgpr 44
		.amdhsa_accum_offset 192
		.amdhsa_reserve_vcc 1
		.amdhsa_reserve_flat_scratch 0
		.amdhsa_float_round_mode_32 0
		.amdhsa_float_round_mode_16_64 0
		.amdhsa_float_denorm_mode_32 3
		.amdhsa_float_denorm_mode_16_64 3
		.amdhsa_dx10_clamp 1
		.amdhsa_ieee_mode 1
		.amdhsa_fp16_overflow 0
		.amdhsa_tg_split 0
		.amdhsa_exception_fp_ieee_invalid_op 0
		.amdhsa_exception_fp_denorm_src 0
		.amdhsa_exception_fp_ieee_div_zero 0
		.amdhsa_exception_fp_ieee_overflow 0
		.amdhsa_exception_fp_ieee_underflow 0
		.amdhsa_exception_fp_ieee_inexact 0
		.amdhsa_exception_int_div_zero 0
	.end_amdhsa_kernel
	.section	.text._ZL26rocblas_hemvn_kernel_lowerILb1ELi64ELi4ELi33ELi32ELi16ElPK19rocblas_complex_numIdES3_PS1_EviT6_lT7_lT5_lS6_lS7_lS5_lT8_i,"axG",@progbits,_ZL26rocblas_hemvn_kernel_lowerILb1ELi64ELi4ELi33ELi32ELi16ElPK19rocblas_complex_numIdES3_PS1_EviT6_lT7_lT5_lS6_lS7_lS5_lT8_i,comdat
.Lfunc_end24:
	.size	_ZL26rocblas_hemvn_kernel_lowerILb1ELi64ELi4ELi33ELi32ELi16ElPK19rocblas_complex_numIdES3_PS1_EviT6_lT7_lT5_lS6_lS7_lS5_lT8_i, .Lfunc_end24-_ZL26rocblas_hemvn_kernel_lowerILb1ELi64ELi4ELi33ELi32ELi16ElPK19rocblas_complex_numIdES3_PS1_EviT6_lT7_lT5_lS6_lS7_lS5_lT8_i
                                        ; -- End function
	.section	.AMDGPU.csdata,"",@progbits
; Kernel info:
; codeLenInByte = 9760
; NumSgprs: 48
; NumVgprs: 190
; NumAgprs: 0
; TotalNumVgprs: 190
; ScratchSize: 0
; MemoryBound: 0
; FloatMode: 240
; IeeeMode: 1
; LDSByteSize: 19200 bytes/workgroup (compile time only)
; SGPRBlocks: 5
; VGPRBlocks: 23
; NumSGPRsForWavesPerEU: 48
; NumVGPRsForWavesPerEU: 190
; AccumOffset: 192
; Occupancy: 2
; WaveLimiterHint : 0
; COMPUTE_PGM_RSRC2:SCRATCH_EN: 0
; COMPUTE_PGM_RSRC2:USER_SGPR: 6
; COMPUTE_PGM_RSRC2:TRAP_HANDLER: 0
; COMPUTE_PGM_RSRC2:TGID_X_EN: 1
; COMPUTE_PGM_RSRC2:TGID_Y_EN: 0
; COMPUTE_PGM_RSRC2:TGID_Z_EN: 1
; COMPUTE_PGM_RSRC2:TIDIG_COMP_CNT: 1
; COMPUTE_PGM_RSRC3_GFX90A:ACCUM_OFFSET: 47
; COMPUTE_PGM_RSRC3_GFX90A:TG_SPLIT: 0
	.section	.text._ZL36rocblas_hemvn_kernel_lower_block_sumILi64ElPK19rocblas_complex_numIdEPS1_S1_EviT1_lS5_lT2_lT0_lPT3_i,"axG",@progbits,_ZL36rocblas_hemvn_kernel_lower_block_sumILi64ElPK19rocblas_complex_numIdEPS1_S1_EviT1_lS5_lT2_lT0_lPT3_i,comdat
	.globl	_ZL36rocblas_hemvn_kernel_lower_block_sumILi64ElPK19rocblas_complex_numIdEPS1_S1_EviT1_lS5_lT2_lT0_lPT3_i ; -- Begin function _ZL36rocblas_hemvn_kernel_lower_block_sumILi64ElPK19rocblas_complex_numIdEPS1_S1_EviT1_lS5_lT2_lT0_lPT3_i
	.p2align	8
	.type	_ZL36rocblas_hemvn_kernel_lower_block_sumILi64ElPK19rocblas_complex_numIdEPS1_S1_EviT1_lS5_lT2_lT0_lPT3_i,@function
_ZL36rocblas_hemvn_kernel_lower_block_sumILi64ElPK19rocblas_complex_numIdEPS1_S1_EviT1_lS5_lT2_lT0_lPT3_i: ; @_ZL36rocblas_hemvn_kernel_lower_block_sumILi64ElPK19rocblas_complex_numIdEPS1_S1_EviT1_lS5_lT2_lT0_lPT3_i
; %bb.0:
	s_load_dwordx8 s[12:19], s[4:5], 0x8
	s_waitcnt lgkmcnt(0)
	s_mul_i32 s0, s7, s15
	s_mul_hi_u32 s1, s7, s14
	s_add_i32 s1, s1, s0
	s_mul_i32 s0, s7, s14
	s_lshl_b64 s[0:1], s[0:1], 4
	s_add_u32 s0, s12, s0
	s_addc_u32 s1, s13, s1
	s_load_dwordx4 s[12:15], s[0:1], 0x0
	s_mul_i32 s0, s7, s19
	s_mul_hi_u32 s1, s7, s18
	s_add_i32 s1, s1, s0
	s_mul_i32 s0, s7, s18
	s_lshl_b64 s[0:1], s[0:1], 4
	s_add_u32 s0, s16, s0
	s_addc_u32 s1, s17, s1
	s_load_dwordx4 s[8:11], s[0:1], 0x0
	s_waitcnt lgkmcnt(0)
	v_cmp_neq_f64_e64 s[0:1], s[12:13], 0
	v_cmp_neq_f64_e64 s[2:3], s[14:15], 0
	s_or_b64 s[16:17], s[0:1], s[2:3]
	s_mov_b64 s[0:1], -1
	s_and_b64 vcc, exec, s[16:17]
	s_cbranch_vccnz .LBB25_2
; %bb.1:
	v_cmp_neq_f64_e64 s[0:1], s[8:9], 1.0
	v_cmp_neq_f64_e64 s[2:3], s[10:11], 0
	s_or_b64 s[0:1], s[0:1], s[2:3]
.LBB25_2:
	s_andn2_b64 vcc, exec, s[0:1]
	s_cbranch_vccnz .LBB25_22
; %bb.3:
	s_load_dwordx2 s[20:21], s[4:5], 0x40
	s_load_dwordx4 s[0:3], s[4:5], 0x30
	s_load_dwordx2 s[22:23], s[4:5], 0x28
	s_load_dword s18, s[4:5], 0x0
	s_xor_b64 s[16:17], s[16:17], -1
	s_waitcnt lgkmcnt(0)
	s_mul_i32 s19, s7, s21
	s_mul_hi_u32 s21, s7, s20
	s_add_i32 s21, s21, s19
	s_mul_i32 s20, s7, s20
	s_lshl_b64 s[20:21], s[20:21], 4
	s_add_u32 s19, s22, s20
	s_addc_u32 s20, s23, s21
	s_lshl_b64 s[0:1], s[0:1], 4
	s_add_u32 s24, s19, s0
	v_lshl_or_b32 v6, s6, 6, v0
	s_addc_u32 s25, s20, s1
	s_andn2_b64 vcc, exec, s[16:17]
	v_cmp_gt_i32_e64 s[0:1], s18, v6
	s_cbranch_vccnz .LBB25_8
; %bb.4:
	s_mov_b64 s[20:21], 0
	s_mov_b64 s[16:17], 0
                                        ; implicit-def: $vgpr2_vgpr3
                                        ; implicit-def: $vgpr4_vgpr5
	s_and_saveexec_b64 s[22:23], s[0:1]
	s_cbranch_execz .LBB25_9
; %bb.5:
	v_cmp_neq_f64_e64 s[0:1], s[8:9], 0
	v_cmp_neq_f64_e64 s[16:17], s[10:11], 0
	v_ashrrev_i32_e32 v0, 31, v6
	v_pk_mov_b32 v[2:3], 0, 0
	v_mul_lo_u32 v1, v6, s3
	v_mul_lo_u32 v0, v0, s2
	v_mad_u64_u32 v[4:5], s[26:27], v6, s2, 0
	s_or_b64 s[0:1], s[0:1], s[16:17]
	v_add3_u32 v5, v5, v1, v0
	s_andn2_b64 vcc, exec, s[0:1]
	v_pk_mov_b32 v[0:1], v[2:3], v[2:3] op_sel:[0,1]
	s_cbranch_vccnz .LBB25_7
; %bb.6:
	v_lshlrev_b64 v[0:1], 4, v[4:5]
	v_mov_b32_e32 v2, s25
	v_add_co_u32_e32 v0, vcc, s24, v0
	v_addc_co_u32_e32 v1, vcc, v2, v1, vcc
	global_load_dwordx4 v[8:11], v[0:1], off
	s_waitcnt vmcnt(0)
	v_mul_f64 v[0:1], s[10:11], v[10:11]
	v_mul_f64 v[2:3], s[8:9], v[10:11]
	v_fma_f64 v[0:1], s[8:9], v[8:9], -v[0:1]
	v_fmac_f64_e32 v[2:3], s[10:11], v[8:9]
.LBB25_7:
	s_mov_b64 s[16:17], exec
	s_or_b64 exec, exec, s[22:23]
	s_and_b64 vcc, exec, s[20:21]
	s_cbranch_vccnz .LBB25_10
	s_branch .LBB25_20
.LBB25_8:
	s_mov_b64 s[16:17], 0
                                        ; implicit-def: $vgpr2_vgpr3
                                        ; implicit-def: $vgpr4_vgpr5
	s_cbranch_execnz .LBB25_10
	s_branch .LBB25_20
.LBB25_9:
	s_or_b64 exec, exec, s[22:23]
	s_and_b64 vcc, exec, s[20:21]
	s_cbranch_vccz .LBB25_20
.LBB25_10:
	v_cmp_gt_i32_e32 vcc, s18, v6
                                        ; implicit-def: $vgpr2_vgpr3
                                        ; implicit-def: $vgpr4_vgpr5
	s_and_saveexec_b64 s[0:1], vcc
	s_cbranch_execz .LBB25_19
; %bb.11:
	s_load_dword s20, s[4:5], 0x58
	v_pk_mov_b32 v[0:1], 0, 0
	v_pk_mov_b32 v[4:5], v[0:1], v[0:1] op_sel:[0,1]
	s_waitcnt lgkmcnt(0)
	s_cmp_ge_i32 s6, s20
	s_cbranch_scc1 .LBB25_14
; %bb.12:
	s_ashr_i32 s19, s18, 31
	s_mul_i32 s21, s6, s18
	s_load_dwordx2 s[4:5], s[4:5], 0x48
	v_add_u32_e32 v0, s21, v6
	s_mul_hi_u32 s21, s18, s7
	s_mul_i32 s22, s19, s7
	s_add_i32 s21, s21, s22
	s_mul_i32 s7, s18, s7
	s_mul_i32 s21, s21, s20
	s_mul_hi_u32 s22, s7, s20
	s_add_i32 s23, s22, s21
	s_mul_i32 s22, s7, s20
	s_lshl_b64 s[22:23], s[22:23], 4
	v_ashrrev_i32_e32 v1, 31, v0
	s_waitcnt lgkmcnt(0)
	s_add_u32 s4, s4, s22
	v_lshlrev_b64 v[0:1], 4, v[0:1]
	s_addc_u32 s5, s5, s23
	v_mov_b32_e32 v2, s5
	v_add_co_u32_e32 v0, vcc, s4, v0
	v_addc_co_u32_e32 v1, vcc, v2, v1, vcc
	v_add_co_u32_e32 v2, vcc, 8, v0
	v_addc_co_u32_e32 v3, vcc, 0, v1, vcc
	s_lshl_b64 s[4:5], s[18:19], 4
	v_pk_mov_b32 v[0:1], 0, 0
	v_mov_b32_e32 v7, s5
	v_pk_mov_b32 v[4:5], v[0:1], v[0:1] op_sel:[0,1]
.LBB25_13:                              ; =>This Inner Loop Header: Depth=1
	global_load_dwordx4 v[8:11], v[2:3], off offset:-8
	s_add_i32 s6, s6, 1
	v_add_co_u32_e32 v2, vcc, s4, v2
	v_addc_co_u32_e32 v3, vcc, v3, v7, vcc
	s_cmp_ge_i32 s6, s20
	s_waitcnt vmcnt(0)
	v_add_f64 v[4:5], v[4:5], v[8:9]
	v_add_f64 v[0:1], v[0:1], v[10:11]
	s_cbranch_scc0 .LBB25_13
.LBB25_14:
	v_cmp_neq_f64_e64 s[6:7], s[8:9], 0
	v_cmp_neq_f64_e64 s[18:19], s[10:11], 0
	s_or_b64 s[6:7], s[6:7], s[18:19]
	v_mul_f64 v[8:9], s[14:15], v[0:1]
	v_mul_f64 v[2:3], s[12:13], v[0:1]
	v_ashrrev_i32_e32 v10, 31, v6
	s_mov_b64 s[4:5], 0
	s_andn2_b64 vcc, exec, s[6:7]
	v_fma_f64 v[0:1], s[12:13], v[4:5], -v[8:9]
	v_fmac_f64_e32 v[2:3], s[14:15], v[4:5]
	v_mul_lo_u32 v7, v6, s3
	v_mul_lo_u32 v8, v10, s2
	s_cbranch_vccz .LBB25_16
; %bb.15:
	v_mad_u64_u32 v[4:5], s[6:7], v6, s2, 0
	v_add3_u32 v5, v5, v7, v8
	s_andn2_b64 vcc, exec, s[4:5]
	s_cbranch_vccz .LBB25_17
	s_branch .LBB25_18
.LBB25_16:
                                        ; implicit-def: $vgpr4_vgpr5
.LBB25_17:
	v_mad_u64_u32 v[4:5], s[2:3], v6, s2, 0
	v_add3_u32 v5, v5, v7, v8
	v_lshlrev_b64 v[6:7], 4, v[4:5]
	v_mov_b32_e32 v8, s25
	v_add_co_u32_e32 v6, vcc, s24, v6
	v_addc_co_u32_e32 v7, vcc, v8, v7, vcc
	global_load_dwordx4 v[6:9], v[6:7], off
	s_waitcnt vmcnt(0)
	v_mul_f64 v[10:11], s[10:11], v[8:9]
	v_mul_f64 v[8:9], s[8:9], v[8:9]
	v_fma_f64 v[10:11], s[8:9], v[6:7], -v[10:11]
	v_fmac_f64_e32 v[8:9], s[10:11], v[6:7]
	v_add_f64 v[0:1], v[0:1], v[10:11]
	v_add_f64 v[2:3], v[2:3], v[8:9]
.LBB25_18:
	s_or_b64 s[16:17], s[16:17], exec
.LBB25_19:
	s_or_b64 exec, exec, s[0:1]
.LBB25_20:
	s_and_saveexec_b64 s[0:1], s[16:17]
	s_cbranch_execz .LBB25_22
; %bb.21:
	v_lshlrev_b64 v[4:5], 4, v[4:5]
	v_mov_b32_e32 v6, s25
	v_add_co_u32_e32 v4, vcc, s24, v4
	v_addc_co_u32_e32 v5, vcc, v6, v5, vcc
	global_store_dwordx4 v[4:5], v[0:3], off
.LBB25_22:
	s_endpgm
	.section	.rodata,"a",@progbits
	.p2align	6, 0x0
	.amdhsa_kernel _ZL36rocblas_hemvn_kernel_lower_block_sumILi64ElPK19rocblas_complex_numIdEPS1_S1_EviT1_lS5_lT2_lT0_lPT3_i
		.amdhsa_group_segment_fixed_size 0
		.amdhsa_private_segment_fixed_size 0
		.amdhsa_kernarg_size 344
		.amdhsa_user_sgpr_count 6
		.amdhsa_user_sgpr_private_segment_buffer 1
		.amdhsa_user_sgpr_dispatch_ptr 0
		.amdhsa_user_sgpr_queue_ptr 0
		.amdhsa_user_sgpr_kernarg_segment_ptr 1
		.amdhsa_user_sgpr_dispatch_id 0
		.amdhsa_user_sgpr_flat_scratch_init 0
		.amdhsa_user_sgpr_kernarg_preload_length 0
		.amdhsa_user_sgpr_kernarg_preload_offset 0
		.amdhsa_user_sgpr_private_segment_size 0
		.amdhsa_uses_dynamic_stack 0
		.amdhsa_system_sgpr_private_segment_wavefront_offset 0
		.amdhsa_system_sgpr_workgroup_id_x 1
		.amdhsa_system_sgpr_workgroup_id_y 0
		.amdhsa_system_sgpr_workgroup_id_z 1
		.amdhsa_system_sgpr_workgroup_info 0
		.amdhsa_system_vgpr_workitem_id 0
		.amdhsa_next_free_vgpr 12
		.amdhsa_next_free_sgpr 28
		.amdhsa_accum_offset 12
		.amdhsa_reserve_vcc 1
		.amdhsa_reserve_flat_scratch 0
		.amdhsa_float_round_mode_32 0
		.amdhsa_float_round_mode_16_64 0
		.amdhsa_float_denorm_mode_32 3
		.amdhsa_float_denorm_mode_16_64 3
		.amdhsa_dx10_clamp 1
		.amdhsa_ieee_mode 1
		.amdhsa_fp16_overflow 0
		.amdhsa_tg_split 0
		.amdhsa_exception_fp_ieee_invalid_op 0
		.amdhsa_exception_fp_denorm_src 0
		.amdhsa_exception_fp_ieee_div_zero 0
		.amdhsa_exception_fp_ieee_overflow 0
		.amdhsa_exception_fp_ieee_underflow 0
		.amdhsa_exception_fp_ieee_inexact 0
		.amdhsa_exception_int_div_zero 0
	.end_amdhsa_kernel
	.section	.text._ZL36rocblas_hemvn_kernel_lower_block_sumILi64ElPK19rocblas_complex_numIdEPS1_S1_EviT1_lS5_lT2_lT0_lPT3_i,"axG",@progbits,_ZL36rocblas_hemvn_kernel_lower_block_sumILi64ElPK19rocblas_complex_numIdEPS1_S1_EviT1_lS5_lT2_lT0_lPT3_i,comdat
.Lfunc_end25:
	.size	_ZL36rocblas_hemvn_kernel_lower_block_sumILi64ElPK19rocblas_complex_numIdEPS1_S1_EviT1_lS5_lT2_lT0_lPT3_i, .Lfunc_end25-_ZL36rocblas_hemvn_kernel_lower_block_sumILi64ElPK19rocblas_complex_numIdEPS1_S1_EviT1_lS5_lT2_lT0_lPT3_i
                                        ; -- End function
	.section	.AMDGPU.csdata,"",@progbits
; Kernel info:
; codeLenInByte = 920
; NumSgprs: 32
; NumVgprs: 12
; NumAgprs: 0
; TotalNumVgprs: 12
; ScratchSize: 0
; MemoryBound: 0
; FloatMode: 240
; IeeeMode: 1
; LDSByteSize: 0 bytes/workgroup (compile time only)
; SGPRBlocks: 3
; VGPRBlocks: 1
; NumSGPRsForWavesPerEU: 32
; NumVGPRsForWavesPerEU: 12
; AccumOffset: 12
; Occupancy: 8
; WaveLimiterHint : 0
; COMPUTE_PGM_RSRC2:SCRATCH_EN: 0
; COMPUTE_PGM_RSRC2:USER_SGPR: 6
; COMPUTE_PGM_RSRC2:TRAP_HANDLER: 0
; COMPUTE_PGM_RSRC2:TGID_X_EN: 1
; COMPUTE_PGM_RSRC2:TGID_Y_EN: 0
; COMPUTE_PGM_RSRC2:TGID_Z_EN: 1
; COMPUTE_PGM_RSRC2:TIDIG_COMP_CNT: 0
; COMPUTE_PGM_RSRC3_GFX90A:ACCUM_OFFSET: 2
; COMPUTE_PGM_RSRC3_GFX90A:TG_SPLIT: 0
	.section	.text._ZL26rocblas_hemvn_kernel_lowerILb1ELi64ELi4ELi33ELi32ELi16EiPK19rocblas_complex_numIdES3_PS1_EviT6_lT7_lT5_lS6_lS7_lS5_lT8_i,"axG",@progbits,_ZL26rocblas_hemvn_kernel_lowerILb1ELi64ELi4ELi33ELi32ELi16EiPK19rocblas_complex_numIdES3_PS1_EviT6_lT7_lT5_lS6_lS7_lS5_lT8_i,comdat
	.globl	_ZL26rocblas_hemvn_kernel_lowerILb1ELi64ELi4ELi33ELi32ELi16EiPK19rocblas_complex_numIdES3_PS1_EviT6_lT7_lT5_lS6_lS7_lS5_lT8_i ; -- Begin function _ZL26rocblas_hemvn_kernel_lowerILb1ELi64ELi4ELi33ELi32ELi16EiPK19rocblas_complex_numIdES3_PS1_EviT6_lT7_lT5_lS6_lS7_lS5_lT8_i
	.p2align	8
	.type	_ZL26rocblas_hemvn_kernel_lowerILb1ELi64ELi4ELi33ELi32ELi16EiPK19rocblas_complex_numIdES3_PS1_EviT6_lT7_lT5_lS6_lS7_lS5_lT8_i,@function
_ZL26rocblas_hemvn_kernel_lowerILb1ELi64ELi4ELi33ELi32ELi16EiPK19rocblas_complex_numIdES3_PS1_EviT6_lT7_lT5_lS6_lS7_lS5_lT8_i: ; @_ZL26rocblas_hemvn_kernel_lowerILb1ELi64ELi4ELi33ELi32ELi16EiPK19rocblas_complex_numIdES3_PS1_EviT6_lT7_lT5_lS6_lS7_lS5_lT8_i
; %bb.0:
	s_load_dwordx2 s[2:3], s[4:5], 0x84
	s_add_u32 s0, s4, 0x78
	s_addc_u32 s1, s5, 0
	s_waitcnt lgkmcnt(0)
	s_lshr_b32 s8, s2, 16
	s_and_b32 s2, s2, 0xffff
	s_and_b32 s3, s3, 0xffff
	s_mul_i32 s2, s8, s2
	s_mul_i32 s2, s2, s3
	s_cmpk_lg_i32 s2, 0x100
	s_cbranch_scc1 .LBB26_135
; %bb.1:
	s_load_dwordx8 s[8:15], s[4:5], 0x8
	s_waitcnt lgkmcnt(0)
	s_mul_i32 s3, s7, s11
	s_mul_hi_u32 s11, s7, s10
	s_mul_i32 s2, s7, s10
	s_add_i32 s3, s11, s3
	s_lshl_b64 s[2:3], s[2:3], 4
	s_add_u32 s2, s8, s2
	s_addc_u32 s3, s9, s3
	s_load_dwordx4 s[8:11], s[2:3], 0x0
	s_load_dwordx8 s[16:23], s[4:5], 0x50
	s_waitcnt lgkmcnt(0)
	v_cmp_neq_f64_e64 s[2:3], s[8:9], 0
	v_cmp_neq_f64_e64 s[8:9], s[10:11], 0
	s_or_b64 s[2:3], s[2:3], s[8:9]
	s_mov_b64 s[8:9], -1
	s_and_b64 vcc, exec, s[2:3]
	s_cbranch_vccnz .LBB26_3
; %bb.2:
	s_mul_i32 s8, s7, s21
	s_mul_hi_u32 s9, s7, s20
	s_add_i32 s9, s9, s8
	s_mul_i32 s8, s7, s20
	s_lshl_b64 s[8:9], s[8:9], 4
	s_add_u32 s8, s18, s8
	s_addc_u32 s9, s19, s9
	s_load_dwordx4 s[8:11], s[8:9], 0x0
	s_waitcnt lgkmcnt(0)
	v_cmp_neq_f64_e64 s[8:9], s[8:9], 1.0
	v_cmp_neq_f64_e64 s[10:11], s[10:11], 0
	s_or_b64 s[8:9], s[8:9], s[10:11]
.LBB26_3:
	s_andn2_b64 vcc, exec, s[8:9]
	s_cbranch_vccnz .LBB26_135
; %bb.4:
	s_andn2_b64 vcc, exec, s[2:3]
	s_cbranch_vccnz .LBB26_135
; %bb.5:
	s_load_dword s41, s[0:1], 0x0
	s_load_dword s40, s[4:5], 0x0
	s_load_dwordx4 s[8:11], s[4:5], 0x30
	s_load_dwordx2 s[2:3], s[4:5], 0x40
	s_load_dword s33, s[4:5], 0x48
	s_mul_i32 s0, s7, s17
	s_mul_hi_u32 s1, s7, s16
	s_add_i32 s1, s1, s0
	s_mul_i32 s0, s7, s16
	s_lshl_b64 s[0:1], s[0:1], 4
	s_waitcnt lgkmcnt(0)
	s_add_u32 s10, s10, s0
	s_addc_u32 s11, s11, s1
	s_lshl_b64 s[0:1], s[2:3], 4
	s_add_u32 s0, s10, s0
	s_addc_u32 s1, s11, s1
	v_and_b32_e32 v42, 0x3ff, v0
	s_lshl_b32 s24, s6, 6
	s_ashr_i32 s42, s40, 31
	s_lshr_b32 s3, s42, 26
	v_add_u32_e32 v148, s24, v42
	v_bfe_u32 v149, v0, 10, 10
	s_add_i32 s3, s40, s3
	v_mul_lo_u32 v0, v148, s33
	s_andn2_b32 s3, s3, 63
	v_ashrrev_i32_e32 v1, 31, v0
	s_add_i32 s2, s41, -1
	s_sub_i32 s3, s40, s3
	v_lshlrev_b64 v[0:1], 4, v[0:1]
	s_cmp_eq_u32 s6, s2
	v_mov_b32_e32 v2, s1
	v_add_co_u32_e32 v36, vcc, s0, v0
	s_cselect_b32 s20, s3, 0
	v_addc_co_u32_e32 v37, vcc, v2, v1, vcc
	v_cmp_ne_u32_e64 s[0:1], 0, v149
	v_cmp_eq_u32_e64 s[2:3], 0, v149
	s_and_saveexec_b64 s[10:11], s[2:3]
	s_cbranch_execz .LBB26_10
; %bb.6:
	s_cmp_lg_u32 s20, 0
	s_cselect_b64 s[16:17], -1, 0
	v_cmp_le_i32_e32 vcc, s20, v42
	v_mov_b32_e32 v0, 0x4700
	s_and_b64 s[16:17], s[16:17], vcc
	v_lshl_add_u32 v0, v42, 4, v0
	s_and_saveexec_b64 s[18:19], s[16:17]
	s_xor_b64 s[16:17], exec, s[18:19]
	s_cbranch_execz .LBB26_8
; %bb.7:
	v_mov_b32_e32 v2, 0
	v_mov_b32_e32 v3, v2
	;; [unrolled: 1-line block ×4, first 2 shown]
	ds_write_b128 v0, v[2:5]
                                        ; implicit-def: $vgpr0
.LBB26_8:
	s_andn2_saveexec_b64 s[16:17], s[16:17]
	s_cbranch_execz .LBB26_10
; %bb.9:
	global_load_dwordx4 v[2:5], v[36:37], off
	s_waitcnt vmcnt(0)
	ds_write2_b64 v0, v[2:3], v[4:5] offset1:1
.LBB26_10:
	s_or_b64 exec, exec, s[10:11]
	s_mul_i32 s9, s7, s9
	s_mul_hi_u32 s10, s7, s8
	s_add_i32 s9, s10, s9
	s_mul_i32 s8, s7, s8
	s_lshl_b64 s[8:9], s[8:9], 4
	s_add_u32 s10, s12, s8
	s_addc_u32 s11, s13, s9
	s_lshl_b64 s[8:9], s[14:15], 4
	s_load_dword s26, s[4:5], 0x28
	s_add_u32 s8, s10, s8
	s_addc_u32 s9, s11, s9
	s_ashr_i32 s25, s24, 31
	v_lshl_add_u32 v43, v149, 6, v42
	s_lshl_b64 s[4:5], s[24:25], 4
	v_and_b32_e32 v4, 31, v42
	v_lshrrev_b32_e32 v5, 5, v43
	s_add_u32 s8, s8, s4
	s_addc_u32 s9, s9, s5
	s_waitcnt lgkmcnt(0)
	v_mad_u64_u32 v[0:1], s[4:5], v5, s26, v[4:5]
	s_mul_i32 s4, s24, s26
	s_ashr_i32 s5, s4, 31
	s_lshl_b64 s[28:29], s[4:5], 4
	v_ashrrev_i32_e32 v1, 31, v0
	s_add_u32 s4, s28, s8
	v_lshlrev_b64 v[38:39], 4, v[0:1]
	s_addc_u32 s5, s29, s9
	v_mov_b32_e32 v0, s5
	v_add_co_u32_e32 v6, vcc, s4, v38
	s_cmp_lg_u32 s20, 0
	v_addc_co_u32_e32 v7, vcc, v0, v39, vcc
	s_cselect_b64 s[30:31], -1, 0
	s_cmp_eq_u32 s20, 0
	s_cselect_b64 s[34:35], -1, 0
	s_and_b64 vcc, exec, s[30:31]
	s_cbranch_vccnz .LBB26_12
; %bb.11:
	s_lshl_b32 s4, s26, 3
	s_ashr_i32 s5, s4, 31
	s_lshl_b64 s[4:5], s[4:5], 4
	v_mov_b32_e32 v8, s5
	v_add_co_u32_e32 v12, vcc, s4, v6
	s_ashr_i32 s27, s26, 31
	v_addc_co_u32_e32 v13, vcc, v7, v8, vcc
	s_lshl_b64 s[4:5], s[26:27], 7
	v_mov_b32_e32 v18, s5
	v_add_co_u32_e32 v16, vcc, s4, v12
	global_load_dwordx4 v[0:3], v[6:7], off
	global_load_dwordx4 v[8:11], v[12:13], off
	v_addc_co_u32_e32 v17, vcc, v13, v18, vcc
	global_load_dwordx4 v[12:15], v[16:17], off
	v_add_co_u32_e32 v16, vcc, s4, v16
	v_addc_co_u32_e32 v17, vcc, v17, v18, vcc
	global_load_dwordx4 v[16:19], v[16:17], off
	v_mul_u32_u24_e32 v20, 33, v5
	v_add_lshl_u32 v20, v20, v4, 4
	v_add_u32_e32 v21, 0x1080, v20
	v_add_u32_e32 v22, 0x2100, v20
	v_add_u32_e32 v23, 0x3180, v20
	s_waitcnt vmcnt(3)
	ds_write2_b64 v20, v[0:1], v[2:3] offset1:1
	s_waitcnt vmcnt(2)
	ds_write2_b64 v21, v[8:9], v[10:11] offset1:1
	;; [unrolled: 2-line block ×4, first 2 shown]
	s_cbranch_execz .LBB26_13
	s_branch .LBB26_30
.LBB26_12:
.LBB26_13:
	v_lshlrev_b32_e32 v2, 4, v4
	v_sub_co_u32_e32 v0, vcc, v6, v2
	s_ashr_i32 s21, s20, 31
	v_subbrev_co_u32_e32 v1, vcc, 0, v7, vcc
	s_lshl_b64 s[8:9], s[20:21], 4
	v_mov_b32_e32 v3, s9
	v_add_co_u32_e32 v0, vcc, s8, v0
	v_addc_co_u32_e32 v1, vcc, v1, v3, vcc
	v_add_co_u32_e32 v0, vcc, -16, v0
	v_addc_co_u32_e32 v1, vcc, -1, v1, vcc
	v_cmp_gt_i32_e32 vcc, s20, v4
	v_mul_u32_u24_e32 v3, 33, v5
	v_cndmask_b32_e32 v1, v1, v7, vcc
	v_cndmask_b32_e32 v0, v0, v6, vcc
	v_cmp_le_i32_e64 s[4:5], s20, v5
	v_add_lshl_u32 v3, v3, v4, 4
	s_and_saveexec_b64 s[10:11], s[4:5]
	s_xor_b64 s[4:5], exec, s[10:11]
	s_cbranch_execz .LBB26_15
; %bb.14:
	v_mov_b32_e32 v8, 0
	v_mov_b32_e32 v9, v8
	;; [unrolled: 1-line block ×4, first 2 shown]
	ds_write_b128 v3, v[8:11]
.LBB26_15:
	s_andn2_saveexec_b64 s[4:5], s[4:5]
	s_cbranch_execz .LBB26_17
; %bb.16:
	global_load_dwordx4 v[8:11], v[0:1], off
	s_waitcnt vmcnt(0)
	ds_write2_b64 v3, v[8:9], v[10:11] offset1:1
.LBB26_17:
	s_or_b64 exec, exec, s[4:5]
	v_add_u32_e32 v8, 8, v5
	v_cmp_le_i32_e64 s[4:5], s20, v8
	s_and_saveexec_b64 s[10:11], s[4:5]
	s_xor_b64 s[4:5], exec, s[10:11]
	s_cbranch_execz .LBB26_19
; %bb.18:
	v_mul_u32_u24_e32 v8, 33, v8
	v_add_lshl_u32 v12, v8, v4, 4
	v_mov_b32_e32 v8, 0
	v_mov_b32_e32 v9, v8
	;; [unrolled: 1-line block ×4, first 2 shown]
	ds_write_b128 v12, v[8:11]
.LBB26_19:
	s_andn2_saveexec_b64 s[10:11], s[4:5]
	s_cbranch_execz .LBB26_21
; %bb.20:
	s_lshl_b32 s4, s26, 3
	s_ashr_i32 s5, s4, 31
	s_lshl_b64 s[4:5], s[4:5], 4
	v_mov_b32_e32 v9, s5
	v_add_co_u32_e64 v8, s[4:5], s4, v0
	v_addc_co_u32_e64 v9, s[4:5], v1, v9, s[4:5]
	global_load_dwordx4 v[8:11], v[8:9], off
	v_add_u32_e32 v12, 0x1080, v3
	s_waitcnt vmcnt(0)
	ds_write2_b64 v12, v[8:9], v[10:11] offset1:1
.LBB26_21:
	s_or_b64 exec, exec, s[10:11]
	v_add_u32_e32 v8, 16, v5
	v_cmp_le_i32_e64 s[4:5], s20, v8
	s_and_saveexec_b64 s[10:11], s[4:5]
	s_xor_b64 s[4:5], exec, s[10:11]
	s_cbranch_execz .LBB26_23
; %bb.22:
	v_mul_u32_u24_e32 v8, 33, v8
	v_add_lshl_u32 v12, v8, v4, 4
	v_mov_b32_e32 v8, 0
	v_mov_b32_e32 v9, v8
	;; [unrolled: 1-line block ×4, first 2 shown]
	ds_write_b128 v12, v[8:11]
.LBB26_23:
	s_andn2_saveexec_b64 s[10:11], s[4:5]
	s_cbranch_execz .LBB26_25
; %bb.24:
	s_lshl_b32 s4, s26, 4
	s_ashr_i32 s5, s4, 31
	s_lshl_b64 s[4:5], s[4:5], 4
	v_mov_b32_e32 v9, s5
	v_add_co_u32_e64 v8, s[4:5], s4, v0
	v_addc_co_u32_e64 v9, s[4:5], v1, v9, s[4:5]
	global_load_dwordx4 v[8:11], v[8:9], off
	v_add_u32_e32 v12, 0x2100, v3
	s_waitcnt vmcnt(0)
	ds_write2_b64 v12, v[8:9], v[10:11] offset1:1
.LBB26_25:
	s_or_b64 exec, exec, s[10:11]
	v_add_u32_e32 v8, 24, v5
	v_cmp_le_i32_e64 s[4:5], s20, v8
	s_and_saveexec_b64 s[10:11], s[4:5]
	s_xor_b64 s[4:5], exec, s[10:11]
	s_cbranch_execz .LBB26_27
; %bb.26:
	v_mov_b32_e32 v8, 0
	v_mov_b32_e32 v9, v8
	;; [unrolled: 1-line block ×4, first 2 shown]
	ds_write_b128 v3, v[8:11] offset:12672
                                        ; implicit-def: $vgpr3
.LBB26_27:
	s_andn2_saveexec_b64 s[10:11], s[4:5]
	s_cbranch_execz .LBB26_29
; %bb.28:
	s_mul_i32 s4, s26, 24
	s_ashr_i32 s5, s4, 31
	s_lshl_b64 s[4:5], s[4:5], 4
	v_mov_b32_e32 v9, s5
	v_add_co_u32_e64 v8, s[4:5], s4, v0
	v_addc_co_u32_e64 v9, s[4:5], v1, v9, s[4:5]
	global_load_dwordx4 v[8:11], v[8:9], off
	v_add_u32_e32 v3, 0x3180, v3
	s_waitcnt vmcnt(0)
	ds_write2_b64 v3, v[8:9], v[10:11] offset1:1
.LBB26_29:
	s_or_b64 exec, exec, s[10:11]
	v_add_co_u32_e64 v0, s[4:5], v0, v2
	v_addc_co_u32_e64 v1, s[4:5], 0, v1, s[4:5]
	v_mov_b32_e32 v2, s9
	v_subrev_co_u32_e64 v0, s[4:5], s8, v0
	v_subb_co_u32_e64 v1, s[4:5], v1, v2, s[4:5]
	v_add_co_u32_e64 v0, s[4:5], 16, v0
	v_addc_co_u32_e64 v1, s[4:5], 0, v1, s[4:5]
	v_cndmask_b32_e32 v7, v1, v7, vcc
	v_cndmask_b32_e32 v6, v0, v6, vcc
.LBB26_30:
	v_lshlrev_b32_e32 v12, 2, v5
	v_cmp_ge_u32_e64 s[18:19], v12, v4
	s_waitcnt lgkmcnt(0)
	s_barrier
	s_and_saveexec_b64 s[4:5], s[18:19]
	s_xor_b64 s[4:5], exec, s[4:5]
	s_cbranch_execz .LBB26_34
; %bb.31:
	v_cmp_eq_u32_e32 vcc, v12, v4
	s_and_saveexec_b64 s[8:9], vcc
	s_cbranch_execz .LBB26_33
; %bb.32:
	v_mul_u32_u24_e32 v0, 34, v4
	v_lshlrev_b32_e32 v2, 4, v0
	v_mov_b32_e32 v0, 0
	v_mov_b32_e32 v1, v0
	ds_write_b64 v2, v[0:1] offset:8
.LBB26_33:
	s_or_b64 exec, exec, s[8:9]
.LBB26_34:
	s_or_saveexec_b64 s[4:5], s[4:5]
	v_mul_u32_u24_e32 v44, 33, v4
	v_add_lshl_u32 v10, v12, v44, 4
	s_xor_b64 exec, exec, s[4:5]
	s_cbranch_execz .LBB26_36
; %bb.35:
	v_mul_u32_u24_e32 v0, 0x84, v5
	v_add_lshl_u32 v0, v0, v4, 4
	ds_read_b128 v[0:3], v0
	s_waitcnt lgkmcnt(0)
	v_xor_b32_e32 v3, 0x80000000, v3
	ds_write_b128 v10, v[0:3]
.LBB26_36:
	s_or_b64 exec, exec, s[4:5]
	v_or_b32_e32 v13, 1, v12
	v_cmp_ge_u32_e64 s[8:9], v13, v4
	s_and_saveexec_b64 s[4:5], s[8:9]
	s_xor_b64 s[4:5], exec, s[4:5]
	s_cbranch_execz .LBB26_40
; %bb.37:
	v_cmp_eq_u32_e32 vcc, v13, v4
	s_and_saveexec_b64 s[10:11], vcc
	s_cbranch_execz .LBB26_39
; %bb.38:
	v_mul_u32_u24_e32 v0, 34, v4
	v_lshlrev_b32_e32 v2, 4, v0
	v_mov_b32_e32 v0, 0
	v_mov_b32_e32 v1, v0
	ds_write_b64 v2, v[0:1] offset:8
.LBB26_39:
	s_or_b64 exec, exec, s[10:11]
.LBB26_40:
	s_or_saveexec_b64 s[4:5], s[4:5]
	v_mul_u32_u24_e32 v0, 33, v13
	s_xor_b64 exec, exec, s[4:5]
	s_cbranch_execz .LBB26_42
; %bb.41:
	v_add_lshl_u32 v1, v0, v4, 4
	ds_read_b128 v[14:17], v1
	s_waitcnt lgkmcnt(0)
	v_xor_b32_e32 v17, 0x80000000, v17
	ds_write_b128 v10, v[14:17] offset:16
.LBB26_42:
	s_or_b64 exec, exec, s[4:5]
	v_or_b32_e32 v14, 2, v12
	v_cmp_ge_u32_e64 s[10:11], v14, v4
	s_and_saveexec_b64 s[4:5], s[10:11]
	s_xor_b64 s[4:5], exec, s[4:5]
	s_cbranch_execz .LBB26_46
; %bb.43:
	v_cmp_eq_u32_e32 vcc, v14, v4
	s_and_saveexec_b64 s[12:13], vcc
	s_cbranch_execz .LBB26_45
; %bb.44:
	v_mul_u32_u24_e32 v1, 34, v4
	v_mov_b32_e32 v2, 0
	v_lshlrev_b32_e32 v1, 4, v1
	v_mov_b32_e32 v3, v2
	ds_write_b64 v1, v[2:3] offset:8
.LBB26_45:
	s_or_b64 exec, exec, s[12:13]
.LBB26_46:
	s_andn2_saveexec_b64 s[4:5], s[4:5]
	s_cbranch_execz .LBB26_48
; %bb.47:
	v_mul_u32_u24_e32 v1, 33, v14
	v_add_lshl_u32 v1, v1, v4, 4
	ds_read_b128 v[16:19], v1
	s_waitcnt lgkmcnt(0)
	v_xor_b32_e32 v19, 0x80000000, v19
	ds_write_b128 v10, v[16:19] offset:32
.LBB26_48:
	s_or_b64 exec, exec, s[4:5]
	v_or_b32_e32 v15, 3, v12
	v_cmp_ge_u32_e64 s[12:13], v15, v4
	s_and_saveexec_b64 s[4:5], s[12:13]
	s_xor_b64 s[4:5], exec, s[4:5]
	s_cbranch_execz .LBB26_52
; %bb.49:
	v_cmp_eq_u32_e32 vcc, v15, v4
	s_and_saveexec_b64 s[14:15], vcc
	s_cbranch_execz .LBB26_51
; %bb.50:
	v_mul_u32_u24_e32 v1, 34, v4
	v_mov_b32_e32 v2, 0
	v_lshlrev_b32_e32 v1, 4, v1
	v_mov_b32_e32 v3, v2
	ds_write_b64 v1, v[2:3] offset:8
.LBB26_51:
	s_or_b64 exec, exec, s[14:15]
.LBB26_52:
	s_andn2_saveexec_b64 s[4:5], s[4:5]
	s_cbranch_execz .LBB26_54
; %bb.53:
	v_mul_u32_u24_e32 v1, 33, v15
	v_add_lshl_u32 v1, v1, v4, 4
	ds_read_b128 v[16:19], v1
	s_waitcnt lgkmcnt(0)
	v_xor_b32_e32 v19, 0x80000000, v19
	ds_write_b128 v10, v[16:19] offset:48
.LBB26_54:
	s_or_b64 exec, exec, s[4:5]
	v_mul_u32_u24_e32 v1, 0x84, v5
	v_lshlrev_b32_e32 v17, 4, v12
	s_waitcnt lgkmcnt(0)
	s_barrier
	v_add_lshl_u32 v16, v1, v4, 4
	ds_read_b128 v[18:21], v17 offset:18176
	ds_read_b128 v[22:25], v17 offset:18192
	ds_read_b128 v[26:29], v16
	ds_read_b128 v[30:33], v17 offset:18208
	ds_read_b128 v[46:49], v17 offset:18224
	v_add_lshl_u32 v11, v0, v4, 4
	ds_read_b128 v[0:3], v11
	s_waitcnt lgkmcnt(3)
	v_mul_f64 v[8:9], v[20:21], v[28:29]
	v_fma_f64 v[8:9], v[18:19], v[26:27], -v[8:9]
	v_mul_f64 v[18:19], v[18:19], v[28:29]
	v_fmac_f64_e32 v[18:19], v[20:21], v[26:27]
	v_add_f64 v[26:27], v[18:19], 0
	s_waitcnt lgkmcnt(0)
	v_mul_f64 v[18:19], v[24:25], v[2:3]
	v_fma_f64 v[28:29], v[22:23], v[0:1], -v[18:19]
	v_mul_f64 v[2:3], v[22:23], v[2:3]
	ds_read_b128 v[18:21], v11 offset:528
	v_fmac_f64_e32 v[2:3], v[24:25], v[0:1]
	v_add_f64 v[22:23], v[26:27], v[2:3]
	ds_read_b128 v[0:3], v11 offset:1056
	v_add_f64 v[8:9], v[8:9], 0
	s_waitcnt lgkmcnt(1)
	v_mul_f64 v[24:25], v[32:33], v[20:21]
	v_mul_f64 v[20:21], v[30:31], v[20:21]
	v_fmac_f64_e32 v[20:21], v[32:33], v[18:19]
	v_add_f64 v[8:9], v[8:9], v[28:29]
	v_fma_f64 v[24:25], v[30:31], v[18:19], -v[24:25]
	v_add_f64 v[18:19], v[22:23], v[20:21]
	s_waitcnt lgkmcnt(0)
	v_mul_f64 v[20:21], v[48:49], v[2:3]
	v_mul_f64 v[2:3], v[46:47], v[2:3]
	v_add_f64 v[8:9], v[8:9], v[24:25]
	v_fma_f64 v[20:21], v[46:47], v[0:1], -v[20:21]
	v_fmac_f64_e32 v[2:3], v[48:49], v[0:1]
	v_add_f64 v[0:1], v[8:9], v[20:21]
	v_add_f64 v[2:3], v[18:19], v[2:3]
	v_add_lshl_u32 v45, v5, v44, 4
	s_barrier
	ds_write_b128 v45, v[0:3]
	v_pk_mov_b32 v[0:1], 0, 0
	v_cmp_gt_u32_e64 s[4:5], 32, v43
	v_pk_mov_b32 v[2:3], v[0:1], v[0:1] op_sel:[0,1]
	s_waitcnt lgkmcnt(0)
	s_barrier
	s_and_saveexec_b64 s[14:15], s[4:5]
	s_cbranch_execz .LBB26_56
; %bb.55:
	v_lshlrev_b32_e32 v30, 4, v44
	ds_read_b128 v[0:3], v30
	ds_read_b128 v[18:21], v30 offset:16
	ds_read_b128 v[22:25], v30 offset:32
	;; [unrolled: 1-line block ×3, first 2 shown]
	s_waitcnt lgkmcnt(2)
	v_add_f64 v[0:1], v[18:19], v[0:1]
	v_add_f64 v[8:9], v[20:21], v[2:3]
	s_waitcnt lgkmcnt(1)
	v_add_f64 v[18:19], v[0:1], v[22:23]
	ds_read_b128 v[0:3], v30 offset:64
	v_add_f64 v[8:9], v[8:9], v[24:25]
	s_waitcnt lgkmcnt(1)
	v_add_f64 v[22:23], v[18:19], v[26:27]
	ds_read_b128 v[18:21], v30 offset:80
	v_add_f64 v[8:9], v[8:9], v[28:29]
	s_waitcnt lgkmcnt(1)
	v_add_f64 v[26:27], v[22:23], v[0:1]
	ds_read_b128 v[22:25], v30 offset:96
	v_add_f64 v[8:9], v[8:9], v[2:3]
	ds_read_b128 v[0:3], v30 offset:112
	s_waitcnt lgkmcnt(2)
	v_add_f64 v[18:19], v[26:27], v[18:19]
	v_add_f64 v[8:9], v[8:9], v[20:21]
	s_waitcnt lgkmcnt(1)
	v_add_f64 v[18:19], v[18:19], v[22:23]
	v_add_f64 v[8:9], v[8:9], v[24:25]
	;; [unrolled: 3-line block ×3, first 2 shown]
.LBB26_56:
	s_or_b64 exec, exec, s[14:15]
	s_lshl_b32 s14, s26, 5
	s_ashr_i32 s15, s14, 31
	s_lshl_b64 s[36:37], s[14:15], 4
	v_mov_b32_e32 v9, s37
	v_add_co_u32_e32 v8, vcc, s36, v6
	v_addc_co_u32_e32 v9, vcc, v7, v9, vcc
	v_add_co_u32_e32 v6, vcc, 0x200, v8
	v_cndmask_b32_e64 v7, 0, 1, s[34:35]
	s_mov_b64 s[16:17], vcc
	v_cmp_ne_u32_e64 s[14:15], 1, v7
	s_andn2_b64 vcc, exec, s[34:35]
	v_addc_co_u32_e64 v7, s[16:17], 0, v9, s[16:17]
	s_barrier
	s_cbranch_vccnz .LBB26_58
; %bb.57:
	s_lshl_b32 s16, s26, 3
	s_ashr_i32 s17, s16, 31
	s_lshl_b64 s[16:17], s[16:17], 4
	v_mov_b32_e32 v22, s17
	v_add_co_u32_e32 v8, vcc, s16, v8
	s_ashr_i32 s27, s26, 31
	v_addc_co_u32_e32 v9, vcc, v9, v22, vcc
	s_lshl_b64 s[16:17], s[26:27], 7
	v_mov_b32_e32 v32, s17
	v_add_co_u32_e32 v30, vcc, s16, v8
	global_load_dwordx4 v[18:21], v[6:7], off
	v_addc_co_u32_e32 v31, vcc, v9, v32, vcc
	global_load_dwordx4 v[22:25], v[8:9], off offset:512
	global_load_dwordx4 v[26:29], v[30:31], off offset:512
	v_add_co_u32_e32 v8, vcc, s16, v30
	v_addc_co_u32_e32 v9, vcc, v31, v32, vcc
	global_load_dwordx4 v[30:33], v[8:9], off offset:512
	v_mul_u32_u24_e32 v8, 33, v5
	v_add_lshl_u32 v8, v8, v4, 4
	v_add_u32_e32 v9, 0x1080, v8
	v_add_u32_e32 v34, 0x2100, v8
	;; [unrolled: 1-line block ×3, first 2 shown]
	s_waitcnt vmcnt(3)
	ds_write2_b64 v8, v[18:19], v[20:21] offset1:1
	s_waitcnt vmcnt(2)
	ds_write2_b64 v9, v[22:23], v[24:25] offset1:1
	;; [unrolled: 2-line block ×4, first 2 shown]
	s_cbranch_execz .LBB26_59
	s_branch .LBB26_76
.LBB26_58:
.LBB26_59:
	v_lshlrev_b32_e32 v18, 4, v4
	v_sub_co_u32_e32 v9, vcc, v6, v18
	s_ashr_i32 s21, s20, 31
	v_subbrev_co_u32_e32 v19, vcc, 0, v7, vcc
	s_lshl_b64 s[34:35], s[20:21], 4
	v_mov_b32_e32 v20, s35
	v_add_co_u32_e32 v9, vcc, s34, v9
	v_addc_co_u32_e32 v19, vcc, v19, v20, vcc
	v_or_b32_e32 v8, 32, v4
	v_add_co_u32_e32 v20, vcc, 0xfffffdf0, v9
	v_addc_co_u32_e32 v9, vcc, -1, v19, vcc
	v_cmp_gt_i32_e64 s[16:17], s20, v8
	s_sub_i32 s21, s20, 32
	v_mul_u32_u24_e32 v19, 33, v5
	v_cndmask_b32_e64 v9, v9, v7, s[16:17]
	v_cndmask_b32_e64 v8, v20, v6, s[16:17]
	v_cmp_le_i32_e32 vcc, s21, v5
	v_add_lshl_u32 v19, v19, v4, 4
	s_and_saveexec_b64 s[38:39], vcc
	s_xor_b64 s[38:39], exec, s[38:39]
	s_cbranch_execz .LBB26_61
; %bb.60:
	v_mov_b32_e32 v20, 0
	v_mov_b32_e32 v21, v20
	;; [unrolled: 1-line block ×4, first 2 shown]
	ds_write_b128 v19, v[20:23]
.LBB26_61:
	s_andn2_saveexec_b64 s[38:39], s[38:39]
	s_cbranch_execz .LBB26_63
; %bb.62:
	global_load_dwordx4 v[20:23], v[8:9], off
	s_waitcnt vmcnt(0)
	ds_write2_b64 v19, v[20:21], v[22:23] offset1:1
.LBB26_63:
	s_or_b64 exec, exec, s[38:39]
	v_add_u32_e32 v20, 8, v5
	v_cmp_le_i32_e32 vcc, s21, v20
	s_and_saveexec_b64 s[38:39], vcc
	s_xor_b64 s[38:39], exec, s[38:39]
	s_cbranch_execz .LBB26_65
; %bb.64:
	v_mul_u32_u24_e32 v20, 33, v20
	v_add_lshl_u32 v24, v20, v4, 4
	v_mov_b32_e32 v20, 0
	v_mov_b32_e32 v21, v20
	;; [unrolled: 1-line block ×4, first 2 shown]
	ds_write_b128 v24, v[20:23]
.LBB26_65:
	s_andn2_saveexec_b64 s[38:39], s[38:39]
	s_cbranch_execz .LBB26_67
; %bb.66:
	s_lshl_b32 s44, s26, 3
	s_ashr_i32 s45, s44, 31
	s_lshl_b64 s[44:45], s[44:45], 4
	v_mov_b32_e32 v21, s45
	v_add_co_u32_e32 v20, vcc, s44, v8
	v_addc_co_u32_e32 v21, vcc, v9, v21, vcc
	global_load_dwordx4 v[20:23], v[20:21], off
	v_add_u32_e32 v24, 0x1080, v19
	s_waitcnt vmcnt(0)
	ds_write2_b64 v24, v[20:21], v[22:23] offset1:1
.LBB26_67:
	s_or_b64 exec, exec, s[38:39]
	v_add_u32_e32 v20, 16, v5
	v_cmp_le_i32_e32 vcc, s21, v20
	s_and_saveexec_b64 s[38:39], vcc
	s_xor_b64 s[38:39], exec, s[38:39]
	s_cbranch_execz .LBB26_69
; %bb.68:
	v_mul_u32_u24_e32 v20, 33, v20
	v_add_lshl_u32 v24, v20, v4, 4
	v_mov_b32_e32 v20, 0
	v_mov_b32_e32 v21, v20
	;; [unrolled: 1-line block ×4, first 2 shown]
	ds_write_b128 v24, v[20:23]
.LBB26_69:
	s_andn2_saveexec_b64 s[38:39], s[38:39]
	s_cbranch_execz .LBB26_71
; %bb.70:
	s_lshl_b32 s44, s26, 4
	s_ashr_i32 s45, s44, 31
	s_lshl_b64 s[44:45], s[44:45], 4
	v_mov_b32_e32 v21, s45
	v_add_co_u32_e32 v20, vcc, s44, v8
	v_addc_co_u32_e32 v21, vcc, v9, v21, vcc
	global_load_dwordx4 v[20:23], v[20:21], off
	v_add_u32_e32 v24, 0x2100, v19
	s_waitcnt vmcnt(0)
	ds_write2_b64 v24, v[20:21], v[22:23] offset1:1
.LBB26_71:
	s_or_b64 exec, exec, s[38:39]
	v_add_u32_e32 v20, 24, v5
	v_cmp_le_i32_e32 vcc, s21, v20
	s_and_saveexec_b64 s[38:39], vcc
	s_xor_b64 s[38:39], exec, s[38:39]
	s_cbranch_execz .LBB26_73
; %bb.72:
	v_mov_b32_e32 v20, 0
	v_mov_b32_e32 v21, v20
	;; [unrolled: 1-line block ×4, first 2 shown]
	ds_write_b128 v19, v[20:23] offset:12672
                                        ; implicit-def: $vgpr19
.LBB26_73:
	s_andn2_saveexec_b64 s[38:39], s[38:39]
	s_cbranch_execz .LBB26_75
; %bb.74:
	s_mul_i32 s44, s26, 24
	s_ashr_i32 s45, s44, 31
	s_lshl_b64 s[44:45], s[44:45], 4
	v_mov_b32_e32 v21, s45
	v_add_co_u32_e32 v20, vcc, s44, v8
	v_addc_co_u32_e32 v21, vcc, v9, v21, vcc
	global_load_dwordx4 v[20:23], v[20:21], off
	v_add_u32_e32 v19, 0x3180, v19
	s_waitcnt vmcnt(0)
	ds_write2_b64 v19, v[20:21], v[22:23] offset1:1
.LBB26_75:
	s_or_b64 exec, exec, s[38:39]
	v_add_co_u32_e32 v8, vcc, v8, v18
	v_addc_co_u32_e32 v9, vcc, 0, v9, vcc
	v_mov_b32_e32 v18, s35
	v_subrev_co_u32_e32 v8, vcc, s34, v8
	v_subb_co_u32_e32 v9, vcc, v9, v18, vcc
	v_add_co_u32_e32 v8, vcc, 0x210, v8
	v_addc_co_u32_e32 v9, vcc, 0, v9, vcc
	v_cndmask_b32_e64 v7, v9, v7, s[16:17]
	v_cndmask_b32_e64 v6, v8, v6, s[16:17]
.LBB26_76:
	v_add_u32_e32 v8, 0x4700, v17
	s_waitcnt lgkmcnt(0)
	s_barrier
	s_and_saveexec_b64 s[16:17], s[18:19]
	s_xor_b64 s[16:17], exec, s[16:17]
	s_cbranch_execnz .LBB26_89
; %bb.77:
	s_andn2_saveexec_b64 s[16:17], s[16:17]
	s_cbranch_execnz .LBB26_92
.LBB26_78:
	s_or_b64 exec, exec, s[16:17]
	s_and_saveexec_b64 s[16:17], s[8:9]
	s_xor_b64 s[8:9], exec, s[16:17]
	s_cbranch_execnz .LBB26_93
.LBB26_79:
	s_andn2_saveexec_b64 s[8:9], s[8:9]
	s_cbranch_execnz .LBB26_96
.LBB26_80:
	s_or_b64 exec, exec, s[8:9]
	s_and_saveexec_b64 s[8:9], s[10:11]
	s_xor_b64 s[8:9], exec, s[8:9]
	s_cbranch_execnz .LBB26_97
.LBB26_81:
	s_andn2_saveexec_b64 s[8:9], s[8:9]
	s_cbranch_execnz .LBB26_100
.LBB26_82:
	s_or_b64 exec, exec, s[8:9]
	s_and_saveexec_b64 s[8:9], s[12:13]
	s_xor_b64 s[8:9], exec, s[8:9]
	s_cbranch_execnz .LBB26_101
.LBB26_83:
	s_andn2_saveexec_b64 s[8:9], s[8:9]
	s_cbranch_execz .LBB26_85
.LBB26_84:
	ds_read_b128 v[12:15], v11 offset:1056
	s_waitcnt lgkmcnt(0)
	v_xor_b32_e32 v15, 0x80000000, v15
	ds_write_b128 v10, v[12:15] offset:48
.LBB26_85:
	s_or_b64 exec, exec, s[8:9]
	s_waitcnt lgkmcnt(0)
	s_barrier
	ds_read_b128 v[12:15], v8 offset:512
	ds_read_b128 v[16:19], v16
	ds_read_b128 v[20:23], v8 offset:528
	ds_read_b128 v[24:27], v8 offset:544
	v_cmp_eq_u32_e64 s[10:11], 1, v5
	s_waitcnt lgkmcnt(2)
	v_mul_f64 v[28:29], v[14:15], v[18:19]
	v_fma_f64 v[40:41], v[12:13], v[16:17], -v[28:29]
	ds_read_b128 v[28:31], v8 offset:560
	ds_read_b128 v[32:35], v11
	v_mul_f64 v[12:13], v[12:13], v[18:19]
	v_fmac_f64_e32 v[12:13], v[14:15], v[16:17]
	v_add_f64 v[18:19], v[12:13], 0
	v_add_f64 v[16:17], v[40:41], 0
	s_waitcnt lgkmcnt(0)
	v_mul_f64 v[12:13], v[22:23], v[34:35]
	v_fma_f64 v[40:41], v[20:21], v[32:33], -v[12:13]
	v_mul_f64 v[20:21], v[20:21], v[34:35]
	ds_read_b128 v[12:15], v11 offset:528
	v_fmac_f64_e32 v[20:21], v[22:23], v[32:33]
	v_add_f64 v[22:23], v[16:17], v[40:41]
	v_add_f64 v[20:21], v[18:19], v[20:21]
	ds_read_b128 v[16:19], v11 offset:1056
	s_waitcnt lgkmcnt(1)
	v_mul_f64 v[32:33], v[26:27], v[14:15]
	v_mul_f64 v[14:15], v[24:25], v[14:15]
	v_fmac_f64_e32 v[14:15], v[26:27], v[12:13]
	v_fma_f64 v[32:33], v[24:25], v[12:13], -v[32:33]
	v_add_f64 v[14:15], v[20:21], v[14:15]
	s_waitcnt lgkmcnt(0)
	v_mul_f64 v[20:21], v[30:31], v[18:19]
	v_mul_f64 v[18:19], v[28:29], v[18:19]
	v_add_f64 v[12:13], v[22:23], v[32:33]
	v_fma_f64 v[20:21], v[28:29], v[16:17], -v[20:21]
	v_fmac_f64_e32 v[18:19], v[30:31], v[16:17]
	v_add_f64 v[12:13], v[12:13], v[20:21]
	v_add_f64 v[14:15], v[14:15], v[18:19]
	s_barrier
	ds_write_b128 v45, v[12:15]
	s_waitcnt lgkmcnt(0)
	s_barrier
	s_and_saveexec_b64 s[8:9], s[10:11]
	s_cbranch_execz .LBB26_87
; %bb.86:
	v_lshlrev_b32_e32 v9, 4, v44
	ds_read_b128 v[0:3], v9
	ds_read_b128 v[12:15], v9 offset:16
	ds_read_b128 v[16:19], v9 offset:32
	;; [unrolled: 1-line block ×3, first 2 shown]
	s_waitcnt lgkmcnt(2)
	v_add_f64 v[0:1], v[12:13], v[0:1]
	v_add_f64 v[12:13], v[14:15], v[2:3]
	s_waitcnt lgkmcnt(1)
	v_add_f64 v[14:15], v[0:1], v[16:17]
	ds_read_b128 v[0:3], v9 offset:64
	v_add_f64 v[12:13], v[12:13], v[18:19]
	s_waitcnt lgkmcnt(1)
	v_add_f64 v[16:17], v[14:15], v[20:21]
	v_add_f64 v[20:21], v[12:13], v[22:23]
	ds_read_b128 v[12:15], v9 offset:80
	s_waitcnt lgkmcnt(1)
	v_add_f64 v[22:23], v[16:17], v[0:1]
	ds_read_b128 v[16:19], v9 offset:96
	v_add_f64 v[20:21], v[20:21], v[2:3]
	ds_read_b128 v[0:3], v9 offset:112
	s_waitcnt lgkmcnt(2)
	v_add_f64 v[12:13], v[22:23], v[12:13]
	v_add_f64 v[14:15], v[20:21], v[14:15]
	s_waitcnt lgkmcnt(1)
	v_add_f64 v[12:13], v[12:13], v[16:17]
	v_add_f64 v[14:15], v[14:15], v[18:19]
	;; [unrolled: 3-line block ×3, first 2 shown]
.LBB26_87:
	s_or_b64 exec, exec, s[8:9]
	v_mov_b32_e32 v9, s37
	v_subrev_co_u32_e64 v40, s[8:9], s36, v6
	s_and_b64 vcc, exec, s[14:15]
	v_subb_co_u32_e64 v41, s[8:9], v7, v9, s[8:9]
	s_barrier
	s_cbranch_vccnz .LBB26_104
; %bb.88:
	s_lshl_b32 s8, s26, 3
	s_ashr_i32 s9, s8, 31
	s_lshl_b64 s[8:9], s[8:9], 4
	v_mov_b32_e32 v7, s9
	v_add_co_u32_e32 v6, vcc, s8, v40
	s_ashr_i32 s27, s26, 31
	v_addc_co_u32_e32 v7, vcc, v41, v7, vcc
	s_lshl_b64 s[8:9], s[26:27], 7
	global_load_dwordx4 v[16:19], v[40:41], off
	global_load_dwordx4 v[20:23], v[6:7], off
	v_mov_b32_e32 v9, s9
	v_add_co_u32_e32 v6, vcc, s8, v6
	v_addc_co_u32_e32 v7, vcc, v7, v9, vcc
	v_add_co_u32_e32 v12, vcc, s8, v6
	v_addc_co_u32_e32 v13, vcc, v7, v9, vcc
	global_load_dwordx4 v[24:27], v[6:7], off
	global_load_dwordx4 v[28:31], v[12:13], off
	v_mad_u32_u24 v9, v5, 33, v4
	v_add_u32_e32 v11, 8, v5
	v_add_u32_e32 v12, 16, v5
	;; [unrolled: 1-line block ×3, first 2 shown]
	v_lshlrev_b32_e32 v15, 4, v9
	v_add_u32_e32 v7, 0x108, v9
	v_add_u32_e32 v6, 0x210, v9
	;; [unrolled: 1-line block ×6, first 2 shown]
	s_waitcnt vmcnt(3)
	ds_write2_b64 v15, v[16:17], v[18:19] offset1:1
	s_waitcnt vmcnt(2)
	ds_write2_b64 v32, v[20:21], v[22:23] offset1:1
	;; [unrolled: 2-line block ×4, first 2 shown]
	s_cbranch_execz .LBB26_105
	s_branch .LBB26_122
.LBB26_89:
	v_cmp_eq_u32_e32 vcc, v12, v4
	s_and_saveexec_b64 s[18:19], vcc
	s_cbranch_execz .LBB26_91
; %bb.90:
	v_mul_u32_u24_e32 v9, 34, v4
	v_mov_b32_e32 v18, 0
	v_lshlrev_b32_e32 v9, 4, v9
	v_mov_b32_e32 v19, v18
	ds_write_b64 v9, v[18:19] offset:8
.LBB26_91:
	s_or_b64 exec, exec, s[18:19]
	s_andn2_saveexec_b64 s[16:17], s[16:17]
	s_cbranch_execz .LBB26_78
.LBB26_92:
	ds_read_b128 v[18:21], v16
	s_waitcnt lgkmcnt(0)
	v_xor_b32_e32 v21, 0x80000000, v21
	ds_write_b128 v10, v[18:21]
	s_or_b64 exec, exec, s[16:17]
	s_and_saveexec_b64 s[16:17], s[8:9]
	s_xor_b64 s[8:9], exec, s[16:17]
	s_cbranch_execz .LBB26_79
.LBB26_93:
	v_cmp_eq_u32_e32 vcc, v13, v4
	s_and_saveexec_b64 s[16:17], vcc
	s_cbranch_execz .LBB26_95
; %bb.94:
	v_mul_u32_u24_e32 v9, 34, v4
	v_mov_b32_e32 v12, 0
	v_lshlrev_b32_e32 v9, 4, v9
	v_mov_b32_e32 v13, v12
	ds_write_b64 v9, v[12:13] offset:8
.LBB26_95:
	s_or_b64 exec, exec, s[16:17]
	s_andn2_saveexec_b64 s[8:9], s[8:9]
	s_cbranch_execz .LBB26_80
.LBB26_96:
	ds_read_b128 v[18:21], v11
	s_waitcnt lgkmcnt(0)
	v_xor_b32_e32 v21, 0x80000000, v21
	ds_write_b128 v10, v[18:21] offset:16
	s_or_b64 exec, exec, s[8:9]
	s_and_saveexec_b64 s[8:9], s[10:11]
	s_xor_b64 s[8:9], exec, s[8:9]
	s_cbranch_execz .LBB26_81
.LBB26_97:
	v_cmp_eq_u32_e32 vcc, v14, v4
	s_and_saveexec_b64 s[10:11], vcc
	s_cbranch_execz .LBB26_99
; %bb.98:
	v_mul_u32_u24_e32 v9, 34, v4
	v_mov_b32_e32 v12, 0
	v_lshlrev_b32_e32 v9, 4, v9
	v_mov_b32_e32 v13, v12
	ds_write_b64 v9, v[12:13] offset:8
.LBB26_99:
	s_or_b64 exec, exec, s[10:11]
	s_andn2_saveexec_b64 s[8:9], s[8:9]
	s_cbranch_execz .LBB26_82
.LBB26_100:
	ds_read_b128 v[18:21], v11 offset:528
	s_waitcnt lgkmcnt(0)
	v_xor_b32_e32 v21, 0x80000000, v21
	ds_write_b128 v10, v[18:21] offset:32
	s_or_b64 exec, exec, s[8:9]
	s_and_saveexec_b64 s[8:9], s[12:13]
	s_xor_b64 s[8:9], exec, s[8:9]
	s_cbranch_execz .LBB26_83
.LBB26_101:
	v_cmp_eq_u32_e32 vcc, v15, v4
	s_and_saveexec_b64 s[10:11], vcc
	s_cbranch_execz .LBB26_103
; %bb.102:
	v_mul_u32_u24_e32 v9, 34, v4
	v_mov_b32_e32 v12, 0
	v_lshlrev_b32_e32 v9, 4, v9
	v_mov_b32_e32 v13, v12
	ds_write_b64 v9, v[12:13] offset:8
.LBB26_103:
	s_or_b64 exec, exec, s[10:11]
	s_andn2_saveexec_b64 s[8:9], s[8:9]
	s_cbranch_execnz .LBB26_84
	s_branch .LBB26_85
.LBB26_104:
                                        ; implicit-def: $vgpr9
                                        ; implicit-def: $vgpr11
                                        ; implicit-def: $vgpr7
                                        ; implicit-def: $vgpr12
                                        ; implicit-def: $vgpr6
                                        ; implicit-def: $vgpr13
                                        ; implicit-def: $vgpr14
.LBB26_105:
	v_lshlrev_b32_e32 v15, 4, v4
	v_sub_co_u32_e32 v7, vcc, v40, v15
	s_ashr_i32 s21, s20, 31
	v_subbrev_co_u32_e32 v9, vcc, 0, v41, vcc
	s_lshl_b64 s[12:13], s[20:21], 4
	v_mov_b32_e32 v11, s13
	v_add_co_u32_e32 v7, vcc, s12, v7
	v_addc_co_u32_e32 v9, vcc, v9, v11, vcc
	v_or_b32_e32 v6, 32, v4
	v_add_co_u32_e32 v11, vcc, 0xfffffdf0, v7
	v_addc_co_u32_e32 v7, vcc, -1, v9, vcc
	v_cmp_gt_i32_e64 s[8:9], s20, v6
	v_mad_u32_u24 v9, v5, 33, v4
	v_cndmask_b32_e64 v7, v7, v41, s[8:9]
	v_cndmask_b32_e64 v6, v11, v40, s[8:9]
	v_cmp_le_i32_e32 vcc, s20, v5
	v_lshlrev_b32_e32 v16, 4, v9
	s_and_saveexec_b64 s[14:15], vcc
	s_xor_b64 s[14:15], exec, s[14:15]
	s_cbranch_execz .LBB26_107
; %bb.106:
	v_mov_b32_e32 v18, 0
	v_mov_b32_e32 v19, v18
	;; [unrolled: 1-line block ×4, first 2 shown]
	ds_write_b128 v16, v[18:21]
.LBB26_107:
	s_andn2_saveexec_b64 s[14:15], s[14:15]
	s_cbranch_execz .LBB26_109
; %bb.108:
	global_load_dwordx4 v[18:21], v[6:7], off
	s_waitcnt vmcnt(0)
	ds_write2_b64 v16, v[18:19], v[20:21] offset1:1
.LBB26_109:
	s_or_b64 exec, exec, s[14:15]
	v_add_u32_e32 v11, 8, v5
	v_cmp_le_i32_e32 vcc, s20, v11
	s_and_saveexec_b64 s[14:15], vcc
	s_xor_b64 s[14:15], exec, s[14:15]
	s_cbranch_execz .LBB26_111
; %bb.110:
	v_mul_u32_u24_e32 v12, 33, v11
	v_mov_b32_e32 v18, 0
	v_add_lshl_u32 v12, v12, v4, 4
	v_mov_b32_e32 v19, v18
	v_mov_b32_e32 v20, v18
	;; [unrolled: 1-line block ×3, first 2 shown]
	ds_write_b128 v12, v[18:21]
.LBB26_111:
	s_andn2_saveexec_b64 s[14:15], s[14:15]
	s_cbranch_execz .LBB26_113
; %bb.112:
	s_lshl_b32 s16, s26, 3
	s_ashr_i32 s17, s16, 31
	s_lshl_b64 s[16:17], s[16:17], 4
	v_mov_b32_e32 v13, s17
	v_add_co_u32_e32 v12, vcc, s16, v6
	v_addc_co_u32_e32 v13, vcc, v7, v13, vcc
	global_load_dwordx4 v[18:21], v[12:13], off
	v_add_u32_e32 v12, 0x1080, v16
	s_waitcnt vmcnt(0)
	ds_write2_b64 v12, v[18:19], v[20:21] offset1:1
.LBB26_113:
	s_or_b64 exec, exec, s[14:15]
	v_add_u32_e32 v12, 16, v5
	v_cmp_le_i32_e32 vcc, s20, v12
	s_and_saveexec_b64 s[14:15], vcc
	s_xor_b64 s[14:15], exec, s[14:15]
	s_cbranch_execz .LBB26_115
; %bb.114:
	v_mul_u32_u24_e32 v13, 33, v12
	v_mov_b32_e32 v18, 0
	v_add_lshl_u32 v13, v13, v4, 4
	v_mov_b32_e32 v19, v18
	v_mov_b32_e32 v20, v18
	;; [unrolled: 1-line block ×3, first 2 shown]
	ds_write_b128 v13, v[18:21]
.LBB26_115:
	s_andn2_saveexec_b64 s[14:15], s[14:15]
	s_cbranch_execz .LBB26_117
; %bb.116:
	s_lshl_b32 s16, s26, 4
	s_ashr_i32 s17, s16, 31
	s_lshl_b64 s[16:17], s[16:17], 4
	v_mov_b32_e32 v13, s17
	v_add_co_u32_e32 v18, vcc, s16, v6
	v_addc_co_u32_e32 v19, vcc, v7, v13, vcc
	global_load_dwordx4 v[18:21], v[18:19], off
	v_add_u32_e32 v13, 0x2100, v16
	s_waitcnt vmcnt(0)
	ds_write2_b64 v13, v[18:19], v[20:21] offset1:1
.LBB26_117:
	s_or_b64 exec, exec, s[14:15]
	v_add_u32_e32 v13, 24, v5
	v_cmp_le_i32_e32 vcc, s20, v13
                                        ; implicit-def: $vgpr14
	s_and_saveexec_b64 s[14:15], vcc
	s_xor_b64 s[14:15], exec, s[14:15]
	s_cbranch_execz .LBB26_119
; %bb.118:
	v_mad_u32_u24 v14, v13, 33, v4
	v_mov_b32_e32 v16, 0
	v_lshlrev_b32_e32 v4, 4, v14
	v_mov_b32_e32 v17, v16
	v_mov_b32_e32 v18, v16
	;; [unrolled: 1-line block ×3, first 2 shown]
	ds_write_b128 v4, v[16:19]
                                        ; implicit-def: $vgpr16
.LBB26_119:
	s_andn2_saveexec_b64 s[14:15], s[14:15]
	s_cbranch_execz .LBB26_121
; %bb.120:
	s_mul_i32 s16, s26, 24
	s_ashr_i32 s17, s16, 31
	s_lshl_b64 s[16:17], s[16:17], 4
	v_mov_b32_e32 v4, s17
	v_add_co_u32_e32 v18, vcc, s16, v6
	v_addc_co_u32_e32 v19, vcc, v7, v4, vcc
	global_load_dwordx4 v[18:21], v[18:19], off
	v_add_u32_e32 v14, 0x318, v9
	v_add_u32_e32 v4, 0x3180, v16
	s_waitcnt vmcnt(0)
	ds_write2_b64 v4, v[18:19], v[20:21] offset1:1
.LBB26_121:
	s_or_b64 exec, exec, s[14:15]
	v_add_co_u32_e32 v4, vcc, v6, v15
	v_addc_co_u32_e32 v6, vcc, 0, v7, vcc
	v_mov_b32_e32 v7, s13
	v_subrev_co_u32_e32 v4, vcc, s12, v4
	v_subb_co_u32_e32 v6, vcc, v6, v7, vcc
	v_add_co_u32_e32 v4, vcc, 0x210, v4
	v_addc_co_u32_e32 v6, vcc, 0, v6, vcc
	v_cndmask_b32_e64 v41, v6, v41, s[8:9]
	v_cndmask_b32_e64 v40, v4, v40, s[8:9]
	v_add_u32_e32 v7, 0x108, v9
	v_add_u32_e32 v6, 0x210, v9
.LBB26_122:
	v_lshlrev_b32_e32 v5, 4, v5
	s_waitcnt lgkmcnt(0)
	s_barrier
	v_lshlrev_b32_e32 v4, 4, v9
	ds_read_b128 v[46:49], v5 offset:18176
	ds_read_b128 v[50:53], v4
	v_lshlrev_b32_e32 v5, 4, v11
	v_lshlrev_b32_e32 v4, 4, v7
	ds_read_b128 v[54:57], v5 offset:18176
	ds_read_b128 v[58:61], v4
	v_lshlrev_b32_e32 v7, 4, v12
	;; [unrolled: 4-line block ×3, first 2 shown]
	v_lshlrev_b32_e32 v6, 4, v14
	ds_read_b128 v[70:73], v7 offset:18176
	ds_read_b128 v[74:77], v6
	s_waitcnt lgkmcnt(6)
	v_mul_f64 v[4:5], v[48:49], v[52:53]
	v_fma_f64 v[4:5], v[46:47], v[50:51], -v[4:5]
	s_waitcnt lgkmcnt(4)
	v_mul_f64 v[16:17], v[56:57], v[60:61]
	v_add_f64 v[4:5], v[4:5], 0
	v_fma_f64 v[16:17], v[54:55], v[58:59], -v[16:17]
	s_waitcnt lgkmcnt(2)
	v_mul_f64 v[6:7], v[64:65], v[68:69]
	v_add_f64 v[4:5], v[4:5], v[16:17]
	v_fma_f64 v[6:7], v[62:63], v[66:67], -v[6:7]
	v_add_f64 v[4:5], v[4:5], v[6:7]
	s_waitcnt lgkmcnt(0)
	v_mul_f64 v[6:7], v[72:73], v[76:77]
	v_fma_f64 v[6:7], v[70:71], v[74:75], -v[6:7]
	v_add_f64 v[78:79], v[4:5], v[6:7]
	ds_read_b128 v[28:31], v10
	ds_read_b128 v[20:23], v10 offset:16
	ds_read_b128 v[12:15], v10 offset:32
	;; [unrolled: 1-line block ×7, first 2 shown]
	v_mul_f64 v[46:47], v[46:47], v[52:53]
	v_fmac_f64_e32 v[46:47], v[48:49], v[50:51]
	v_mul_f64 v[48:49], v[54:55], v[60:61]
	v_add_f64 v[46:47], v[46:47], 0
	v_fmac_f64_e32 v[48:49], v[56:57], v[58:59]
	v_add_f64 v[46:47], v[46:47], v[48:49]
	v_mul_f64 v[48:49], v[62:63], v[68:69]
	v_fmac_f64_e32 v[48:49], v[64:65], v[66:67]
	v_add_f64 v[46:47], v[46:47], v[48:49]
	v_mul_f64 v[48:49], v[70:71], v[76:77]
	v_fmac_f64_e32 v[48:49], v[72:73], v[74:75]
	v_add_f64 v[80:81], v[46:47], v[48:49]
	s_waitcnt lgkmcnt(0)
	s_barrier
	ds_write_b128 v45, v[78:81]
	s_waitcnt lgkmcnt(0)
	s_barrier
	s_and_saveexec_b64 s[8:9], s[10:11]
	s_cbranch_execz .LBB26_124
; %bb.123:
	v_lshlrev_b32_e32 v62, 4, v44
	ds_read_b128 v[46:49], v62
	ds_read_b128 v[50:53], v62 offset:16
	ds_read_b128 v[54:57], v62 offset:32
	;; [unrolled: 1-line block ×3, first 2 shown]
	s_waitcnt lgkmcnt(3)
	v_add_f64 v[0:1], v[0:1], v[46:47]
	v_add_f64 v[2:3], v[2:3], v[48:49]
	s_waitcnt lgkmcnt(2)
	v_add_f64 v[0:1], v[0:1], v[50:51]
	v_add_f64 v[46:47], v[2:3], v[52:53]
	s_waitcnt lgkmcnt(1)
	v_add_f64 v[48:49], v[0:1], v[54:55]
	ds_read_b128 v[0:3], v62 offset:64
	v_add_f64 v[46:47], v[46:47], v[56:57]
	s_waitcnt lgkmcnt(1)
	v_add_f64 v[50:51], v[48:49], v[58:59]
	v_add_f64 v[54:55], v[46:47], v[60:61]
	ds_read_b128 v[46:49], v62 offset:80
	s_waitcnt lgkmcnt(1)
	v_add_f64 v[56:57], v[50:51], v[0:1]
	ds_read_b128 v[50:53], v62 offset:96
	v_add_f64 v[54:55], v[54:55], v[2:3]
	ds_read_b128 v[0:3], v62 offset:112
	s_waitcnt lgkmcnt(2)
	v_add_f64 v[46:47], v[56:57], v[46:47]
	v_add_f64 v[48:49], v[54:55], v[48:49]
	s_waitcnt lgkmcnt(1)
	v_add_f64 v[46:47], v[46:47], v[50:51]
	v_add_f64 v[48:49], v[48:49], v[52:53]
	;; [unrolled: 3-line block ×3, first 2 shown]
.LBB26_124:
	s_or_b64 exec, exec, s[8:9]
	v_mul_f64 v[46:47], v[30:31], v[34:35]
	v_mul_f64 v[30:31], v[30:31], v[32:33]
	v_fmac_f64_e32 v[46:47], v[28:29], v[32:33]
	v_fma_f64 v[28:29], v[28:29], v[34:35], -v[30:31]
	v_mul_f64 v[32:33], v[22:23], v[26:27]
	v_mul_f64 v[22:23], v[22:23], v[24:25]
	v_add_f64 v[30:31], v[46:47], 0
	v_add_f64 v[28:29], v[28:29], 0
	v_fmac_f64_e32 v[32:33], v[20:21], v[24:25]
	v_fma_f64 v[20:21], v[20:21], v[26:27], -v[22:23]
	v_mul_f64 v[24:25], v[14:15], v[18:19]
	v_mul_f64 v[14:15], v[14:15], v[16:17]
	v_add_f64 v[22:23], v[30:31], v[32:33]
	v_add_f64 v[20:21], v[28:29], v[20:21]
	;; [unrolled: 6-line block ×3, first 2 shown]
	v_fmac_f64_e32 v[16:17], v[4:5], v[8:9]
	v_fma_f64 v[6:7], v[4:5], v[10:11], -v[6:7]
	v_add_f64 v[4:5], v[14:15], v[16:17]
	v_add_f64 v[6:7], v[12:13], v[6:7]
	s_barrier
	ds_write_b128 v45, v[4:7]
	s_waitcnt lgkmcnt(0)
	s_barrier
	s_and_saveexec_b64 s[8:9], s[4:5]
	s_cbranch_execz .LBB26_126
; %bb.125:
	v_lshlrev_b32_e32 v20, 4, v44
	ds_read_b128 v[4:7], v20
	ds_read_b128 v[8:11], v20 offset:16
	ds_read_b128 v[12:15], v20 offset:32
	;; [unrolled: 1-line block ×3, first 2 shown]
	s_waitcnt lgkmcnt(3)
	v_add_f64 v[0:1], v[0:1], v[4:5]
	v_add_f64 v[2:3], v[2:3], v[6:7]
	s_waitcnt lgkmcnt(2)
	v_add_f64 v[0:1], v[0:1], v[8:9]
	v_add_f64 v[4:5], v[2:3], v[10:11]
	s_waitcnt lgkmcnt(1)
	v_add_f64 v[6:7], v[0:1], v[12:13]
	ds_read_b128 v[0:3], v20 offset:64
	v_add_f64 v[4:5], v[4:5], v[14:15]
	s_waitcnt lgkmcnt(1)
	v_add_f64 v[8:9], v[6:7], v[16:17]
	v_add_f64 v[12:13], v[4:5], v[18:19]
	ds_read_b128 v[4:7], v20 offset:80
	s_waitcnt lgkmcnt(1)
	v_add_f64 v[14:15], v[8:9], v[0:1]
	ds_read_b128 v[8:11], v20 offset:96
	v_add_f64 v[12:13], v[12:13], v[2:3]
	ds_read_b128 v[0:3], v20 offset:112
	s_waitcnt lgkmcnt(2)
	v_add_f64 v[4:5], v[14:15], v[4:5]
	v_add_f64 v[6:7], v[12:13], v[6:7]
	s_waitcnt lgkmcnt(1)
	v_add_f64 v[4:5], v[4:5], v[8:9]
	v_add_f64 v[6:7], v[6:7], v[10:11]
	;; [unrolled: 3-line block ×3, first 2 shown]
.LBB26_126:
	s_or_b64 exec, exec, s[8:9]
	s_mul_hi_u32 s4, s40, s7
	s_mul_i32 s42, s42, s7
	s_add_i32 s4, s4, s42
	s_mul_i32 s7, s40, s7
	s_mul_i32 s4, s4, s41
	s_mul_hi_u32 s5, s7, s41
	s_add_i32 s5, s5, s4
	s_mul_i32 s4, s7, s41
	s_lshl_b64 s[4:5], s[4:5], 4
	s_add_u32 s7, s22, s4
	s_mul_i32 s4, s6, s40
	s_addc_u32 s8, s23, s5
	s_ashr_i32 s5, s4, 31
	s_lshl_b64 s[4:5], s[4:5], 4
	s_add_u32 s7, s7, s4
	v_cmp_le_i32_e32 vcc, s20, v42
	s_addc_u32 s16, s8, s5
	s_and_b64 vcc, s[30:31], vcc
	s_cmp_lt_i32 s6, 1
	v_lshlrev_b32_e32 v154, 4, v42
	s_barrier
	s_cbranch_scc1 .LBB26_133
; %bb.127:
	s_mul_i32 s4, s24, s33
	s_ashr_i32 s5, s4, 31
	s_lshl_b64 s[4:5], s[4:5], 4
	v_mov_b32_e32 v4, s5
	v_subrev_co_u32_e64 v155, s[4:5], s4, v36
	v_subb_co_u32_e64 v156, s[4:5], v37, v4, s[4:5]
	v_mov_b32_e32 v4, s29
	v_subrev_co_u32_e64 v5, s[4:5], s28, v40
	v_subb_co_u32_e64 v4, s[4:5], v41, v4, s[4:5]
	v_sub_co_u32_e64 v7, s[4:5], v5, v38
	v_subb_co_u32_e64 v8, s[4:5], v4, v39, s[4:5]
	v_mul_lo_u32 v4, v149, s26
	v_lshl_add_u32 v4, v4, 2, v42
	v_ashrrev_i32_e32 v5, 31, v4
	v_lshlrev_b64 v[4:5], 4, v[4:5]
	v_add_co_u32_e64 v4, s[4:5], v7, v4
	v_addc_co_u32_e64 v5, s[4:5], v8, v5, s[4:5]
	s_movk_i32 s4, 0xfe00
	v_add_co_u32_e64 v7, s[4:5], s4, v4
	v_addc_co_u32_e64 v8, s[4:5], -1, v5, s[4:5]
	v_sub_co_u32_e64 v4, s[4:5], v4, v154
	v_subbrev_co_u32_e64 v5, s[4:5], 0, v5, s[4:5]
	s_ashr_i32 s21, s20, 31
	s_lshl_b64 s[4:5], s[20:21], 4
	v_mov_b32_e32 v9, s5
	v_add_co_u32_e64 v4, s[4:5], s4, v4
	v_addc_co_u32_e64 v5, s[4:5], v5, v9, s[4:5]
	s_movk_i32 s4, 0xfdf0
	v_add_co_u32_e64 v4, s[4:5], s4, v4
	v_addc_co_u32_e64 v5, s[4:5], -1, v5, s[4:5]
	v_cndmask_b32_e32 v9, v8, v5, vcc
	v_cndmask_b32_e32 v8, v7, v4, vcc
	v_and_b32_e32 v4, 48, v42
	v_and_b32_e32 v6, 15, v42
	v_lshlrev_b32_e32 v5, 4, v4
	s_movk_i32 s8, 0x430
	v_mad_u32_u24 v159, v6, s8, v5
	v_or_b32_e32 v5, 0xf0, v154
	v_mad_u32_u24 v160, v6, s8, v5
	v_lshlrev_b32_e32 v5, 2, v43
	v_and_b32_e32 v5, 0x7ffc0, v5
	v_mad_u32_u24 v161, v6, s8, v5
	s_ashr_i32 s27, s26, 31
	v_mov_b32_e32 v5, 0x4300
	v_lshl_add_u32 v162, v149, 6, v5
	s_movk_i32 s9, 0x10c0
	v_and_b32_e32 v5, 0x1fff0, v43
	s_lshl_b64 s[10:11], s[26:27], 4
	s_mul_hi_i32 s18, s26, 0xd0
	v_mov_b32_e32 v151, 0
	s_lshl_b32 s17, s33, 6
	v_add_u32_e32 v157, 0x4300, v154
	v_add_u32_e32 v158, 0x4700, v154
	v_cmp_gt_u32_e64 s[4:5], 64, v43
	v_mad_u32_u24 v163, v149, s9, v154
	v_mad_u32_u24 v164, v6, s8, v5
	s_mul_i32 s19, s26, 0xd0
	v_or_b32_e32 v150, v4, v6
	s_mov_b32 s12, 0
	v_mov_b32_e32 v165, s11
	v_mov_b32_e32 v166, s18
	s_branch .LBB26_129
.LBB26_128:                             ;   in Loop: Header=BB26_129 Depth=1
	s_or_b64 exec, exec, s[14:15]
	v_mul_f64 v[132:133], v[6:7], v[22:23]
	v_fma_f64 v[132:133], v[4:5], v[20:21], -v[132:133]
	v_mul_f64 v[4:5], v[4:5], v[22:23]
	v_mul_f64 v[22:23], v[10:11], v[42:43]
	v_add_f64 v[0:1], v[0:1], v[132:133]
	v_fma_f64 v[22:23], v[8:9], v[40:41], -v[22:23]
	v_add_f64 v[0:1], v[0:1], v[22:23]
	v_mul_f64 v[22:23], v[14:15], v[46:47]
	v_fma_f64 v[22:23], v[12:13], v[44:45], -v[22:23]
	v_add_f64 v[0:1], v[0:1], v[22:23]
	v_mul_f64 v[22:23], v[18:19], v[50:51]
	v_fmac_f64_e32 v[4:5], v[6:7], v[20:21]
	v_fma_f64 v[22:23], v[16:17], v[48:49], -v[22:23]
	v_add_f64 v[2:3], v[2:3], v[4:5]
	v_mul_f64 v[4:5], v[26:27], v[70:71]
	v_add_f64 v[0:1], v[0:1], v[22:23]
	v_fma_f64 v[4:5], v[24:25], v[68:69], -v[4:5]
	v_add_f64 v[0:1], v[0:1], v[4:5]
	v_mul_f64 v[4:5], v[34:35], v[82:83]
	v_fma_f64 v[4:5], v[32:33], v[80:81], -v[4:5]
	v_add_f64 v[0:1], v[0:1], v[4:5]
	v_mul_f64 v[4:5], v[30:31], v[78:79]
	;; [unrolled: 3-line block ×4, first 2 shown]
	v_mul_f64 v[8:9], v[8:9], v[42:43]
	v_fma_f64 v[4:5], v[52:53], v[100:101], -v[4:5]
	v_mul_f64 v[12:13], v[12:13], v[46:47]
	v_fmac_f64_e32 v[8:9], v[10:11], v[40:41]
	v_add_f64 v[0:1], v[0:1], v[4:5]
	v_mul_f64 v[4:5], v[62:63], v[118:119]
	v_mul_f64 v[16:17], v[16:17], v[50:51]
	v_add_f64 v[2:3], v[2:3], v[8:9]
	v_fmac_f64_e32 v[12:13], v[14:15], v[44:45]
	v_fma_f64 v[4:5], v[60:61], v[116:117], -v[4:5]
	v_add_f64 v[2:3], v[2:3], v[12:13]
	v_fmac_f64_e32 v[16:17], v[18:19], v[48:49]
	v_mul_f64 v[6:7], v[24:25], v[70:71]
	v_add_f64 v[0:1], v[0:1], v[4:5]
	v_mul_f64 v[4:5], v[58:59], v[114:115]
	v_add_f64 v[2:3], v[2:3], v[16:17]
	v_mul_f64 v[8:9], v[32:33], v[82:83]
	v_fmac_f64_e32 v[6:7], v[26:27], v[68:69]
	v_fma_f64 v[4:5], v[56:57], v[112:113], -v[4:5]
	v_mul_f64 v[10:11], v[28:29], v[78:79]
	v_add_f64 v[2:3], v[2:3], v[6:7]
	v_fmac_f64_e32 v[8:9], v[34:35], v[80:81]
	v_add_f64 v[0:1], v[0:1], v[4:5]
	v_mul_f64 v[4:5], v[66:67], v[110:111]
	v_mul_f64 v[12:13], v[36:37], v[74:75]
	v_add_f64 v[2:3], v[2:3], v[8:9]
	v_fmac_f64_e32 v[10:11], v[30:31], v[76:77]
	v_fma_f64 v[4:5], v[64:65], v[108:109], -v[4:5]
	v_add_f64 v[2:3], v[2:3], v[10:11]
	v_fmac_f64_e32 v[12:13], v[38:39], v[72:73]
	v_mul_f64 v[6:7], v[52:53], v[102:103]
	v_add_f64 v[0:1], v[0:1], v[4:5]
	v_mul_f64 v[4:5], v[90:91], v[106:107]
	v_add_f64 v[2:3], v[2:3], v[12:13]
	v_mul_f64 v[8:9], v[60:61], v[118:119]
	v_fmac_f64_e32 v[6:7], v[54:55], v[100:101]
	v_fma_f64 v[4:5], v[88:89], v[104:105], -v[4:5]
	v_mul_f64 v[10:11], v[56:57], v[114:115]
	v_add_f64 v[2:3], v[2:3], v[6:7]
	v_fmac_f64_e32 v[8:9], v[62:63], v[116:117]
	v_add_f64 v[0:1], v[0:1], v[4:5]
	v_mul_f64 v[4:5], v[94:95], v[122:123]
	v_mul_f64 v[12:13], v[64:65], v[110:111]
	v_add_f64 v[2:3], v[2:3], v[8:9]
	v_fmac_f64_e32 v[10:11], v[58:59], v[112:113]
	v_fma_f64 v[4:5], v[92:93], v[120:121], -v[4:5]
	v_add_f64 v[2:3], v[2:3], v[10:11]
	v_fmac_f64_e32 v[12:13], v[66:67], v[108:109]
	v_mul_f64 v[6:7], v[88:89], v[106:107]
	v_add_f64 v[0:1], v[0:1], v[4:5]
	v_mul_f64 v[4:5], v[86:87], v[126:127]
	v_add_f64 v[2:3], v[2:3], v[12:13]
	v_mul_f64 v[8:9], v[92:93], v[122:123]
	v_fma_f64 v[4:5], v[84:85], v[124:125], -v[4:5]
	v_fmac_f64_e32 v[6:7], v[90:91], v[104:105]
	v_mul_f64 v[10:11], v[84:85], v[126:127]
	v_add_f64 v[0:1], v[0:1], v[4:5]
	v_mul_f64 v[4:5], v[98:99], v[130:131]
	v_fmac_f64_e32 v[8:9], v[94:95], v[120:121]
	v_add_f64 v[2:3], v[2:3], v[6:7]
	v_fma_f64 v[4:5], v[96:97], v[128:129], -v[4:5]
	v_mul_f64 v[12:13], v[96:97], v[130:131]
	v_fmac_f64_e32 v[10:11], v[86:87], v[124:125]
	v_add_f64 v[2:3], v[2:3], v[8:9]
	v_add_f64 v[0:1], v[0:1], v[4:5]
	v_fmac_f64_e32 v[12:13], v[98:99], v[128:129]
	v_add_f64 v[2:3], v[2:3], v[10:11]
	s_add_i32 s6, s6, -1
	s_add_i32 s12, s12, s17
	v_mov_b32_e32 v4, s18
	v_add_co_u32_e64 v8, s[8:9], s19, v152
	v_add_f64 v[2:3], v[2:3], v[12:13]
	v_add_u32_e32 v150, 64, v150
	s_cmp_eq_u32 s6, 0
	v_addc_co_u32_e64 v9, s[8:9], v153, v4, s[8:9]
	s_barrier
	s_cbranch_scc1 .LBB26_133
.LBB26_129:                             ; =>This Inner Loop Header: Depth=1
	s_and_saveexec_b64 s[14:15], s[2:3]
	s_cbranch_execz .LBB26_131
; %bb.130:                              ;   in Loop: Header=BB26_129 Depth=1
	s_ashr_i32 s13, s12, 31
	s_lshl_b64 s[8:9], s[12:13], 4
	v_mov_b32_e32 v5, s9
	v_add_co_u32_e64 v4, s[8:9], s8, v155
	v_addc_co_u32_e64 v5, s[8:9], v156, v5, s[8:9]
	global_load_dwordx4 v[4:7], v[4:5], off
	s_waitcnt vmcnt(0)
	ds_write2_b64 v157, v[4:5], v[6:7] offset1:1
.LBB26_131:                             ;   in Loop: Header=BB26_129 Depth=1
	s_or_b64 exec, exec, s[14:15]
	v_add_co_u32_e64 v12, s[8:9], s10, v8
	v_addc_co_u32_e64 v13, s[8:9], v9, v165, s[8:9]
	v_add_co_u32_e64 v16, s[8:9], s10, v12
	s_waitcnt lgkmcnt(0)
	s_barrier
	global_load_dwordx4 v[4:7], v[8:9], off
	v_addc_co_u32_e64 v17, s[8:9], v13, v165, s[8:9]
	global_load_dwordx4 v[8:11], v[12:13], off
	v_add_co_u32_e64 v28, s[8:9], s10, v16
	global_load_dwordx4 v[12:15], v[16:17], off
	v_addc_co_u32_e64 v29, s[8:9], v17, v165, s[8:9]
	global_load_dwordx4 v[16:19], v[28:29], off
	ds_read_b128 v[24:27], v158
	ds_read_b128 v[20:23], v162
	v_add_co_u32_e64 v36, s[8:9], s19, v28
	v_addc_co_u32_e64 v37, s[8:9], v29, v166, s[8:9]
	v_add_co_u32_e64 v38, s[8:9], s10, v36
	v_addc_co_u32_e64 v39, s[8:9], v37, v165, s[8:9]
	;; [unrolled: 2-line block ×3, first 2 shown]
	s_waitcnt vmcnt(3) lgkmcnt(1)
	v_mul_f64 v[28:29], v[6:7], v[26:27]
	v_mul_f64 v[30:31], v[6:7], v[24:25]
	v_fmac_f64_e32 v[28:29], v[4:5], v[24:25]
	v_fma_f64 v[30:31], v[4:5], v[26:27], -v[30:31]
	s_waitcnt vmcnt(2)
	v_mul_f64 v[32:33], v[10:11], v[26:27]
	v_mul_f64 v[34:35], v[10:11], v[24:25]
	ds_write_b128 v163, v[28:31]
	v_fmac_f64_e32 v[32:33], v[8:9], v[24:25]
	v_fma_f64 v[34:35], v[8:9], v[26:27], -v[34:35]
	s_waitcnt vmcnt(1)
	v_mul_f64 v[28:29], v[14:15], v[26:27]
	v_mul_f64 v[30:31], v[14:15], v[24:25]
	ds_read_b128 v[40:43], v162 offset:16
	ds_write_b128 v163, v[32:35] offset:1072
	v_fmac_f64_e32 v[28:29], v[12:13], v[24:25]
	v_fma_f64 v[30:31], v[12:13], v[26:27], -v[30:31]
	s_waitcnt vmcnt(0)
	v_mul_f64 v[32:33], v[18:19], v[26:27]
	v_mul_f64 v[34:35], v[18:19], v[24:25]
	ds_read_b128 v[44:47], v162 offset:32
	ds_write_b128 v163, v[28:31] offset:2144
	v_fmac_f64_e32 v[32:33], v[16:17], v[24:25]
	v_fma_f64 v[34:35], v[16:17], v[26:27], -v[34:35]
	ds_read_b128 v[48:51], v162 offset:48
	ds_write_b128 v163, v[32:35] offset:3216
	s_waitcnt lgkmcnt(0)
	s_barrier
	ds_read_b128 v[128:131], v161
	ds_read_b128 v[124:127], v161 offset:16
	ds_read_b128 v[120:123], v161 offset:32
	;; [unrolled: 1-line block ×3, first 2 shown]
	s_waitcnt lgkmcnt(0)
	s_barrier
	global_load_dwordx4 v[24:27], v[36:37], off
	global_load_dwordx4 v[32:35], v[38:39], off
	;; [unrolled: 1-line block ×3, first 2 shown]
	v_add_co_u32_e64 v52, s[8:9], s10, v52
	v_addc_co_u32_e64 v53, s[8:9], v53, v165, s[8:9]
	global_load_dwordx4 v[36:39], v[52:53], off
	v_add_co_u32_e64 v88, s[8:9], s19, v52
	v_addc_co_u32_e64 v89, s[8:9], v53, v166, s[8:9]
	ds_read_b128 v[52:55], v158
	ds_read_b128 v[68:71], v162 offset:256
	v_add_co_u32_e64 v90, s[8:9], s10, v88
	v_addc_co_u32_e64 v91, s[8:9], v89, v165, s[8:9]
	v_add_co_u32_e64 v92, s[8:9], s10, v90
	v_addc_co_u32_e64 v93, s[8:9], v91, v165, s[8:9]
	v_add_f64 v[128:129], v[128:129], 0
	v_add_f64 v[130:131], v[130:131], 0
	;; [unrolled: 1-line block ×6, first 2 shown]
	s_waitcnt vmcnt(3) lgkmcnt(1)
	v_mul_f64 v[56:57], v[26:27], v[54:55]
	v_mul_f64 v[58:59], v[26:27], v[52:53]
	s_waitcnt vmcnt(2)
	v_mul_f64 v[60:61], v[34:35], v[54:55]
	v_mul_f64 v[62:63], v[34:35], v[52:53]
	v_fmac_f64_e32 v[56:57], v[24:25], v[52:53]
	v_fma_f64 v[58:59], v[24:25], v[54:55], -v[58:59]
	s_waitcnt vmcnt(1)
	v_mul_f64 v[64:65], v[30:31], v[54:55]
	v_mul_f64 v[66:67], v[30:31], v[52:53]
	v_fmac_f64_e32 v[60:61], v[32:33], v[52:53]
	v_fma_f64 v[62:63], v[32:33], v[54:55], -v[62:63]
	ds_write_b128 v163, v[56:59]
	s_waitcnt vmcnt(0)
	v_mul_f64 v[84:85], v[38:39], v[54:55]
	v_mul_f64 v[72:73], v[38:39], v[52:53]
	v_fmac_f64_e32 v[64:65], v[28:29], v[52:53]
	v_fma_f64 v[66:67], v[28:29], v[54:55], -v[66:67]
	ds_read_b128 v[80:83], v162 offset:272
	ds_write_b128 v163, v[60:63] offset:1072
	v_fmac_f64_e32 v[84:85], v[36:37], v[52:53]
	v_fma_f64 v[86:87], v[36:37], v[54:55], -v[72:73]
	ds_read_b128 v[76:79], v162 offset:288
	ds_write_b128 v163, v[64:67] offset:2144
	ds_read_b128 v[72:75], v162 offset:304
	ds_write_b128 v163, v[84:87] offset:3216
	v_add_co_u32_e64 v84, s[8:9], s10, v92
	s_waitcnt lgkmcnt(0)
	s_barrier
	ds_read_b128 v[144:147], v161
	ds_read_b128 v[140:143], v161 offset:16
	ds_read_b128 v[136:139], v161 offset:32
	;; [unrolled: 1-line block ×3, first 2 shown]
	s_waitcnt lgkmcnt(0)
	s_barrier
	global_load_dwordx4 v[52:55], v[88:89], off
	global_load_dwordx4 v[60:63], v[90:91], off
	;; [unrolled: 1-line block ×3, first 2 shown]
	v_addc_co_u32_e64 v85, s[8:9], v93, v165, s[8:9]
	global_load_dwordx4 v[64:67], v[84:85], off
	v_add_co_u32_e64 v152, s[8:9], s19, v84
	v_addc_co_u32_e64 v153, s[8:9], v85, v166, s[8:9]
	ds_read_b128 v[84:87], v158
	ds_read_b128 v[100:103], v162 offset:512
	v_add_co_u32_e64 v184, s[8:9], s10, v152
	v_addc_co_u32_e64 v185, s[8:9], v153, v165, s[8:9]
	v_add_co_u32_e64 v186, s[8:9], s10, v184
	v_addc_co_u32_e64 v187, s[8:9], v185, v165, s[8:9]
	s_waitcnt vmcnt(3) lgkmcnt(1)
	v_mul_f64 v[88:89], v[54:55], v[86:87]
	v_mul_f64 v[90:91], v[54:55], v[84:85]
	s_waitcnt vmcnt(2)
	v_mul_f64 v[92:93], v[62:63], v[86:87]
	v_mul_f64 v[94:95], v[62:63], v[84:85]
	v_fmac_f64_e32 v[88:89], v[52:53], v[84:85]
	v_fma_f64 v[90:91], v[52:53], v[86:87], -v[90:91]
	s_waitcnt vmcnt(1)
	v_mul_f64 v[96:97], v[58:59], v[86:87]
	v_mul_f64 v[98:99], v[58:59], v[84:85]
	v_fmac_f64_e32 v[92:93], v[60:61], v[84:85]
	v_fma_f64 v[94:95], v[60:61], v[86:87], -v[94:95]
	ds_write_b128 v163, v[88:91]
	s_waitcnt vmcnt(0)
	v_mul_f64 v[168:169], v[66:67], v[86:87]
	v_mul_f64 v[108:109], v[66:67], v[84:85]
	v_fmac_f64_e32 v[96:97], v[56:57], v[84:85]
	v_fma_f64 v[98:99], v[56:57], v[86:87], -v[98:99]
	ds_read_b128 v[116:119], v162 offset:528
	ds_write_b128 v163, v[92:95] offset:1072
	v_fmac_f64_e32 v[168:169], v[64:65], v[84:85]
	v_fma_f64 v[170:171], v[64:65], v[86:87], -v[108:109]
	ds_read_b128 v[112:115], v162 offset:544
	ds_write_b128 v163, v[96:99] offset:2144
	ds_read_b128 v[108:111], v162 offset:560
	ds_write_b128 v163, v[168:171] offset:3216
	s_waitcnt lgkmcnt(0)
	s_barrier
	ds_read_b128 v[168:171], v161
	ds_read_b128 v[172:175], v161 offset:16
	ds_read_b128 v[176:179], v161 offset:32
	ds_read_b128 v[180:183], v161 offset:48
	s_waitcnt lgkmcnt(0)
	s_barrier
	global_load_dwordx4 v[88:91], v[152:153], off
	global_load_dwordx4 v[92:95], v[184:185], off
	;; [unrolled: 1-line block ×3, first 2 shown]
	v_add_co_u32_e64 v152, s[8:9], s10, v186
	v_addc_co_u32_e64 v153, s[8:9], v187, v165, s[8:9]
	global_load_dwordx4 v[96:99], v[152:153], off
	v_add_f64 v[184:185], v[120:121], v[104:105]
	v_add_f64 v[186:187], v[122:123], v[106:107]
	;; [unrolled: 1-line block ×10, first 2 shown]
	ds_read_b128 v[120:123], v158
	ds_read_b128 v[104:107], v162 offset:768
	v_add_f64 v[124:125], v[168:169], 0
	v_add_f64 v[126:127], v[170:171], 0
	;; [unrolled: 1-line block ×8, first 2 shown]
	s_waitcnt vmcnt(3) lgkmcnt(1)
	v_mul_f64 v[124:125], v[90:91], v[122:123]
	v_mul_f64 v[126:127], v[90:91], v[120:121]
	s_waitcnt vmcnt(2)
	v_mul_f64 v[128:129], v[94:95], v[122:123]
	v_mul_f64 v[130:131], v[94:95], v[120:121]
	v_fma_f64 v[126:127], v[88:89], v[122:123], -v[126:127]
	v_fmac_f64_e32 v[124:125], v[88:89], v[120:121]
	s_waitcnt vmcnt(1)
	v_mul_f64 v[140:141], v[86:87], v[122:123]
	v_mul_f64 v[142:143], v[86:87], v[120:121]
	s_waitcnt vmcnt(0)
	v_mul_f64 v[146:147], v[98:99], v[120:121]
	v_mul_f64 v[144:145], v[98:99], v[122:123]
	v_fma_f64 v[130:131], v[92:93], v[122:123], -v[130:131]
	v_fmac_f64_e32 v[128:129], v[92:93], v[120:121]
	ds_write_b128 v163, v[124:127]
	v_fma_f64 v[142:143], v[84:85], v[122:123], -v[142:143]
	v_fma_f64 v[146:147], v[96:97], v[122:123], -v[146:147]
	v_fmac_f64_e32 v[140:141], v[84:85], v[120:121]
	v_fmac_f64_e32 v[144:145], v[96:97], v[120:121]
	ds_read_b128 v[120:123], v162 offset:784
	ds_write_b128 v163, v[128:131] offset:1072
	ds_read_b128 v[124:127], v162 offset:800
	ds_write_b128 v163, v[140:143] offset:2144
	ds_read_b128 v[128:131], v162 offset:816
	ds_write_b128 v163, v[144:147] offset:3216
	s_waitcnt lgkmcnt(0)
	s_barrier
	ds_read_b128 v[140:143], v161
	ds_read_b128 v[144:147], v161 offset:16
	ds_read_b128 v[168:171], v161 offset:32
	;; [unrolled: 1-line block ×3, first 2 shown]
	s_waitcnt lgkmcnt(0)
	s_barrier
	ds_write_b128 v164, v[184:187]
	ds_write_b128 v164, v[132:135] offset:256
	ds_write_b128 v164, v[136:139] offset:512
	v_add_f64 v[132:133], v[140:141], 0
	v_add_f64 v[134:135], v[142:143], 0
	;; [unrolled: 1-line block ×8, first 2 shown]
	ds_write_b128 v164, v[132:135] offset:768
	s_waitcnt lgkmcnt(0)
	s_barrier
	s_and_saveexec_b64 s[14:15], s[4:5]
	s_cbranch_execz .LBB26_128
; %bb.132:                              ;   in Loop: Header=BB26_129 Depth=1
	ds_read_b128 v[132:135], v159
	ds_read_b128 v[136:139], v159 offset:16
	ds_read_b128 v[140:143], v159 offset:32
	;; [unrolled: 1-line block ×3, first 2 shown]
	s_waitcnt lgkmcnt(2)
	v_add_f64 v[132:133], v[136:137], v[132:133]
	v_add_f64 v[136:137], v[138:139], v[134:135]
	s_waitcnt lgkmcnt(1)
	v_add_f64 v[138:139], v[132:133], v[140:141]
	ds_read_b128 v[132:135], v159 offset:64
	v_add_f64 v[140:141], v[136:137], v[142:143]
	s_waitcnt lgkmcnt(1)
	v_add_f64 v[142:143], v[138:139], v[144:145]
	ds_read_b128 v[136:139], v159 offset:80
	;; [unrolled: 4-line block ×9, first 2 shown]
	v_add_f64 v[134:135], v[144:145], v[134:135]
	s_waitcnt lgkmcnt(1)
	v_add_f64 v[136:137], v[132:133], v[136:137]
	v_add_f64 v[144:145], v[134:135], v[138:139]
	ds_read_b128 v[132:135], v159 offset:208
	s_waitcnt lgkmcnt(1)
	v_add_f64 v[146:147], v[136:137], v[140:141]
	ds_read_b128 v[136:139], v159 offset:224
	v_add_f64 v[144:145], v[144:145], v[142:143]
	ds_read_b128 v[140:143], v160
	s_waitcnt lgkmcnt(2)
	v_add_f64 v[132:133], v[146:147], v[132:133]
	v_add_f64 v[134:135], v[144:145], v[134:135]
	s_waitcnt lgkmcnt(1)
	v_add_f64 v[132:133], v[132:133], v[136:137]
	v_lshlrev_b64 v[136:137], 4, v[150:151]
	v_add_f64 v[134:135], v[134:135], v[138:139]
	v_mov_b32_e32 v138, s16
	v_add_co_u32_e64 v136, s[8:9], s7, v136
	s_waitcnt lgkmcnt(0)
	v_add_f64 v[132:133], v[132:133], v[140:141]
	v_add_f64 v[134:135], v[134:135], v[142:143]
	v_addc_co_u32_e64 v137, s[8:9], v138, v137, s[8:9]
	global_store_dwordx4 v[136:137], v[132:135], off
	s_branch .LBB26_128
.LBB26_133:
	s_movk_i32 s2, 0x430
	s_or_b64 s[0:1], s[0:1], vcc
	v_mad_u32_u24 v4, v149, s2, v154
	s_xor_b64 s[0:1], s[0:1], -1
	ds_write_b128 v4, v[0:3]
	s_waitcnt lgkmcnt(0)
	s_barrier
	s_and_saveexec_b64 s[2:3], s[0:1]
	s_cbranch_execz .LBB26_135
; %bb.134:
	ds_read_b128 v[0:3], v154 offset:1072
	ds_read_b128 v[4:7], v154
	ds_read_b128 v[8:11], v154 offset:2144
	ds_read_b128 v[12:15], v154 offset:3216
	v_ashrrev_i32_e32 v149, 31, v148
	s_waitcnt lgkmcnt(2)
	v_add_f64 v[0:1], v[0:1], v[4:5]
	v_add_f64 v[2:3], v[2:3], v[6:7]
	v_lshlrev_b64 v[4:5], 4, v[148:149]
	s_waitcnt lgkmcnt(1)
	v_add_f64 v[0:1], v[0:1], v[8:9]
	v_add_f64 v[2:3], v[2:3], v[10:11]
	v_mov_b32_e32 v6, s16
	v_add_co_u32_e32 v4, vcc, s7, v4
	s_waitcnt lgkmcnt(0)
	v_add_f64 v[0:1], v[0:1], v[12:13]
	v_add_f64 v[2:3], v[2:3], v[14:15]
	v_addc_co_u32_e32 v5, vcc, v6, v5, vcc
	global_store_dwordx4 v[4:5], v[0:3], off
.LBB26_135:
	s_endpgm
	.section	.rodata,"a",@progbits
	.p2align	6, 0x0
	.amdhsa_kernel _ZL26rocblas_hemvn_kernel_lowerILb1ELi64ELi4ELi33ELi32ELi16EiPK19rocblas_complex_numIdES3_PS1_EviT6_lT7_lT5_lS6_lS7_lS5_lT8_i
		.amdhsa_group_segment_fixed_size 19200
		.amdhsa_private_segment_fixed_size 0
		.amdhsa_kernarg_size 376
		.amdhsa_user_sgpr_count 6
		.amdhsa_user_sgpr_private_segment_buffer 1
		.amdhsa_user_sgpr_dispatch_ptr 0
		.amdhsa_user_sgpr_queue_ptr 0
		.amdhsa_user_sgpr_kernarg_segment_ptr 1
		.amdhsa_user_sgpr_dispatch_id 0
		.amdhsa_user_sgpr_flat_scratch_init 0
		.amdhsa_user_sgpr_kernarg_preload_length 0
		.amdhsa_user_sgpr_kernarg_preload_offset 0
		.amdhsa_user_sgpr_private_segment_size 0
		.amdhsa_uses_dynamic_stack 0
		.amdhsa_system_sgpr_private_segment_wavefront_offset 0
		.amdhsa_system_sgpr_workgroup_id_x 1
		.amdhsa_system_sgpr_workgroup_id_y 0
		.amdhsa_system_sgpr_workgroup_id_z 1
		.amdhsa_system_sgpr_workgroup_info 0
		.amdhsa_system_vgpr_workitem_id 1
		.amdhsa_next_free_vgpr 188
		.amdhsa_next_free_sgpr 46
		.amdhsa_accum_offset 188
		.amdhsa_reserve_vcc 1
		.amdhsa_reserve_flat_scratch 0
		.amdhsa_float_round_mode_32 0
		.amdhsa_float_round_mode_16_64 0
		.amdhsa_float_denorm_mode_32 3
		.amdhsa_float_denorm_mode_16_64 3
		.amdhsa_dx10_clamp 1
		.amdhsa_ieee_mode 1
		.amdhsa_fp16_overflow 0
		.amdhsa_tg_split 0
		.amdhsa_exception_fp_ieee_invalid_op 0
		.amdhsa_exception_fp_denorm_src 0
		.amdhsa_exception_fp_ieee_div_zero 0
		.amdhsa_exception_fp_ieee_overflow 0
		.amdhsa_exception_fp_ieee_underflow 0
		.amdhsa_exception_fp_ieee_inexact 0
		.amdhsa_exception_int_div_zero 0
	.end_amdhsa_kernel
	.section	.text._ZL26rocblas_hemvn_kernel_lowerILb1ELi64ELi4ELi33ELi32ELi16EiPK19rocblas_complex_numIdES3_PS1_EviT6_lT7_lT5_lS6_lS7_lS5_lT8_i,"axG",@progbits,_ZL26rocblas_hemvn_kernel_lowerILb1ELi64ELi4ELi33ELi32ELi16EiPK19rocblas_complex_numIdES3_PS1_EviT6_lT7_lT5_lS6_lS7_lS5_lT8_i,comdat
.Lfunc_end26:
	.size	_ZL26rocblas_hemvn_kernel_lowerILb1ELi64ELi4ELi33ELi32ELi16EiPK19rocblas_complex_numIdES3_PS1_EviT6_lT7_lT5_lS6_lS7_lS5_lT8_i, .Lfunc_end26-_ZL26rocblas_hemvn_kernel_lowerILb1ELi64ELi4ELi33ELi32ELi16EiPK19rocblas_complex_numIdES3_PS1_EviT6_lT7_lT5_lS6_lS7_lS5_lT8_i
                                        ; -- End function
	.section	.AMDGPU.csdata,"",@progbits
; Kernel info:
; codeLenInByte = 9776
; NumSgprs: 50
; NumVgprs: 188
; NumAgprs: 0
; TotalNumVgprs: 188
; ScratchSize: 0
; MemoryBound: 0
; FloatMode: 240
; IeeeMode: 1
; LDSByteSize: 19200 bytes/workgroup (compile time only)
; SGPRBlocks: 6
; VGPRBlocks: 23
; NumSGPRsForWavesPerEU: 50
; NumVGPRsForWavesPerEU: 188
; AccumOffset: 188
; Occupancy: 2
; WaveLimiterHint : 1
; COMPUTE_PGM_RSRC2:SCRATCH_EN: 0
; COMPUTE_PGM_RSRC2:USER_SGPR: 6
; COMPUTE_PGM_RSRC2:TRAP_HANDLER: 0
; COMPUTE_PGM_RSRC2:TGID_X_EN: 1
; COMPUTE_PGM_RSRC2:TGID_Y_EN: 0
; COMPUTE_PGM_RSRC2:TGID_Z_EN: 1
; COMPUTE_PGM_RSRC2:TIDIG_COMP_CNT: 1
; COMPUTE_PGM_RSRC3_GFX90A:ACCUM_OFFSET: 46
; COMPUTE_PGM_RSRC3_GFX90A:TG_SPLIT: 0
	.section	.text._ZL36rocblas_hemvn_kernel_lower_block_sumILi64EiPK19rocblas_complex_numIdEPS1_S1_EviT1_lS5_lT2_lT0_lPT3_i,"axG",@progbits,_ZL36rocblas_hemvn_kernel_lower_block_sumILi64EiPK19rocblas_complex_numIdEPS1_S1_EviT1_lS5_lT2_lT0_lPT3_i,comdat
	.globl	_ZL36rocblas_hemvn_kernel_lower_block_sumILi64EiPK19rocblas_complex_numIdEPS1_S1_EviT1_lS5_lT2_lT0_lPT3_i ; -- Begin function _ZL36rocblas_hemvn_kernel_lower_block_sumILi64EiPK19rocblas_complex_numIdEPS1_S1_EviT1_lS5_lT2_lT0_lPT3_i
	.p2align	8
	.type	_ZL36rocblas_hemvn_kernel_lower_block_sumILi64EiPK19rocblas_complex_numIdEPS1_S1_EviT1_lS5_lT2_lT0_lPT3_i,@function
_ZL36rocblas_hemvn_kernel_lower_block_sumILi64EiPK19rocblas_complex_numIdEPS1_S1_EviT1_lS5_lT2_lT0_lPT3_i: ; @_ZL36rocblas_hemvn_kernel_lower_block_sumILi64EiPK19rocblas_complex_numIdEPS1_S1_EviT1_lS5_lT2_lT0_lPT3_i
; %bb.0:
	s_load_dwordx8 s[12:19], s[4:5], 0x8
	s_waitcnt lgkmcnt(0)
	s_mul_i32 s0, s7, s15
	s_mul_hi_u32 s1, s7, s14
	s_add_i32 s1, s1, s0
	s_mul_i32 s0, s7, s14
	s_lshl_b64 s[0:1], s[0:1], 4
	s_add_u32 s0, s12, s0
	s_addc_u32 s1, s13, s1
	s_load_dwordx4 s[12:15], s[0:1], 0x0
	s_mul_i32 s0, s7, s19
	s_mul_hi_u32 s1, s7, s18
	s_add_i32 s1, s1, s0
	s_mul_i32 s0, s7, s18
	s_lshl_b64 s[0:1], s[0:1], 4
	s_add_u32 s0, s16, s0
	s_addc_u32 s1, s17, s1
	s_load_dwordx4 s[8:11], s[0:1], 0x0
	s_waitcnt lgkmcnt(0)
	v_cmp_neq_f64_e64 s[0:1], s[12:13], 0
	v_cmp_neq_f64_e64 s[2:3], s[14:15], 0
	s_or_b64 s[0:1], s[0:1], s[2:3]
	s_mov_b64 s[2:3], -1
	s_and_b64 vcc, exec, s[0:1]
	s_cbranch_vccnz .LBB27_2
; %bb.1:
	v_cmp_neq_f64_e64 s[2:3], s[8:9], 1.0
	v_cmp_neq_f64_e64 s[16:17], s[10:11], 0
	s_or_b64 s[2:3], s[2:3], s[16:17]
.LBB27_2:
	s_andn2_b64 vcc, exec, s[2:3]
	s_cbranch_vccnz .LBB27_22
; %bb.3:
	s_load_dwordx2 s[2:3], s[4:5], 0x40
	s_load_dword s24, s[4:5], 0x38
	s_load_dwordx4 s[20:23], s[4:5], 0x28
	s_load_dword s16, s[4:5], 0x0
	s_xor_b64 s[0:1], s[0:1], -1
	s_waitcnt lgkmcnt(0)
	s_mul_i32 s3, s7, s3
	s_mul_hi_u32 s17, s7, s2
	s_add_i32 s3, s17, s3
	s_mul_i32 s2, s7, s2
	s_lshl_b64 s[2:3], s[2:3], 4
	s_add_u32 s17, s20, s2
	s_addc_u32 s18, s21, s3
	s_lshl_b64 s[2:3], s[22:23], 4
	s_add_u32 s22, s17, s2
	v_lshl_or_b32 v8, s6, 6, v0
	s_addc_u32 s23, s18, s3
	s_andn2_b64 vcc, exec, s[0:1]
	v_cmp_gt_i32_e64 s[0:1], s16, v8
	s_cbranch_vccnz .LBB27_8
; %bb.4:
	s_mov_b64 s[18:19], 0
	s_mov_b64 s[2:3], 0
                                        ; implicit-def: $vgpr2_vgpr3
                                        ; implicit-def: $vgpr4_vgpr5
	s_and_saveexec_b64 s[20:21], s[0:1]
	s_cbranch_execz .LBB27_9
; %bb.5:
	v_cmp_neq_f64_e64 s[0:1], s[8:9], 0
	v_cmp_neq_f64_e64 s[2:3], s[10:11], 0
	v_pk_mov_b32 v[2:3], 0, 0
	v_mul_lo_u32 v4, v8, s24
	s_or_b64 s[0:1], s[0:1], s[2:3]
	v_ashrrev_i32_e32 v5, 31, v4
	s_andn2_b64 vcc, exec, s[0:1]
	v_pk_mov_b32 v[0:1], v[2:3], v[2:3] op_sel:[0,1]
	s_cbranch_vccnz .LBB27_7
; %bb.6:
	v_lshlrev_b64 v[0:1], 4, v[4:5]
	v_mov_b32_e32 v2, s23
	v_add_co_u32_e32 v0, vcc, s22, v0
	v_addc_co_u32_e32 v1, vcc, v2, v1, vcc
	global_load_dwordx4 v[10:13], v[0:1], off
	s_waitcnt vmcnt(0)
	v_mul_f64 v[0:1], s[10:11], v[12:13]
	v_mul_f64 v[2:3], s[8:9], v[12:13]
	v_fma_f64 v[0:1], s[8:9], v[10:11], -v[0:1]
	v_fmac_f64_e32 v[2:3], s[10:11], v[10:11]
.LBB27_7:
	s_mov_b64 s[2:3], exec
	s_or_b64 exec, exec, s[20:21]
	s_and_b64 vcc, exec, s[18:19]
	s_cbranch_vccnz .LBB27_10
	s_branch .LBB27_20
.LBB27_8:
	s_mov_b64 s[2:3], 0
                                        ; implicit-def: $vgpr2_vgpr3
                                        ; implicit-def: $vgpr4_vgpr5
	s_cbranch_execnz .LBB27_10
	s_branch .LBB27_20
.LBB27_9:
	s_or_b64 exec, exec, s[20:21]
	s_and_b64 vcc, exec, s[18:19]
	s_cbranch_vccz .LBB27_20
.LBB27_10:
	v_cmp_gt_i32_e32 vcc, s16, v8
                                        ; implicit-def: $vgpr2_vgpr3
                                        ; implicit-def: $vgpr4_vgpr5
	s_and_saveexec_b64 s[0:1], vcc
	s_cbranch_execz .LBB27_19
; %bb.11:
	s_load_dword s18, s[4:5], 0x58
	v_pk_mov_b32 v[0:1], 0, 0
	v_pk_mov_b32 v[6:7], v[0:1], v[0:1] op_sel:[0,1]
	s_waitcnt lgkmcnt(0)
	s_cmp_ge_i32 s6, s18
	s_cbranch_scc1 .LBB27_14
; %bb.12:
	s_ashr_i32 s17, s16, 31
	s_mul_i32 s19, s6, s16
	s_load_dwordx2 s[4:5], s[4:5], 0x48
	v_add_u32_e32 v0, s19, v8
	s_mul_hi_u32 s19, s16, s7
	s_mul_i32 s20, s17, s7
	s_add_i32 s19, s19, s20
	s_mul_i32 s7, s16, s7
	s_mul_i32 s19, s19, s18
	s_mul_hi_u32 s20, s7, s18
	s_add_i32 s21, s20, s19
	s_mul_i32 s20, s7, s18
	s_lshl_b64 s[20:21], s[20:21], 4
	v_ashrrev_i32_e32 v1, 31, v0
	s_waitcnt lgkmcnt(0)
	s_add_u32 s4, s4, s20
	v_lshlrev_b64 v[0:1], 4, v[0:1]
	s_addc_u32 s5, s5, s21
	v_mov_b32_e32 v2, s5
	v_add_co_u32_e32 v0, vcc, s4, v0
	v_addc_co_u32_e32 v1, vcc, v2, v1, vcc
	v_add_co_u32_e32 v2, vcc, 8, v0
	v_addc_co_u32_e32 v3, vcc, 0, v1, vcc
	s_lshl_b64 s[4:5], s[16:17], 4
	v_pk_mov_b32 v[0:1], 0, 0
	v_mov_b32_e32 v4, s5
	v_pk_mov_b32 v[6:7], v[0:1], v[0:1] op_sel:[0,1]
.LBB27_13:                              ; =>This Inner Loop Header: Depth=1
	global_load_dwordx4 v[10:13], v[2:3], off offset:-8
	s_add_i32 s6, s6, 1
	v_add_co_u32_e32 v2, vcc, s4, v2
	v_addc_co_u32_e32 v3, vcc, v3, v4, vcc
	s_cmp_ge_i32 s6, s18
	s_waitcnt vmcnt(0)
	v_add_f64 v[6:7], v[6:7], v[10:11]
	v_add_f64 v[0:1], v[0:1], v[12:13]
	s_cbranch_scc0 .LBB27_13
.LBB27_14:
	v_cmp_neq_f64_e64 s[6:7], s[8:9], 0
	v_cmp_neq_f64_e64 s[16:17], s[10:11], 0
	s_or_b64 s[6:7], s[6:7], s[16:17]
	v_mul_f64 v[10:11], s[14:15], v[0:1]
	v_mul_f64 v[2:3], s[12:13], v[0:1]
	v_mul_lo_u32 v4, v8, s24
	s_mov_b64 s[4:5], 0
	s_andn2_b64 vcc, exec, s[6:7]
	v_fma_f64 v[0:1], s[12:13], v[6:7], -v[10:11]
	v_fmac_f64_e32 v[2:3], s[14:15], v[6:7]
	v_ashrrev_i32_e32 v5, 31, v4
	s_cbranch_vccnz .LBB27_16
; %bb.15:
	s_mov_b64 s[4:5], -1
.LBB27_16:
	s_andn2_b64 vcc, exec, s[4:5]
	s_cbranch_vccnz .LBB27_18
; %bb.17:
	v_lshlrev_b64 v[6:7], 4, v[4:5]
	v_mov_b32_e32 v8, s23
	v_add_co_u32_e32 v6, vcc, s22, v6
	v_addc_co_u32_e32 v7, vcc, v8, v7, vcc
	global_load_dwordx4 v[6:9], v[6:7], off
	s_waitcnt vmcnt(0)
	v_mul_f64 v[10:11], s[10:11], v[8:9]
	v_mul_f64 v[8:9], s[8:9], v[8:9]
	v_fma_f64 v[10:11], s[8:9], v[6:7], -v[10:11]
	v_fmac_f64_e32 v[8:9], s[10:11], v[6:7]
	v_add_f64 v[0:1], v[0:1], v[10:11]
	v_add_f64 v[2:3], v[2:3], v[8:9]
.LBB27_18:
	s_or_b64 s[2:3], s[2:3], exec
.LBB27_19:
	s_or_b64 exec, exec, s[0:1]
.LBB27_20:
	s_and_saveexec_b64 s[0:1], s[2:3]
	s_cbranch_execz .LBB27_22
; %bb.21:
	v_lshlrev_b64 v[4:5], 4, v[4:5]
	v_mov_b32_e32 v6, s23
	v_add_co_u32_e32 v4, vcc, s22, v4
	v_addc_co_u32_e32 v5, vcc, v6, v5, vcc
	global_store_dwordx4 v[4:5], v[0:3], off
.LBB27_22:
	s_endpgm
	.section	.rodata,"a",@progbits
	.p2align	6, 0x0
	.amdhsa_kernel _ZL36rocblas_hemvn_kernel_lower_block_sumILi64EiPK19rocblas_complex_numIdEPS1_S1_EviT1_lS5_lT2_lT0_lPT3_i
		.amdhsa_group_segment_fixed_size 0
		.amdhsa_private_segment_fixed_size 0
		.amdhsa_kernarg_size 344
		.amdhsa_user_sgpr_count 6
		.amdhsa_user_sgpr_private_segment_buffer 1
		.amdhsa_user_sgpr_dispatch_ptr 0
		.amdhsa_user_sgpr_queue_ptr 0
		.amdhsa_user_sgpr_kernarg_segment_ptr 1
		.amdhsa_user_sgpr_dispatch_id 0
		.amdhsa_user_sgpr_flat_scratch_init 0
		.amdhsa_user_sgpr_kernarg_preload_length 0
		.amdhsa_user_sgpr_kernarg_preload_offset 0
		.amdhsa_user_sgpr_private_segment_size 0
		.amdhsa_uses_dynamic_stack 0
		.amdhsa_system_sgpr_private_segment_wavefront_offset 0
		.amdhsa_system_sgpr_workgroup_id_x 1
		.amdhsa_system_sgpr_workgroup_id_y 0
		.amdhsa_system_sgpr_workgroup_id_z 1
		.amdhsa_system_sgpr_workgroup_info 0
		.amdhsa_system_vgpr_workitem_id 0
		.amdhsa_next_free_vgpr 14
		.amdhsa_next_free_sgpr 25
		.amdhsa_accum_offset 16
		.amdhsa_reserve_vcc 1
		.amdhsa_reserve_flat_scratch 0
		.amdhsa_float_round_mode_32 0
		.amdhsa_float_round_mode_16_64 0
		.amdhsa_float_denorm_mode_32 3
		.amdhsa_float_denorm_mode_16_64 3
		.amdhsa_dx10_clamp 1
		.amdhsa_ieee_mode 1
		.amdhsa_fp16_overflow 0
		.amdhsa_tg_split 0
		.amdhsa_exception_fp_ieee_invalid_op 0
		.amdhsa_exception_fp_denorm_src 0
		.amdhsa_exception_fp_ieee_div_zero 0
		.amdhsa_exception_fp_ieee_overflow 0
		.amdhsa_exception_fp_ieee_underflow 0
		.amdhsa_exception_fp_ieee_inexact 0
		.amdhsa_exception_int_div_zero 0
	.end_amdhsa_kernel
	.section	.text._ZL36rocblas_hemvn_kernel_lower_block_sumILi64EiPK19rocblas_complex_numIdEPS1_S1_EviT1_lS5_lT2_lT0_lPT3_i,"axG",@progbits,_ZL36rocblas_hemvn_kernel_lower_block_sumILi64EiPK19rocblas_complex_numIdEPS1_S1_EviT1_lS5_lT2_lT0_lPT3_i,comdat
.Lfunc_end27:
	.size	_ZL36rocblas_hemvn_kernel_lower_block_sumILi64EiPK19rocblas_complex_numIdEPS1_S1_EviT1_lS5_lT2_lT0_lPT3_i, .Lfunc_end27-_ZL36rocblas_hemvn_kernel_lower_block_sumILi64EiPK19rocblas_complex_numIdEPS1_S1_EviT1_lS5_lT2_lT0_lPT3_i
                                        ; -- End function
	.section	.AMDGPU.csdata,"",@progbits
; Kernel info:
; codeLenInByte = 856
; NumSgprs: 29
; NumVgprs: 14
; NumAgprs: 0
; TotalNumVgprs: 14
; ScratchSize: 0
; MemoryBound: 0
; FloatMode: 240
; IeeeMode: 1
; LDSByteSize: 0 bytes/workgroup (compile time only)
; SGPRBlocks: 3
; VGPRBlocks: 1
; NumSGPRsForWavesPerEU: 29
; NumVGPRsForWavesPerEU: 14
; AccumOffset: 16
; Occupancy: 8
; WaveLimiterHint : 0
; COMPUTE_PGM_RSRC2:SCRATCH_EN: 0
; COMPUTE_PGM_RSRC2:USER_SGPR: 6
; COMPUTE_PGM_RSRC2:TRAP_HANDLER: 0
; COMPUTE_PGM_RSRC2:TGID_X_EN: 1
; COMPUTE_PGM_RSRC2:TGID_Y_EN: 0
; COMPUTE_PGM_RSRC2:TGID_Z_EN: 1
; COMPUTE_PGM_RSRC2:TIDIG_COMP_CNT: 0
; COMPUTE_PGM_RSRC3_GFX90A:ACCUM_OFFSET: 3
; COMPUTE_PGM_RSRC3_GFX90A:TG_SPLIT: 0
	.section	.text._ZL26rocblas_hemvn_kernel_lowerILb1ELi64ELi4ELi33ELi32ELi16El19rocblas_complex_numIdEPKS1_PS1_EviT6_lT7_lT5_lS6_lS7_lS5_lT8_i,"axG",@progbits,_ZL26rocblas_hemvn_kernel_lowerILb1ELi64ELi4ELi33ELi32ELi16El19rocblas_complex_numIdEPKS1_PS1_EviT6_lT7_lT5_lS6_lS7_lS5_lT8_i,comdat
	.globl	_ZL26rocblas_hemvn_kernel_lowerILb1ELi64ELi4ELi33ELi32ELi16El19rocblas_complex_numIdEPKS1_PS1_EviT6_lT7_lT5_lS6_lS7_lS5_lT8_i ; -- Begin function _ZL26rocblas_hemvn_kernel_lowerILb1ELi64ELi4ELi33ELi32ELi16El19rocblas_complex_numIdEPKS1_PS1_EviT6_lT7_lT5_lS6_lS7_lS5_lT8_i
	.p2align	8
	.type	_ZL26rocblas_hemvn_kernel_lowerILb1ELi64ELi4ELi33ELi32ELi16El19rocblas_complex_numIdEPKS1_PS1_EviT6_lT7_lT5_lS6_lS7_lS5_lT8_i,@function
_ZL26rocblas_hemvn_kernel_lowerILb1ELi64ELi4ELi33ELi32ELi16El19rocblas_complex_numIdEPKS1_PS1_EviT6_lT7_lT5_lS6_lS7_lS5_lT8_i: ; @_ZL26rocblas_hemvn_kernel_lowerILb1ELi64ELi4ELi33ELi32ELi16El19rocblas_complex_numIdEPKS1_PS1_EviT6_lT7_lT5_lS6_lS7_lS5_lT8_i
; %bb.0:
	s_load_dwordx2 s[2:3], s[4:5], 0x94
	s_add_u32 s0, s4, 0x88
	s_addc_u32 s1, s5, 0
	s_waitcnt lgkmcnt(0)
	s_lshr_b32 s8, s2, 16
	s_and_b32 s2, s2, 0xffff
	s_and_b32 s3, s3, 0xffff
	s_mul_i32 s2, s8, s2
	s_mul_i32 s2, s2, s3
	s_cmpk_lg_i32 s2, 0x100
	s_cbranch_scc1 .LBB28_135
; %bb.1:
	s_load_dwordx4 s[8:11], s[4:5], 0x8
	s_waitcnt lgkmcnt(0)
	v_cmp_neq_f64_e64 s[2:3], s[8:9], 0
	v_cmp_neq_f64_e64 s[8:9], s[10:11], 0
	s_or_b64 s[2:3], s[2:3], s[8:9]
	s_mov_b64 s[8:9], -1
	s_and_b64 vcc, exec, s[2:3]
	s_cbranch_vccnz .LBB28_3
; %bb.2:
	s_load_dwordx4 s[8:11], s[4:5], 0x60
	s_waitcnt lgkmcnt(0)
	v_cmp_neq_f64_e64 s[8:9], s[8:9], 1.0
	v_cmp_neq_f64_e64 s[10:11], s[10:11], 0
	s_or_b64 s[8:9], s[8:9], s[10:11]
.LBB28_3:
	s_andn2_b64 vcc, exec, s[8:9]
	s_cbranch_vccnz .LBB28_135
; %bb.4:
	s_andn2_b64 vcc, exec, s[2:3]
	s_cbranch_vccnz .LBB28_135
; %bb.5:
	s_load_dwordx16 s[36:51], s[4:5], 0x20
	s_load_dword s52, s[0:1], 0x0
	s_load_dword s33, s[4:5], 0x0
	v_and_b32_e32 v42, 0x3ff, v0
	v_bfe_u32 v154, v0, 10, 10
	s_waitcnt lgkmcnt(0)
	s_mul_i32 s1, s7, s51
	s_mul_hi_u32 s2, s7, s50
	s_mul_i32 s0, s7, s50
	s_add_i32 s1, s2, s1
	s_lshl_b64 s[0:1], s[0:1], 4
	s_add_u32 s2, s44, s0
	s_addc_u32 s3, s45, s1
	s_lshl_b64 s[0:1], s[46:47], 4
	s_add_u32 s2, s2, s0
	s_addc_u32 s3, s3, s1
	s_ashr_i32 s44, s33, 31
	s_lshr_b32 s1, s44, 26
	s_add_i32 s1, s33, s1
	s_lshl_b32 s24, s6, 6
	s_andn2_b32 s1, s1, 63
	s_add_i32 s0, s52, -1
	s_sub_i32 s1, s33, s1
	v_add_u32_e32 v148, s24, v42
	s_cmp_eq_u32 s6, s0
	v_ashrrev_i32_e32 v149, 31, v148
	s_cselect_b32 s22, s1, 0
	v_mul_lo_u32 v2, v149, s48
	v_mul_lo_u32 v3, v148, s49
	v_mad_u64_u32 v[0:1], s[0:1], v148, s48, 0
	v_add3_u32 v1, v1, v3, v2
	v_lshlrev_b64 v[0:1], 4, v[0:1]
	v_mov_b32_e32 v2, s3
	v_add_co_u32_e32 v36, vcc, s2, v0
	v_addc_co_u32_e32 v37, vcc, v2, v1, vcc
	v_cmp_ne_u32_e64 s[0:1], 0, v154
	v_cmp_eq_u32_e64 s[2:3], 0, v154
	s_and_saveexec_b64 s[8:9], s[2:3]
	s_cbranch_execz .LBB28_10
; %bb.6:
	s_cmp_lg_u32 s22, 0
	s_cselect_b64 s[10:11], -1, 0
	v_cmp_le_i32_e32 vcc, s22, v42
	v_mov_b32_e32 v0, 0x4700
	s_and_b64 s[10:11], s[10:11], vcc
	v_lshl_add_u32 v0, v42, 4, v0
	s_and_saveexec_b64 s[12:13], s[10:11]
	s_xor_b64 s[10:11], exec, s[12:13]
	s_cbranch_execz .LBB28_8
; %bb.7:
	v_mov_b32_e32 v2, 0
	v_mov_b32_e32 v3, v2
	;; [unrolled: 1-line block ×4, first 2 shown]
	ds_write_b128 v0, v[2:5]
                                        ; implicit-def: $vgpr0
.LBB28_8:
	s_andn2_saveexec_b64 s[10:11], s[10:11]
	s_cbranch_execz .LBB28_10
; %bb.9:
	global_load_dwordx4 v[2:5], v[36:37], off
	s_waitcnt vmcnt(0)
	ds_write2_b64 v0, v[2:3], v[4:5] offset1:1
.LBB28_10:
	s_or_b64 exec, exec, s[8:9]
	s_mul_i32 s8, s7, s43
	s_mul_hi_u32 s9, s7, s42
	s_add_i32 s9, s9, s8
	s_mul_i32 s8, s7, s42
	s_lshl_b64 s[8:9], s[8:9], 4
	s_add_u32 s10, s36, s8
	s_addc_u32 s11, s37, s9
	s_lshl_b64 s[8:9], s[38:39], 4
	s_add_u32 s10, s10, s8
	s_addc_u32 s11, s11, s9
	s_ashr_i32 s25, s24, 31
	v_lshl_add_u32 v43, v154, 6, v42
	s_lshl_b64 s[8:9], s[24:25], 4
	v_and_b32_e32 v4, 31, v42
	v_lshrrev_b32_e32 v10, 5, v43
	s_add_u32 s10, s10, s8
	v_mov_b32_e32 v5, 0
	s_addc_u32 s11, s11, s9
	v_mad_u64_u32 v[0:1], s[8:9], v10, s40, v[4:5]
	v_mov_b32_e32 v2, v1
	v_mad_u64_u32 v[2:3], s[8:9], v10, s41, v[2:3]
	s_mul_i32 s8, s24, s41
	s_mul_hi_u32 s9, s24, s40
	s_add_i32 s8, s9, s8
	s_mul_i32 s9, s25, s40
	s_add_i32 s9, s8, s9
	s_mul_i32 s8, s24, s40
	s_lshl_b64 s[26:27], s[8:9], 4
	v_mov_b32_e32 v1, v2
	s_add_u32 s8, s26, s10
	v_lshlrev_b64 v[38:39], 4, v[0:1]
	s_addc_u32 s9, s27, s11
	v_mov_b32_e32 v0, s9
	v_add_co_u32_e32 v6, vcc, s8, v38
	s_cmp_lg_u32 s22, 0
	v_addc_co_u32_e32 v7, vcc, v0, v39, vcc
	s_cselect_b64 s[28:29], -1, 0
	s_cmp_eq_u32 s22, 0
	s_cselect_b64 s[30:31], -1, 0
	s_and_b64 vcc, exec, s[28:29]
	s_cbranch_vccnz .LBB28_12
; %bb.11:
	s_lshl_b64 s[8:9], s[40:41], 7
	v_mov_b32_e32 v5, s9
	v_add_co_u32_e32 v8, vcc, s8, v6
	v_addc_co_u32_e32 v9, vcc, v7, v5, vcc
	global_load_dwordx4 v[0:3], v[8:9], off
	global_load_dwordx4 v[12:15], v[6:7], off
	v_add_co_u32_e32 v8, vcc, s8, v8
	v_addc_co_u32_e32 v9, vcc, v9, v5, vcc
	v_mov_b32_e32 v5, 0x180
	v_mad_u64_u32 v[24:25], s[8:9], s40, v5, v[6:7]
	s_mul_i32 s8, s41, 0x180
	v_add_u32_e32 v25, s8, v25
	global_load_dwordx4 v[16:19], v[24:25], off
	global_load_dwordx4 v[20:23], v[8:9], off
	v_mul_u32_u24_e32 v5, 33, v10
	v_add_lshl_u32 v5, v5, v4, 4
	v_add_u32_e32 v8, 0x1080, v5
	v_add_u32_e32 v9, 0x2100, v5
	;; [unrolled: 1-line block ×3, first 2 shown]
	s_waitcnt vmcnt(2)
	ds_write2_b64 v5, v[12:13], v[14:15] offset1:1
	ds_write2_b64 v8, v[0:1], v[2:3] offset1:1
	s_waitcnt vmcnt(1)
	ds_write2_b64 v11, v[16:17], v[18:19] offset1:1
	s_waitcnt vmcnt(0)
	ds_write2_b64 v9, v[20:21], v[22:23] offset1:1
	s_cbranch_execz .LBB28_13
	s_branch .LBB28_30
.LBB28_12:
.LBB28_13:
	v_lshlrev_b32_e32 v2, 4, v4
	v_sub_co_u32_e32 v0, vcc, v6, v2
	s_ashr_i32 s23, s22, 31
	v_subbrev_co_u32_e32 v1, vcc, 0, v7, vcc
	s_lshl_b64 s[10:11], s[22:23], 4
	v_mov_b32_e32 v3, s11
	v_add_co_u32_e32 v0, vcc, s10, v0
	v_addc_co_u32_e32 v1, vcc, v1, v3, vcc
	v_add_co_u32_e32 v0, vcc, -16, v0
	v_addc_co_u32_e32 v1, vcc, -1, v1, vcc
	v_cmp_gt_i32_e32 vcc, s22, v4
	v_mul_u32_u24_e32 v3, 33, v10
	v_cndmask_b32_e32 v1, v1, v7, vcc
	v_cndmask_b32_e32 v0, v0, v6, vcc
	v_cmp_le_i32_e64 s[8:9], s22, v10
	v_add_lshl_u32 v3, v3, v4, 4
	s_and_saveexec_b64 s[12:13], s[8:9]
	s_xor_b64 s[8:9], exec, s[12:13]
	s_cbranch_execz .LBB28_15
; %bb.14:
	v_mov_b32_e32 v12, 0
	v_mov_b32_e32 v13, v12
	;; [unrolled: 1-line block ×4, first 2 shown]
	ds_write_b128 v3, v[12:15]
.LBB28_15:
	s_andn2_saveexec_b64 s[8:9], s[8:9]
	s_cbranch_execz .LBB28_17
; %bb.16:
	global_load_dwordx4 v[12:15], v[0:1], off
	s_waitcnt vmcnt(0)
	ds_write2_b64 v3, v[12:13], v[14:15] offset1:1
.LBB28_17:
	s_or_b64 exec, exec, s[8:9]
	v_add_u32_e32 v5, 8, v10
	v_cmp_le_i32_e64 s[8:9], s22, v5
	s_and_saveexec_b64 s[12:13], s[8:9]
	s_xor_b64 s[8:9], exec, s[12:13]
	s_cbranch_execz .LBB28_19
; %bb.18:
	v_mul_u32_u24_e32 v5, 33, v5
	v_mov_b32_e32 v12, 0
	v_add_lshl_u32 v5, v5, v4, 4
	v_mov_b32_e32 v13, v12
	v_mov_b32_e32 v14, v12
	;; [unrolled: 1-line block ×3, first 2 shown]
	ds_write_b128 v5, v[12:15]
.LBB28_19:
	s_andn2_saveexec_b64 s[12:13], s[8:9]
	s_cbranch_execz .LBB28_21
; %bb.20:
	s_lshl_b64 s[8:9], s[40:41], 7
	v_mov_b32_e32 v5, s9
	v_add_co_u32_e64 v8, s[8:9], s8, v0
	v_addc_co_u32_e64 v9, s[8:9], v1, v5, s[8:9]
	global_load_dwordx4 v[12:15], v[8:9], off
	v_add_u32_e32 v5, 0x1080, v3
	s_waitcnt vmcnt(0)
	ds_write2_b64 v5, v[12:13], v[14:15] offset1:1
.LBB28_21:
	s_or_b64 exec, exec, s[12:13]
	v_add_u32_e32 v5, 16, v10
	v_cmp_le_i32_e64 s[8:9], s22, v5
	s_and_saveexec_b64 s[12:13], s[8:9]
	s_xor_b64 s[8:9], exec, s[12:13]
	s_cbranch_execz .LBB28_23
; %bb.22:
	v_mov_b32_e32 v12, 0
	v_mov_b32_e32 v13, v12
	;; [unrolled: 1-line block ×4, first 2 shown]
	ds_write_b128 v3, v[12:15] offset:8448
.LBB28_23:
	s_andn2_saveexec_b64 s[12:13], s[8:9]
	s_cbranch_execz .LBB28_25
; %bb.24:
	s_lshl_b64 s[8:9], s[40:41], 8
	v_mov_b32_e32 v5, s9
	v_add_co_u32_e64 v8, s[8:9], s8, v0
	v_addc_co_u32_e64 v9, s[8:9], v1, v5, s[8:9]
	global_load_dwordx4 v[12:15], v[8:9], off
	v_add_u32_e32 v5, 0x2100, v3
	s_waitcnt vmcnt(0)
	ds_write2_b64 v5, v[12:13], v[14:15] offset1:1
.LBB28_25:
	s_or_b64 exec, exec, s[12:13]
	v_add_u32_e32 v5, 24, v10
	v_cmp_le_i32_e64 s[8:9], s22, v5
	s_and_saveexec_b64 s[12:13], s[8:9]
	s_xor_b64 s[8:9], exec, s[12:13]
	s_cbranch_execz .LBB28_27
; %bb.26:
	v_mov_b32_e32 v12, 0
	v_mov_b32_e32 v13, v12
	;; [unrolled: 1-line block ×4, first 2 shown]
	ds_write_b128 v3, v[12:15] offset:12672
                                        ; implicit-def: $vgpr3
.LBB28_27:
	s_andn2_saveexec_b64 s[8:9], s[8:9]
	s_cbranch_execz .LBB28_29
; %bb.28:
	v_mov_b32_e32 v5, 0x180
	v_mad_u64_u32 v[8:9], s[12:13], s40, v5, v[0:1]
	s_mul_i32 s12, s41, 0x180
	v_add_u32_e32 v9, s12, v9
	global_load_dwordx4 v[12:15], v[8:9], off
	v_add_u32_e32 v3, 0x3180, v3
	s_waitcnt vmcnt(0)
	ds_write2_b64 v3, v[12:13], v[14:15] offset1:1
.LBB28_29:
	s_or_b64 exec, exec, s[8:9]
	v_add_co_u32_e64 v0, s[8:9], v0, v2
	v_addc_co_u32_e64 v1, s[8:9], 0, v1, s[8:9]
	v_mov_b32_e32 v2, s11
	v_subrev_co_u32_e64 v0, s[8:9], s10, v0
	v_subb_co_u32_e64 v1, s[8:9], v1, v2, s[8:9]
	v_add_co_u32_e64 v0, s[8:9], 16, v0
	v_addc_co_u32_e64 v1, s[8:9], 0, v1, s[8:9]
	v_cndmask_b32_e32 v7, v1, v7, vcc
	v_cndmask_b32_e32 v6, v0, v6, vcc
.LBB28_30:
	v_lshlrev_b32_e32 v12, 2, v10
	v_cmp_ge_u32_e64 s[8:9], v12, v4
	s_waitcnt lgkmcnt(0)
	s_barrier
	s_and_saveexec_b64 s[10:11], s[8:9]
	s_xor_b64 s[10:11], exec, s[10:11]
	s_cbranch_execz .LBB28_34
; %bb.31:
	v_cmp_eq_u32_e32 vcc, v12, v4
	s_and_saveexec_b64 s[12:13], vcc
	s_cbranch_execz .LBB28_33
; %bb.32:
	v_mul_u32_u24_e32 v0, 34, v4
	v_lshlrev_b32_e32 v2, 4, v0
	v_mov_b32_e32 v0, 0
	v_mov_b32_e32 v1, v0
	ds_write_b64 v2, v[0:1] offset:8
.LBB28_33:
	s_or_b64 exec, exec, s[12:13]
.LBB28_34:
	s_or_saveexec_b64 s[10:11], s[10:11]
	v_mul_u32_u24_e32 v44, 33, v4
	v_add_lshl_u32 v5, v12, v44, 4
	s_xor_b64 exec, exec, s[10:11]
	s_cbranch_execz .LBB28_36
; %bb.35:
	v_mul_u32_u24_e32 v0, 0x84, v10
	v_add_lshl_u32 v0, v0, v4, 4
	ds_read_b128 v[0:3], v0
	s_waitcnt lgkmcnt(0)
	v_xor_b32_e32 v3, 0x80000000, v3
	ds_write_b128 v5, v[0:3]
.LBB28_36:
	s_or_b64 exec, exec, s[10:11]
	v_or_b32_e32 v13, 1, v12
	v_cmp_ge_u32_e64 s[10:11], v13, v4
	s_and_saveexec_b64 s[12:13], s[10:11]
	s_xor_b64 s[12:13], exec, s[12:13]
	s_cbranch_execz .LBB28_40
; %bb.37:
	v_cmp_eq_u32_e32 vcc, v13, v4
	s_and_saveexec_b64 s[14:15], vcc
	s_cbranch_execz .LBB28_39
; %bb.38:
	v_mul_u32_u24_e32 v0, 34, v4
	v_lshlrev_b32_e32 v2, 4, v0
	v_mov_b32_e32 v0, 0
	v_mov_b32_e32 v1, v0
	ds_write_b64 v2, v[0:1] offset:8
.LBB28_39:
	s_or_b64 exec, exec, s[14:15]
.LBB28_40:
	s_or_saveexec_b64 s[12:13], s[12:13]
	v_mul_u32_u24_e32 v0, 33, v13
	s_xor_b64 exec, exec, s[12:13]
	s_cbranch_execz .LBB28_42
; %bb.41:
	v_add_lshl_u32 v1, v0, v4, 4
	ds_read_b128 v[14:17], v1
	s_waitcnt lgkmcnt(0)
	v_xor_b32_e32 v17, 0x80000000, v17
	ds_write_b128 v5, v[14:17] offset:16
.LBB28_42:
	s_or_b64 exec, exec, s[12:13]
	v_or_b32_e32 v14, 2, v12
	v_cmp_ge_u32_e64 s[12:13], v14, v4
	s_and_saveexec_b64 s[14:15], s[12:13]
	s_xor_b64 s[14:15], exec, s[14:15]
	s_cbranch_execz .LBB28_46
; %bb.43:
	v_cmp_eq_u32_e32 vcc, v14, v4
	s_and_saveexec_b64 s[16:17], vcc
	s_cbranch_execz .LBB28_45
; %bb.44:
	v_mul_u32_u24_e32 v1, 34, v4
	v_mov_b32_e32 v2, 0
	v_lshlrev_b32_e32 v1, 4, v1
	v_mov_b32_e32 v3, v2
	ds_write_b64 v1, v[2:3] offset:8
.LBB28_45:
	s_or_b64 exec, exec, s[16:17]
.LBB28_46:
	s_andn2_saveexec_b64 s[14:15], s[14:15]
	s_cbranch_execz .LBB28_48
; %bb.47:
	v_mul_u32_u24_e32 v1, 33, v14
	v_add_lshl_u32 v1, v1, v4, 4
	ds_read_b128 v[16:19], v1
	s_waitcnt lgkmcnt(0)
	v_xor_b32_e32 v19, 0x80000000, v19
	ds_write_b128 v5, v[16:19] offset:32
.LBB28_48:
	s_or_b64 exec, exec, s[14:15]
	v_or_b32_e32 v15, 3, v12
	v_cmp_ge_u32_e64 s[14:15], v15, v4
	s_and_saveexec_b64 s[16:17], s[14:15]
	s_xor_b64 s[16:17], exec, s[16:17]
	s_cbranch_execz .LBB28_52
; %bb.49:
	v_cmp_eq_u32_e32 vcc, v15, v4
	s_and_saveexec_b64 s[18:19], vcc
	s_cbranch_execz .LBB28_51
; %bb.50:
	v_mul_u32_u24_e32 v1, 34, v4
	v_mov_b32_e32 v2, 0
	v_lshlrev_b32_e32 v1, 4, v1
	v_mov_b32_e32 v3, v2
	ds_write_b64 v1, v[2:3] offset:8
.LBB28_51:
	s_or_b64 exec, exec, s[18:19]
.LBB28_52:
	s_andn2_saveexec_b64 s[16:17], s[16:17]
	s_cbranch_execz .LBB28_54
; %bb.53:
	v_mul_u32_u24_e32 v1, 33, v15
	v_add_lshl_u32 v1, v1, v4, 4
	ds_read_b128 v[16:19], v1
	s_waitcnt lgkmcnt(0)
	v_xor_b32_e32 v19, 0x80000000, v19
	ds_write_b128 v5, v[16:19] offset:48
.LBB28_54:
	s_or_b64 exec, exec, s[16:17]
	v_mul_u32_u24_e32 v1, 0x84, v10
	v_lshlrev_b32_e32 v17, 4, v12
	s_waitcnt lgkmcnt(0)
	s_barrier
	v_add_lshl_u32 v16, v1, v4, 4
	ds_read_b128 v[18:21], v17 offset:18176
	ds_read_b128 v[22:25], v17 offset:18192
	ds_read_b128 v[26:29], v16
	ds_read_b128 v[30:33], v17 offset:18208
	ds_read_b128 v[46:49], v17 offset:18224
	v_add_lshl_u32 v11, v0, v4, 4
	ds_read_b128 v[0:3], v11
	s_waitcnt lgkmcnt(3)
	v_mul_f64 v[8:9], v[20:21], v[28:29]
	v_fma_f64 v[8:9], v[18:19], v[26:27], -v[8:9]
	v_mul_f64 v[18:19], v[18:19], v[28:29]
	v_fmac_f64_e32 v[18:19], v[20:21], v[26:27]
	v_add_f64 v[26:27], v[18:19], 0
	s_waitcnt lgkmcnt(0)
	v_mul_f64 v[18:19], v[24:25], v[2:3]
	v_fma_f64 v[28:29], v[22:23], v[0:1], -v[18:19]
	v_mul_f64 v[2:3], v[22:23], v[2:3]
	ds_read_b128 v[18:21], v11 offset:528
	v_fmac_f64_e32 v[2:3], v[24:25], v[0:1]
	v_add_f64 v[22:23], v[26:27], v[2:3]
	ds_read_b128 v[0:3], v11 offset:1056
	v_add_f64 v[8:9], v[8:9], 0
	s_waitcnt lgkmcnt(1)
	v_mul_f64 v[24:25], v[32:33], v[20:21]
	v_mul_f64 v[20:21], v[30:31], v[20:21]
	v_fmac_f64_e32 v[20:21], v[32:33], v[18:19]
	v_add_f64 v[8:9], v[8:9], v[28:29]
	v_fma_f64 v[24:25], v[30:31], v[18:19], -v[24:25]
	v_add_f64 v[18:19], v[22:23], v[20:21]
	s_waitcnt lgkmcnt(0)
	v_mul_f64 v[20:21], v[48:49], v[2:3]
	v_mul_f64 v[2:3], v[46:47], v[2:3]
	v_add_f64 v[8:9], v[8:9], v[24:25]
	v_fma_f64 v[20:21], v[46:47], v[0:1], -v[20:21]
	v_fmac_f64_e32 v[2:3], v[48:49], v[0:1]
	v_add_f64 v[0:1], v[8:9], v[20:21]
	v_add_f64 v[2:3], v[18:19], v[2:3]
	v_add_lshl_u32 v45, v10, v44, 4
	s_barrier
	ds_write_b128 v45, v[0:3]
	v_pk_mov_b32 v[0:1], 0, 0
	v_cmp_gt_u32_e64 s[20:21], 32, v43
	v_pk_mov_b32 v[2:3], v[0:1], v[0:1] op_sel:[0,1]
	s_waitcnt lgkmcnt(0)
	s_barrier
	s_and_saveexec_b64 s[16:17], s[20:21]
	s_cbranch_execz .LBB28_56
; %bb.55:
	v_lshlrev_b32_e32 v30, 4, v44
	ds_read_b128 v[0:3], v30
	ds_read_b128 v[18:21], v30 offset:16
	ds_read_b128 v[22:25], v30 offset:32
	;; [unrolled: 1-line block ×3, first 2 shown]
	s_waitcnt lgkmcnt(2)
	v_add_f64 v[0:1], v[18:19], v[0:1]
	v_add_f64 v[8:9], v[20:21], v[2:3]
	s_waitcnt lgkmcnt(1)
	v_add_f64 v[18:19], v[0:1], v[22:23]
	ds_read_b128 v[0:3], v30 offset:64
	v_add_f64 v[8:9], v[8:9], v[24:25]
	s_waitcnt lgkmcnt(1)
	v_add_f64 v[22:23], v[18:19], v[26:27]
	ds_read_b128 v[18:21], v30 offset:80
	;; [unrolled: 4-line block ×3, first 2 shown]
	v_add_f64 v[8:9], v[8:9], v[2:3]
	ds_read_b128 v[0:3], v30 offset:112
	s_waitcnt lgkmcnt(2)
	v_add_f64 v[18:19], v[26:27], v[18:19]
	v_add_f64 v[8:9], v[8:9], v[20:21]
	s_waitcnt lgkmcnt(1)
	v_add_f64 v[18:19], v[18:19], v[22:23]
	v_add_f64 v[8:9], v[8:9], v[24:25]
	;; [unrolled: 3-line block ×3, first 2 shown]
.LBB28_56:
	s_or_b64 exec, exec, s[16:17]
	s_lshl_b64 s[16:17], s[40:41], 9
	v_mov_b32_e32 v9, s17
	v_add_co_u32_e32 v8, vcc, s16, v6
	v_addc_co_u32_e32 v9, vcc, v7, v9, vcc
	v_add_co_u32_e32 v6, vcc, 0x200, v8
	v_cndmask_b32_e64 v7, 0, 1, s[30:31]
	s_mov_b64 s[18:19], vcc
	v_cmp_ne_u32_e64 s[16:17], 1, v7
	s_andn2_b64 vcc, exec, s[30:31]
	v_addc_co_u32_e64 v7, s[18:19], 0, v9, s[18:19]
	s_barrier
	s_cbranch_vccnz .LBB28_58
; %bb.57:
	s_lshl_b64 s[18:19], s[40:41], 7
	v_mov_b32_e32 v24, s19
	v_add_co_u32_e32 v22, vcc, s18, v8
	v_addc_co_u32_e32 v23, vcc, v9, v24, vcc
	global_load_dwordx4 v[18:21], v[22:23], off offset:512
	v_add_co_u32_e32 v34, vcc, s18, v22
	v_mov_b32_e32 v22, 0x180
	v_mad_u64_u32 v[8:9], s[18:19], s40, v22, v[8:9]
	s_mul_i32 s18, s41, 0x180
	v_add_u32_e32 v9, s18, v9
	v_addc_co_u32_e32 v35, vcc, v23, v24, vcc
	global_load_dwordx4 v[22:25], v[6:7], off
	global_load_dwordx4 v[26:29], v[8:9], off offset:512
	global_load_dwordx4 v[30:33], v[34:35], off offset:512
	v_mul_u32_u24_e32 v8, 33, v10
	v_add_lshl_u32 v8, v8, v4, 4
	v_add_u32_e32 v9, 0x1080, v8
	v_add_u32_e32 v34, 0x2100, v8
	;; [unrolled: 1-line block ×3, first 2 shown]
	s_waitcnt vmcnt(2)
	ds_write2_b64 v8, v[22:23], v[24:25] offset1:1
	ds_write2_b64 v9, v[18:19], v[20:21] offset1:1
	s_waitcnt vmcnt(1)
	ds_write2_b64 v35, v[26:27], v[28:29] offset1:1
	s_waitcnt vmcnt(0)
	ds_write2_b64 v34, v[30:31], v[32:33] offset1:1
	s_cbranch_execz .LBB28_59
	s_branch .LBB28_76
.LBB28_58:
.LBB28_59:
	v_lshlrev_b32_e32 v18, 4, v4
	v_sub_co_u32_e32 v9, vcc, v6, v18
	s_ashr_i32 s23, s22, 31
	v_subbrev_co_u32_e32 v19, vcc, 0, v7, vcc
	s_lshl_b64 s[30:31], s[22:23], 4
	v_mov_b32_e32 v20, s31
	v_add_co_u32_e32 v9, vcc, s30, v9
	v_addc_co_u32_e32 v19, vcc, v19, v20, vcc
	v_or_b32_e32 v8, 32, v4
	v_add_co_u32_e32 v20, vcc, 0xfffffdf0, v9
	v_addc_co_u32_e32 v9, vcc, -1, v19, vcc
	v_cmp_gt_i32_e64 s[18:19], s22, v8
	s_sub_i32 s23, s22, 32
	v_mul_u32_u24_e32 v19, 33, v10
	v_cndmask_b32_e64 v9, v9, v7, s[18:19]
	v_cndmask_b32_e64 v8, v20, v6, s[18:19]
	v_cmp_le_i32_e32 vcc, s23, v10
	v_add_lshl_u32 v19, v19, v4, 4
	s_and_saveexec_b64 s[34:35], vcc
	s_xor_b64 s[34:35], exec, s[34:35]
	s_cbranch_execz .LBB28_61
; %bb.60:
	v_mov_b32_e32 v20, 0
	v_mov_b32_e32 v21, v20
	;; [unrolled: 1-line block ×4, first 2 shown]
	ds_write_b128 v19, v[20:23]
.LBB28_61:
	s_andn2_saveexec_b64 s[34:35], s[34:35]
	s_cbranch_execz .LBB28_63
; %bb.62:
	global_load_dwordx4 v[20:23], v[8:9], off
	s_waitcnt vmcnt(0)
	ds_write2_b64 v19, v[20:21], v[22:23] offset1:1
.LBB28_63:
	s_or_b64 exec, exec, s[34:35]
	v_add_u32_e32 v20, 8, v10
	v_cmp_le_i32_e32 vcc, s23, v20
	s_and_saveexec_b64 s[34:35], vcc
	s_xor_b64 s[34:35], exec, s[34:35]
	s_cbranch_execz .LBB28_65
; %bb.64:
	v_mul_u32_u24_e32 v20, 33, v20
	v_add_lshl_u32 v24, v20, v4, 4
	v_mov_b32_e32 v20, 0
	v_mov_b32_e32 v21, v20
	;; [unrolled: 1-line block ×4, first 2 shown]
	ds_write_b128 v24, v[20:23]
.LBB28_65:
	s_andn2_saveexec_b64 s[34:35], s[34:35]
	s_cbranch_execz .LBB28_67
; %bb.66:
	s_lshl_b64 s[36:37], s[40:41], 7
	v_mov_b32_e32 v21, s37
	v_add_co_u32_e32 v20, vcc, s36, v8
	v_addc_co_u32_e32 v21, vcc, v9, v21, vcc
	global_load_dwordx4 v[20:23], v[20:21], off
	v_add_u32_e32 v24, 0x1080, v19
	s_waitcnt vmcnt(0)
	ds_write2_b64 v24, v[20:21], v[22:23] offset1:1
.LBB28_67:
	s_or_b64 exec, exec, s[34:35]
	v_add_u32_e32 v20, 16, v10
	v_cmp_le_i32_e32 vcc, s23, v20
	s_and_saveexec_b64 s[34:35], vcc
	s_xor_b64 s[34:35], exec, s[34:35]
	s_cbranch_execz .LBB28_69
; %bb.68:
	v_mov_b32_e32 v20, 0
	v_mov_b32_e32 v21, v20
	;; [unrolled: 1-line block ×4, first 2 shown]
	ds_write_b128 v19, v[20:23] offset:8448
.LBB28_69:
	s_andn2_saveexec_b64 s[34:35], s[34:35]
	s_cbranch_execz .LBB28_71
; %bb.70:
	s_lshl_b64 s[36:37], s[40:41], 8
	v_mov_b32_e32 v21, s37
	v_add_co_u32_e32 v20, vcc, s36, v8
	v_addc_co_u32_e32 v21, vcc, v9, v21, vcc
	global_load_dwordx4 v[20:23], v[20:21], off
	v_add_u32_e32 v24, 0x2100, v19
	s_waitcnt vmcnt(0)
	ds_write2_b64 v24, v[20:21], v[22:23] offset1:1
.LBB28_71:
	s_or_b64 exec, exec, s[34:35]
	v_add_u32_e32 v20, 24, v10
	v_cmp_le_i32_e32 vcc, s23, v20
	s_and_saveexec_b64 s[34:35], vcc
	s_xor_b64 s[34:35], exec, s[34:35]
	s_cbranch_execz .LBB28_73
; %bb.72:
	v_mov_b32_e32 v20, 0
	v_mov_b32_e32 v21, v20
	;; [unrolled: 1-line block ×4, first 2 shown]
	ds_write_b128 v19, v[20:23] offset:12672
                                        ; implicit-def: $vgpr19
.LBB28_73:
	s_andn2_saveexec_b64 s[34:35], s[34:35]
	s_cbranch_execz .LBB28_75
; %bb.74:
	v_mov_b32_e32 v20, 0x180
	v_mad_u64_u32 v[20:21], s[36:37], s40, v20, v[8:9]
	s_mul_i32 s23, s41, 0x180
	v_add_u32_e32 v21, s23, v21
	global_load_dwordx4 v[20:23], v[20:21], off
	v_add_u32_e32 v19, 0x3180, v19
	s_waitcnt vmcnt(0)
	ds_write2_b64 v19, v[20:21], v[22:23] offset1:1
.LBB28_75:
	s_or_b64 exec, exec, s[34:35]
	v_add_co_u32_e32 v8, vcc, v8, v18
	v_addc_co_u32_e32 v9, vcc, 0, v9, vcc
	v_mov_b32_e32 v18, s31
	v_subrev_co_u32_e32 v8, vcc, s30, v8
	v_subb_co_u32_e32 v9, vcc, v9, v18, vcc
	v_add_co_u32_e32 v8, vcc, 0x210, v8
	v_addc_co_u32_e32 v9, vcc, 0, v9, vcc
	v_cndmask_b32_e64 v7, v9, v7, s[18:19]
	v_cndmask_b32_e64 v6, v8, v6, s[18:19]
.LBB28_76:
	v_add_u32_e32 v8, 0x4700, v17
	s_lshl_b64 s[18:19], s[40:41], 5
	s_waitcnt lgkmcnt(0)
	s_barrier
	s_and_saveexec_b64 s[30:31], s[8:9]
	s_xor_b64 s[8:9], exec, s[30:31]
	s_cbranch_execnz .LBB28_89
; %bb.77:
	s_andn2_saveexec_b64 s[8:9], s[8:9]
	s_cbranch_execnz .LBB28_92
.LBB28_78:
	s_or_b64 exec, exec, s[8:9]
	s_and_saveexec_b64 s[8:9], s[10:11]
	s_xor_b64 s[8:9], exec, s[8:9]
	s_cbranch_execnz .LBB28_93
.LBB28_79:
	s_andn2_saveexec_b64 s[8:9], s[8:9]
	s_cbranch_execnz .LBB28_96
.LBB28_80:
	s_or_b64 exec, exec, s[8:9]
	s_and_saveexec_b64 s[8:9], s[12:13]
	s_xor_b64 s[8:9], exec, s[8:9]
	s_cbranch_execnz .LBB28_97
.LBB28_81:
	s_andn2_saveexec_b64 s[8:9], s[8:9]
	s_cbranch_execnz .LBB28_100
.LBB28_82:
	s_or_b64 exec, exec, s[8:9]
	s_and_saveexec_b64 s[8:9], s[14:15]
	s_xor_b64 s[8:9], exec, s[8:9]
	s_cbranch_execnz .LBB28_101
.LBB28_83:
	s_andn2_saveexec_b64 s[8:9], s[8:9]
	s_cbranch_execz .LBB28_85
.LBB28_84:
	ds_read_b128 v[12:15], v11 offset:1056
	s_waitcnt lgkmcnt(0)
	v_xor_b32_e32 v15, 0x80000000, v15
	ds_write_b128 v5, v[12:15] offset:48
.LBB28_85:
	s_or_b64 exec, exec, s[8:9]
	s_waitcnt lgkmcnt(0)
	s_barrier
	ds_read_b128 v[12:15], v8 offset:512
	ds_read_b128 v[16:19], v16
	ds_read_b128 v[20:23], v8 offset:528
	ds_read_b128 v[24:27], v8 offset:544
	v_cmp_eq_u32_e64 s[8:9], 1, v10
	s_waitcnt lgkmcnt(2)
	v_mul_f64 v[28:29], v[14:15], v[18:19]
	v_fma_f64 v[40:41], v[12:13], v[16:17], -v[28:29]
	ds_read_b128 v[28:31], v8 offset:560
	ds_read_b128 v[32:35], v11
	v_mul_f64 v[12:13], v[12:13], v[18:19]
	v_fmac_f64_e32 v[12:13], v[14:15], v[16:17]
	v_add_f64 v[18:19], v[12:13], 0
	v_add_f64 v[16:17], v[40:41], 0
	s_waitcnt lgkmcnt(0)
	v_mul_f64 v[12:13], v[22:23], v[34:35]
	v_fma_f64 v[40:41], v[20:21], v[32:33], -v[12:13]
	v_mul_f64 v[20:21], v[20:21], v[34:35]
	ds_read_b128 v[12:15], v11 offset:528
	v_fmac_f64_e32 v[20:21], v[22:23], v[32:33]
	v_add_f64 v[22:23], v[16:17], v[40:41]
	v_add_f64 v[20:21], v[18:19], v[20:21]
	ds_read_b128 v[16:19], v11 offset:1056
	s_waitcnt lgkmcnt(1)
	v_mul_f64 v[32:33], v[26:27], v[14:15]
	v_mul_f64 v[14:15], v[24:25], v[14:15]
	v_fmac_f64_e32 v[14:15], v[26:27], v[12:13]
	v_fma_f64 v[32:33], v[24:25], v[12:13], -v[32:33]
	v_add_f64 v[14:15], v[20:21], v[14:15]
	s_waitcnt lgkmcnt(0)
	v_mul_f64 v[20:21], v[30:31], v[18:19]
	v_mul_f64 v[18:19], v[28:29], v[18:19]
	v_add_f64 v[12:13], v[22:23], v[32:33]
	v_fma_f64 v[20:21], v[28:29], v[16:17], -v[20:21]
	v_fmac_f64_e32 v[18:19], v[30:31], v[16:17]
	v_add_f64 v[12:13], v[12:13], v[20:21]
	v_add_f64 v[14:15], v[14:15], v[18:19]
	s_barrier
	ds_write_b128 v45, v[12:15]
	s_waitcnt lgkmcnt(0)
	s_barrier
	s_and_saveexec_b64 s[10:11], s[8:9]
	s_cbranch_execz .LBB28_87
; %bb.86:
	v_lshlrev_b32_e32 v9, 4, v44
	ds_read_b128 v[0:3], v9
	ds_read_b128 v[12:15], v9 offset:16
	ds_read_b128 v[16:19], v9 offset:32
	;; [unrolled: 1-line block ×3, first 2 shown]
	s_waitcnt lgkmcnt(2)
	v_add_f64 v[0:1], v[12:13], v[0:1]
	v_add_f64 v[12:13], v[14:15], v[2:3]
	s_waitcnt lgkmcnt(1)
	v_add_f64 v[14:15], v[0:1], v[16:17]
	ds_read_b128 v[0:3], v9 offset:64
	v_add_f64 v[12:13], v[12:13], v[18:19]
	s_waitcnt lgkmcnt(1)
	v_add_f64 v[16:17], v[14:15], v[20:21]
	v_add_f64 v[20:21], v[12:13], v[22:23]
	ds_read_b128 v[12:15], v9 offset:80
	s_waitcnt lgkmcnt(1)
	v_add_f64 v[22:23], v[16:17], v[0:1]
	ds_read_b128 v[16:19], v9 offset:96
	v_add_f64 v[20:21], v[20:21], v[2:3]
	ds_read_b128 v[0:3], v9 offset:112
	s_waitcnt lgkmcnt(2)
	v_add_f64 v[12:13], v[22:23], v[12:13]
	v_add_f64 v[14:15], v[20:21], v[14:15]
	s_waitcnt lgkmcnt(1)
	v_add_f64 v[12:13], v[12:13], v[16:17]
	v_add_f64 v[14:15], v[14:15], v[18:19]
	;; [unrolled: 3-line block ×3, first 2 shown]
.LBB28_87:
	s_or_b64 exec, exec, s[10:11]
	s_lshl_b64 s[10:11], s[18:19], 4
	v_mov_b32_e32 v9, s11
	v_subrev_co_u32_e64 v40, s[10:11], s10, v6
	s_and_b64 vcc, exec, s[16:17]
	v_subb_co_u32_e64 v41, s[10:11], v7, v9, s[10:11]
	s_barrier
	s_cbranch_vccnz .LBB28_104
; %bb.88:
	s_lshl_b64 s[10:11], s[40:41], 7
	v_mov_b32_e32 v9, s11
	v_add_co_u32_e32 v6, vcc, s10, v40
	v_addc_co_u32_e32 v7, vcc, v41, v9, vcc
	global_load_dwordx4 v[16:19], v[40:41], off
	global_load_dwordx4 v[20:23], v[6:7], off
	v_add_co_u32_e32 v6, vcc, s10, v6
	v_addc_co_u32_e32 v7, vcc, v7, v9, vcc
	v_mov_b32_e32 v9, 0x180
	v_mad_u64_u32 v[12:13], s[10:11], s40, v9, v[40:41]
	s_mul_i32 s10, s41, 0x180
	v_add_u32_e32 v13, s10, v13
	global_load_dwordx4 v[24:27], v[6:7], off
	global_load_dwordx4 v[28:31], v[12:13], off
	v_mad_u32_u24 v9, v10, 33, v4
	v_add_u32_e32 v11, 8, v10
	v_add_u32_e32 v12, 16, v10
	;; [unrolled: 1-line block ×3, first 2 shown]
	v_lshlrev_b32_e32 v15, 4, v9
	v_add_u32_e32 v7, 0x108, v9
	v_add_u32_e32 v6, 0x210, v9
	;; [unrolled: 1-line block ×6, first 2 shown]
	s_waitcnt vmcnt(3)
	ds_write2_b64 v15, v[16:17], v[18:19] offset1:1
	s_waitcnt vmcnt(2)
	ds_write2_b64 v32, v[20:21], v[22:23] offset1:1
	;; [unrolled: 2-line block ×4, first 2 shown]
	s_cbranch_execz .LBB28_105
	s_branch .LBB28_122
.LBB28_89:
	v_cmp_eq_u32_e32 vcc, v12, v4
	s_and_saveexec_b64 s[30:31], vcc
	s_cbranch_execz .LBB28_91
; %bb.90:
	v_mul_u32_u24_e32 v9, 34, v4
	v_mov_b32_e32 v18, 0
	v_lshlrev_b32_e32 v9, 4, v9
	v_mov_b32_e32 v19, v18
	ds_write_b64 v9, v[18:19] offset:8
.LBB28_91:
	s_or_b64 exec, exec, s[30:31]
	s_andn2_saveexec_b64 s[8:9], s[8:9]
	s_cbranch_execz .LBB28_78
.LBB28_92:
	ds_read_b128 v[18:21], v16
	s_waitcnt lgkmcnt(0)
	v_xor_b32_e32 v21, 0x80000000, v21
	ds_write_b128 v5, v[18:21]
	s_or_b64 exec, exec, s[8:9]
	s_and_saveexec_b64 s[8:9], s[10:11]
	s_xor_b64 s[8:9], exec, s[8:9]
	s_cbranch_execz .LBB28_79
.LBB28_93:
	v_cmp_eq_u32_e32 vcc, v13, v4
	s_and_saveexec_b64 s[10:11], vcc
	s_cbranch_execz .LBB28_95
; %bb.94:
	v_mul_u32_u24_e32 v9, 34, v4
	v_mov_b32_e32 v12, 0
	v_lshlrev_b32_e32 v9, 4, v9
	v_mov_b32_e32 v13, v12
	ds_write_b64 v9, v[12:13] offset:8
.LBB28_95:
	s_or_b64 exec, exec, s[10:11]
	s_andn2_saveexec_b64 s[8:9], s[8:9]
	s_cbranch_execz .LBB28_80
.LBB28_96:
	ds_read_b128 v[18:21], v11
	s_waitcnt lgkmcnt(0)
	v_xor_b32_e32 v21, 0x80000000, v21
	ds_write_b128 v5, v[18:21] offset:16
	s_or_b64 exec, exec, s[8:9]
	s_and_saveexec_b64 s[8:9], s[12:13]
	s_xor_b64 s[8:9], exec, s[8:9]
	s_cbranch_execz .LBB28_81
.LBB28_97:
	v_cmp_eq_u32_e32 vcc, v14, v4
	s_and_saveexec_b64 s[10:11], vcc
	s_cbranch_execz .LBB28_99
; %bb.98:
	v_mul_u32_u24_e32 v9, 34, v4
	v_mov_b32_e32 v12, 0
	v_lshlrev_b32_e32 v9, 4, v9
	v_mov_b32_e32 v13, v12
	ds_write_b64 v9, v[12:13] offset:8
.LBB28_99:
	s_or_b64 exec, exec, s[10:11]
	s_andn2_saveexec_b64 s[8:9], s[8:9]
	s_cbranch_execz .LBB28_82
.LBB28_100:
	ds_read_b128 v[18:21], v11 offset:528
	s_waitcnt lgkmcnt(0)
	v_xor_b32_e32 v21, 0x80000000, v21
	ds_write_b128 v5, v[18:21] offset:32
	s_or_b64 exec, exec, s[8:9]
	s_and_saveexec_b64 s[8:9], s[14:15]
	s_xor_b64 s[8:9], exec, s[8:9]
	s_cbranch_execz .LBB28_83
.LBB28_101:
	v_cmp_eq_u32_e32 vcc, v15, v4
	s_and_saveexec_b64 s[10:11], vcc
	s_cbranch_execz .LBB28_103
; %bb.102:
	v_mul_u32_u24_e32 v9, 34, v4
	v_mov_b32_e32 v12, 0
	v_lshlrev_b32_e32 v9, 4, v9
	v_mov_b32_e32 v13, v12
	ds_write_b64 v9, v[12:13] offset:8
.LBB28_103:
	s_or_b64 exec, exec, s[10:11]
	s_andn2_saveexec_b64 s[8:9], s[8:9]
	s_cbranch_execnz .LBB28_84
	s_branch .LBB28_85
.LBB28_104:
                                        ; implicit-def: $vgpr9
                                        ; implicit-def: $vgpr11
                                        ; implicit-def: $vgpr7
                                        ; implicit-def: $vgpr12
                                        ; implicit-def: $vgpr6
                                        ; implicit-def: $vgpr13
                                        ; implicit-def: $vgpr14
.LBB28_105:
	v_lshlrev_b32_e32 v15, 4, v4
	v_sub_co_u32_e32 v7, vcc, v40, v15
	s_ashr_i32 s23, s22, 31
	v_subbrev_co_u32_e32 v9, vcc, 0, v41, vcc
	s_lshl_b64 s[12:13], s[22:23], 4
	v_mov_b32_e32 v11, s13
	v_add_co_u32_e32 v7, vcc, s12, v7
	v_addc_co_u32_e32 v9, vcc, v9, v11, vcc
	v_or_b32_e32 v6, 32, v4
	v_add_co_u32_e32 v11, vcc, 0xfffffdf0, v7
	v_addc_co_u32_e32 v7, vcc, -1, v9, vcc
	v_cmp_gt_i32_e64 s[10:11], s22, v6
	v_mad_u32_u24 v9, v10, 33, v4
	v_cndmask_b32_e64 v7, v7, v41, s[10:11]
	v_cndmask_b32_e64 v6, v11, v40, s[10:11]
	v_cmp_le_i32_e32 vcc, s22, v10
	v_lshlrev_b32_e32 v16, 4, v9
	s_and_saveexec_b64 s[14:15], vcc
	s_xor_b64 s[14:15], exec, s[14:15]
	s_cbranch_execz .LBB28_107
; %bb.106:
	v_mov_b32_e32 v18, 0
	v_mov_b32_e32 v19, v18
	;; [unrolled: 1-line block ×4, first 2 shown]
	ds_write_b128 v16, v[18:21]
.LBB28_107:
	s_andn2_saveexec_b64 s[14:15], s[14:15]
	s_cbranch_execz .LBB28_109
; %bb.108:
	global_load_dwordx4 v[18:21], v[6:7], off
	s_waitcnt vmcnt(0)
	ds_write2_b64 v16, v[18:19], v[20:21] offset1:1
.LBB28_109:
	s_or_b64 exec, exec, s[14:15]
	v_add_u32_e32 v11, 8, v10
	v_cmp_le_i32_e32 vcc, s22, v11
	s_and_saveexec_b64 s[14:15], vcc
	s_xor_b64 s[14:15], exec, s[14:15]
	s_cbranch_execz .LBB28_111
; %bb.110:
	v_mul_u32_u24_e32 v12, 33, v11
	v_mov_b32_e32 v18, 0
	v_add_lshl_u32 v12, v12, v4, 4
	v_mov_b32_e32 v19, v18
	v_mov_b32_e32 v20, v18
	v_mov_b32_e32 v21, v18
	ds_write_b128 v12, v[18:21]
.LBB28_111:
	s_andn2_saveexec_b64 s[14:15], s[14:15]
	s_cbranch_execz .LBB28_113
; %bb.112:
	s_lshl_b64 s[16:17], s[40:41], 7
	v_mov_b32_e32 v13, s17
	v_add_co_u32_e32 v12, vcc, s16, v6
	v_addc_co_u32_e32 v13, vcc, v7, v13, vcc
	global_load_dwordx4 v[18:21], v[12:13], off
	v_add_u32_e32 v12, 0x1080, v16
	s_waitcnt vmcnt(0)
	ds_write2_b64 v12, v[18:19], v[20:21] offset1:1
.LBB28_113:
	s_or_b64 exec, exec, s[14:15]
	v_add_u32_e32 v12, 16, v10
	v_cmp_le_i32_e32 vcc, s22, v12
	s_and_saveexec_b64 s[14:15], vcc
	s_xor_b64 s[14:15], exec, s[14:15]
	s_cbranch_execz .LBB28_115
; %bb.114:
	v_mul_u32_u24_e32 v13, 33, v12
	v_mov_b32_e32 v18, 0
	v_add_lshl_u32 v4, v13, v4, 4
	v_mov_b32_e32 v19, v18
	v_mov_b32_e32 v20, v18
	;; [unrolled: 1-line block ×3, first 2 shown]
	ds_write_b128 v4, v[18:21]
.LBB28_115:
	s_andn2_saveexec_b64 s[14:15], s[14:15]
	s_cbranch_execz .LBB28_117
; %bb.116:
	s_lshl_b64 s[16:17], s[40:41], 8
	v_mov_b32_e32 v4, s17
	v_add_co_u32_e32 v18, vcc, s16, v6
	v_addc_co_u32_e32 v19, vcc, v7, v4, vcc
	global_load_dwordx4 v[18:21], v[18:19], off
	v_add_u32_e32 v4, 0x2100, v16
	s_waitcnt vmcnt(0)
	ds_write2_b64 v4, v[18:19], v[20:21] offset1:1
.LBB28_117:
	s_or_b64 exec, exec, s[14:15]
	v_add_u32_e32 v13, 24, v10
	v_cmp_le_i32_e32 vcc, s22, v13
                                        ; implicit-def: $vgpr14
	s_and_saveexec_b64 s[14:15], vcc
	s_xor_b64 s[14:15], exec, s[14:15]
	s_cbranch_execz .LBB28_119
; %bb.118:
	v_mov_b32_e32 v18, 0
	v_add_u32_e32 v14, 0x318, v9
	v_mov_b32_e32 v19, v18
	v_mov_b32_e32 v20, v18
	v_mov_b32_e32 v21, v18
	ds_write_b128 v16, v[18:21] offset:12672
                                        ; implicit-def: $vgpr16
.LBB28_119:
	s_andn2_saveexec_b64 s[14:15], s[14:15]
	s_cbranch_execz .LBB28_121
; %bb.120:
	v_mov_b32_e32 v4, 0x180
	v_mad_u64_u32 v[18:19], s[16:17], s40, v4, v[6:7]
	s_mul_i32 s16, s41, 0x180
	v_add_u32_e32 v19, s16, v19
	global_load_dwordx4 v[18:21], v[18:19], off
	v_add_u32_e32 v14, 0x318, v9
	v_add_u32_e32 v4, 0x3180, v16
	s_waitcnt vmcnt(0)
	ds_write2_b64 v4, v[18:19], v[20:21] offset1:1
.LBB28_121:
	s_or_b64 exec, exec, s[14:15]
	v_add_co_u32_e32 v4, vcc, v6, v15
	v_addc_co_u32_e32 v6, vcc, 0, v7, vcc
	v_mov_b32_e32 v7, s13
	v_subrev_co_u32_e32 v4, vcc, s12, v4
	v_subb_co_u32_e32 v6, vcc, v6, v7, vcc
	v_add_co_u32_e32 v4, vcc, 0x210, v4
	v_addc_co_u32_e32 v6, vcc, 0, v6, vcc
	v_cndmask_b32_e64 v41, v6, v41, s[10:11]
	v_cndmask_b32_e64 v40, v4, v40, s[10:11]
	v_add_u32_e32 v7, 0x108, v9
	v_add_u32_e32 v6, 0x210, v9
.LBB28_122:
	v_lshlrev_b32_e32 v4, 4, v9
	v_lshlrev_b32_e32 v9, 4, v10
	s_waitcnt lgkmcnt(0)
	s_barrier
	ds_read_b128 v[46:49], v9 offset:18176
	ds_read_b128 v[50:53], v4
	v_lshlrev_b32_e32 v4, 4, v7
	v_lshlrev_b32_e32 v7, 4, v11
	ds_read_b128 v[54:57], v7 offset:18176
	ds_read_b128 v[58:61], v4
	v_lshlrev_b32_e32 v4, 4, v6
	v_lshlrev_b32_e32 v6, 4, v12
	ds_read_b128 v[62:65], v6 offset:18176
	ds_read_b128 v[66:69], v4
	v_lshlrev_b32_e32 v6, 4, v13
	s_waitcnt lgkmcnt(4)
	v_mul_f64 v[10:11], v[48:49], v[52:53]
	v_lshlrev_b32_e32 v4, 4, v14
	ds_read_b128 v[70:73], v6 offset:18176
	ds_read_b128 v[74:77], v4
	v_fma_f64 v[10:11], v[46:47], v[50:51], -v[10:11]
	s_waitcnt lgkmcnt(4)
	v_mul_f64 v[16:17], v[56:57], v[60:61]
	v_add_f64 v[10:11], v[10:11], 0
	v_fma_f64 v[16:17], v[54:55], v[58:59], -v[16:17]
	v_add_f64 v[6:7], v[10:11], v[16:17]
	s_waitcnt lgkmcnt(2)
	v_mul_f64 v[10:11], v[64:65], v[68:69]
	v_fma_f64 v[10:11], v[62:63], v[66:67], -v[10:11]
	v_add_f64 v[6:7], v[6:7], v[10:11]
	s_waitcnt lgkmcnt(0)
	v_mul_f64 v[10:11], v[72:73], v[76:77]
	v_fma_f64 v[10:11], v[70:71], v[74:75], -v[10:11]
	v_add_f64 v[78:79], v[6:7], v[10:11]
	ds_read_b128 v[28:31], v5
	ds_read_b128 v[20:23], v5 offset:16
	ds_read_b128 v[12:15], v5 offset:32
	;; [unrolled: 1-line block ×7, first 2 shown]
	v_mul_f64 v[46:47], v[46:47], v[52:53]
	v_fmac_f64_e32 v[46:47], v[48:49], v[50:51]
	v_mul_f64 v[48:49], v[54:55], v[60:61]
	v_add_f64 v[46:47], v[46:47], 0
	v_fmac_f64_e32 v[48:49], v[56:57], v[58:59]
	v_add_f64 v[46:47], v[46:47], v[48:49]
	v_mul_f64 v[48:49], v[62:63], v[68:69]
	v_fmac_f64_e32 v[48:49], v[64:65], v[66:67]
	v_add_f64 v[46:47], v[46:47], v[48:49]
	v_mul_f64 v[48:49], v[70:71], v[76:77]
	v_fmac_f64_e32 v[48:49], v[72:73], v[74:75]
	v_add_f64 v[80:81], v[46:47], v[48:49]
	s_waitcnt lgkmcnt(0)
	s_barrier
	ds_write_b128 v45, v[78:81]
	s_waitcnt lgkmcnt(0)
	s_barrier
	s_and_saveexec_b64 s[10:11], s[8:9]
	s_cbranch_execz .LBB28_124
; %bb.123:
	v_lshlrev_b32_e32 v62, 4, v44
	ds_read_b128 v[46:49], v62
	ds_read_b128 v[50:53], v62 offset:16
	ds_read_b128 v[54:57], v62 offset:32
	;; [unrolled: 1-line block ×3, first 2 shown]
	s_waitcnt lgkmcnt(3)
	v_add_f64 v[0:1], v[0:1], v[46:47]
	v_add_f64 v[2:3], v[2:3], v[48:49]
	s_waitcnt lgkmcnt(2)
	v_add_f64 v[0:1], v[0:1], v[50:51]
	v_add_f64 v[46:47], v[2:3], v[52:53]
	s_waitcnt lgkmcnt(1)
	v_add_f64 v[48:49], v[0:1], v[54:55]
	ds_read_b128 v[0:3], v62 offset:64
	v_add_f64 v[46:47], v[46:47], v[56:57]
	s_waitcnt lgkmcnt(1)
	v_add_f64 v[50:51], v[48:49], v[58:59]
	v_add_f64 v[54:55], v[46:47], v[60:61]
	ds_read_b128 v[46:49], v62 offset:80
	s_waitcnt lgkmcnt(1)
	v_add_f64 v[56:57], v[50:51], v[0:1]
	ds_read_b128 v[50:53], v62 offset:96
	v_add_f64 v[54:55], v[54:55], v[2:3]
	ds_read_b128 v[0:3], v62 offset:112
	s_waitcnt lgkmcnt(2)
	v_add_f64 v[46:47], v[56:57], v[46:47]
	v_add_f64 v[48:49], v[54:55], v[48:49]
	s_waitcnt lgkmcnt(1)
	v_add_f64 v[46:47], v[46:47], v[50:51]
	v_add_f64 v[48:49], v[48:49], v[52:53]
	s_waitcnt lgkmcnt(0)
	v_add_f64 v[0:1], v[46:47], v[0:1]
	v_add_f64 v[2:3], v[48:49], v[2:3]
.LBB28_124:
	s_or_b64 exec, exec, s[10:11]
	v_mul_f64 v[46:47], v[30:31], v[34:35]
	v_mul_f64 v[30:31], v[30:31], v[32:33]
	v_fmac_f64_e32 v[46:47], v[28:29], v[32:33]
	v_fma_f64 v[28:29], v[28:29], v[34:35], -v[30:31]
	v_mul_f64 v[32:33], v[22:23], v[26:27]
	v_mul_f64 v[22:23], v[22:23], v[24:25]
	v_add_f64 v[30:31], v[46:47], 0
	v_add_f64 v[28:29], v[28:29], 0
	v_fmac_f64_e32 v[32:33], v[20:21], v[24:25]
	v_fma_f64 v[20:21], v[20:21], v[26:27], -v[22:23]
	v_mul_f64 v[24:25], v[14:15], v[18:19]
	v_mul_f64 v[14:15], v[14:15], v[16:17]
	v_add_f64 v[22:23], v[30:31], v[32:33]
	v_add_f64 v[20:21], v[28:29], v[20:21]
	;; [unrolled: 6-line block ×3, first 2 shown]
	v_fmac_f64_e32 v[16:17], v[4:5], v[8:9]
	v_fma_f64 v[6:7], v[4:5], v[10:11], -v[6:7]
	v_add_f64 v[4:5], v[14:15], v[16:17]
	v_add_f64 v[6:7], v[12:13], v[6:7]
	s_barrier
	ds_write_b128 v45, v[4:7]
	s_waitcnt lgkmcnt(0)
	s_barrier
	s_and_saveexec_b64 s[8:9], s[20:21]
	s_cbranch_execz .LBB28_126
; %bb.125:
	v_lshlrev_b32_e32 v20, 4, v44
	ds_read_b128 v[4:7], v20
	ds_read_b128 v[8:11], v20 offset:16
	ds_read_b128 v[12:15], v20 offset:32
	;; [unrolled: 1-line block ×3, first 2 shown]
	s_waitcnt lgkmcnt(3)
	v_add_f64 v[0:1], v[0:1], v[4:5]
	v_add_f64 v[2:3], v[2:3], v[6:7]
	s_waitcnt lgkmcnt(2)
	v_add_f64 v[0:1], v[0:1], v[8:9]
	v_add_f64 v[4:5], v[2:3], v[10:11]
	s_waitcnt lgkmcnt(1)
	v_add_f64 v[6:7], v[0:1], v[12:13]
	ds_read_b128 v[0:3], v20 offset:64
	v_add_f64 v[4:5], v[4:5], v[14:15]
	s_waitcnt lgkmcnt(1)
	v_add_f64 v[8:9], v[6:7], v[16:17]
	v_add_f64 v[12:13], v[4:5], v[18:19]
	ds_read_b128 v[4:7], v20 offset:80
	s_waitcnt lgkmcnt(1)
	v_add_f64 v[14:15], v[8:9], v[0:1]
	ds_read_b128 v[8:11], v20 offset:96
	v_add_f64 v[12:13], v[12:13], v[2:3]
	ds_read_b128 v[0:3], v20 offset:112
	s_waitcnt lgkmcnt(2)
	v_add_f64 v[4:5], v[14:15], v[4:5]
	v_add_f64 v[6:7], v[12:13], v[6:7]
	s_waitcnt lgkmcnt(1)
	v_add_f64 v[4:5], v[4:5], v[8:9]
	v_add_f64 v[6:7], v[6:7], v[10:11]
	;; [unrolled: 3-line block ×3, first 2 shown]
.LBB28_126:
	s_or_b64 exec, exec, s[8:9]
	s_load_dwordx2 s[4:5], s[4:5], 0x78
	s_mul_hi_u32 s8, s33, s7
	s_mul_i32 s44, s44, s7
	s_add_i32 s8, s8, s44
	s_mul_i32 s7, s33, s7
	s_mul_i32 s8, s8, s52
	s_mul_hi_u32 s9, s7, s52
	s_add_i32 s9, s9, s8
	s_mul_i32 s8, s7, s52
	s_lshl_b64 s[8:9], s[8:9], 4
	s_waitcnt lgkmcnt(0)
	s_add_u32 s7, s4, s8
	s_mul_i32 s4, s6, s33
	s_addc_u32 s8, s5, s9
	s_ashr_i32 s5, s4, 31
	s_lshl_b64 s[4:5], s[4:5], 4
	s_add_u32 s7, s7, s4
	v_cmp_le_i32_e32 vcc, s22, v42
	s_addc_u32 s14, s8, s5
	s_and_b64 vcc, s[28:29], vcc
	s_cmp_lt_i32 s6, 1
	v_lshlrev_b32_e32 v155, 4, v42
	s_barrier
	s_cbranch_scc1 .LBB28_133
; %bb.127:
	s_mul_i32 s4, s24, s49
	s_mul_hi_u32 s5, s24, s48
	s_add_i32 s4, s5, s4
	s_mul_i32 s5, s25, s48
	s_add_i32 s5, s4, s5
	s_mul_i32 s4, s24, s48
	s_lshl_b64 s[4:5], s[4:5], 4
	v_mov_b32_e32 v4, s5
	v_subrev_co_u32_e64 v156, s[4:5], s4, v36
	v_subb_co_u32_e64 v157, s[4:5], v37, v4, s[4:5]
	v_mov_b32_e32 v4, s27
	v_subrev_co_u32_e64 v5, s[4:5], s26, v40
	v_subb_co_u32_e64 v4, s[4:5], v41, v4, s[4:5]
	v_lshlrev_b32_e32 v7, 2, v154
	v_sub_co_u32_e64 v8, s[4:5], v5, v38
	v_subb_co_u32_e64 v9, s[4:5], v4, v39, s[4:5]
	v_mad_u64_u32 v[4:5], s[4:5], v7, s40, 0
	v_mov_b32_e32 v6, v5
	v_mad_u64_u32 v[6:7], s[4:5], v7, s41, v[6:7]
	v_mov_b32_e32 v5, v6
	v_lshlrev_b64 v[4:5], 4, v[4:5]
	v_add_co_u32_e64 v4, s[4:5], v8, v4
	v_addc_co_u32_e64 v5, s[4:5], v9, v5, s[4:5]
	s_ashr_i32 s23, s22, 31
	s_lshl_b64 s[4:5], s[22:23], 4
	v_mov_b32_e32 v6, s5
	v_add_co_u32_e64 v7, s[4:5], s4, v4
	v_addc_co_u32_e64 v6, s[4:5], v5, v6, s[4:5]
	s_movk_i32 s4, 0xfdf0
	v_add_co_u32_e64 v7, s[4:5], s4, v7
	v_addc_co_u32_e64 v6, s[4:5], -1, v6, s[4:5]
	v_add_co_u32_e64 v4, s[4:5], v4, v155
	v_addc_co_u32_e64 v5, s[4:5], 0, v5, s[4:5]
	s_movk_i32 s4, 0xfe00
	v_add_co_u32_e64 v4, s[4:5], s4, v4
	v_addc_co_u32_e64 v5, s[4:5], -1, v5, s[4:5]
	v_cndmask_b32_e32 v8, v4, v7, vcc
	v_and_b32_e32 v4, 48, v42
	v_and_b32_e32 v10, 15, v42
	v_cndmask_b32_e32 v9, v5, v6, vcc
	v_lshlrev_b32_e32 v5, 4, v4
	s_movk_i32 s8, 0x430
	v_mad_u32_u24 v160, v10, s8, v5
	v_or_b32_e32 v5, 0xf0, v155
	v_mad_u32_u24 v161, v10, s8, v5
	v_lshlrev_b32_e32 v5, 2, v43
	v_and_b32_e32 v5, 0x7ffc0, v5
	v_mad_u32_u24 v162, v10, s8, v5
	v_mov_b32_e32 v5, 0x4300
	v_lshl_add_u32 v163, v154, 6, v5
	s_movk_i32 s9, 0x10c0
	v_and_b32_e32 v5, 0x1fff0, v43
	v_mad_u32_u24 v164, v154, s9, v155
	v_mad_u32_u24 v165, v10, s8, v5
	s_mul_i32 s8, s41, 0xd0
	s_mul_hi_u32 s9, s40, 0xd0
	s_lshl_b64 s[10:11], s[40:41], 4
	s_add_i32 s15, s9, s8
	v_mov_b32_e32 v151, 0
	v_add_u32_e32 v158, 0x4300, v155
	v_add_u32_e32 v159, 0x4700, v155
	v_cmp_gt_u32_e64 s[4:5], 64, v43
	s_mul_i32 s16, s40, 0xd0
	v_or_b32_e32 v166, v4, v10
	s_mov_b32 s17, 0
	v_mov_b32_e32 v167, s11
	v_mov_b32_e32 v168, s15
	s_branch .LBB28_129
.LBB28_128:                             ;   in Loop: Header=BB28_129 Depth=1
	s_or_b64 exec, exec, s[12:13]
	v_mul_f64 v[132:133], v[6:7], v[22:23]
	v_fma_f64 v[132:133], v[4:5], v[20:21], -v[132:133]
	v_mul_f64 v[4:5], v[4:5], v[22:23]
	v_mul_f64 v[22:23], v[10:11], v[42:43]
	v_add_f64 v[0:1], v[0:1], v[132:133]
	v_fma_f64 v[22:23], v[8:9], v[40:41], -v[22:23]
	v_add_f64 v[0:1], v[0:1], v[22:23]
	v_mul_f64 v[22:23], v[14:15], v[46:47]
	v_fma_f64 v[22:23], v[12:13], v[44:45], -v[22:23]
	v_add_f64 v[0:1], v[0:1], v[22:23]
	v_mul_f64 v[22:23], v[18:19], v[50:51]
	v_fmac_f64_e32 v[4:5], v[6:7], v[20:21]
	v_fma_f64 v[22:23], v[16:17], v[48:49], -v[22:23]
	v_add_f64 v[2:3], v[2:3], v[4:5]
	v_mul_f64 v[4:5], v[26:27], v[70:71]
	v_add_f64 v[0:1], v[0:1], v[22:23]
	v_fma_f64 v[4:5], v[24:25], v[68:69], -v[4:5]
	v_add_f64 v[0:1], v[0:1], v[4:5]
	v_mul_f64 v[4:5], v[34:35], v[82:83]
	v_fma_f64 v[4:5], v[32:33], v[80:81], -v[4:5]
	v_add_f64 v[0:1], v[0:1], v[4:5]
	v_mul_f64 v[4:5], v[30:31], v[78:79]
	;; [unrolled: 3-line block ×4, first 2 shown]
	v_mul_f64 v[8:9], v[8:9], v[42:43]
	v_fma_f64 v[4:5], v[52:53], v[100:101], -v[4:5]
	v_mul_f64 v[12:13], v[12:13], v[46:47]
	v_fmac_f64_e32 v[8:9], v[10:11], v[40:41]
	v_add_f64 v[0:1], v[0:1], v[4:5]
	v_mul_f64 v[4:5], v[62:63], v[118:119]
	v_mul_f64 v[16:17], v[16:17], v[50:51]
	v_add_f64 v[2:3], v[2:3], v[8:9]
	v_fmac_f64_e32 v[12:13], v[14:15], v[44:45]
	v_fma_f64 v[4:5], v[60:61], v[116:117], -v[4:5]
	v_add_f64 v[2:3], v[2:3], v[12:13]
	v_fmac_f64_e32 v[16:17], v[18:19], v[48:49]
	v_mul_f64 v[6:7], v[24:25], v[70:71]
	v_add_f64 v[0:1], v[0:1], v[4:5]
	v_mul_f64 v[4:5], v[58:59], v[114:115]
	v_add_f64 v[2:3], v[2:3], v[16:17]
	v_mul_f64 v[8:9], v[32:33], v[82:83]
	v_fmac_f64_e32 v[6:7], v[26:27], v[68:69]
	v_fma_f64 v[4:5], v[56:57], v[112:113], -v[4:5]
	v_mul_f64 v[10:11], v[28:29], v[78:79]
	v_add_f64 v[2:3], v[2:3], v[6:7]
	v_fmac_f64_e32 v[8:9], v[34:35], v[80:81]
	v_add_f64 v[0:1], v[0:1], v[4:5]
	v_mul_f64 v[4:5], v[66:67], v[110:111]
	v_mul_f64 v[12:13], v[36:37], v[74:75]
	v_add_f64 v[2:3], v[2:3], v[8:9]
	v_fmac_f64_e32 v[10:11], v[30:31], v[76:77]
	v_fma_f64 v[4:5], v[64:65], v[108:109], -v[4:5]
	v_add_f64 v[2:3], v[2:3], v[10:11]
	v_fmac_f64_e32 v[12:13], v[38:39], v[72:73]
	v_mul_f64 v[6:7], v[52:53], v[102:103]
	v_add_f64 v[0:1], v[0:1], v[4:5]
	v_mul_f64 v[4:5], v[90:91], v[106:107]
	v_add_f64 v[2:3], v[2:3], v[12:13]
	v_mul_f64 v[8:9], v[60:61], v[118:119]
	v_fmac_f64_e32 v[6:7], v[54:55], v[100:101]
	v_fma_f64 v[4:5], v[88:89], v[104:105], -v[4:5]
	v_mul_f64 v[10:11], v[56:57], v[114:115]
	v_add_f64 v[2:3], v[2:3], v[6:7]
	v_fmac_f64_e32 v[8:9], v[62:63], v[116:117]
	v_add_f64 v[0:1], v[0:1], v[4:5]
	v_mul_f64 v[4:5], v[94:95], v[122:123]
	v_mul_f64 v[12:13], v[64:65], v[110:111]
	v_add_f64 v[2:3], v[2:3], v[8:9]
	v_fmac_f64_e32 v[10:11], v[58:59], v[112:113]
	v_fma_f64 v[4:5], v[92:93], v[120:121], -v[4:5]
	v_add_f64 v[2:3], v[2:3], v[10:11]
	v_fmac_f64_e32 v[12:13], v[66:67], v[108:109]
	v_mul_f64 v[6:7], v[88:89], v[106:107]
	v_add_f64 v[0:1], v[0:1], v[4:5]
	v_mul_f64 v[4:5], v[86:87], v[126:127]
	v_add_f64 v[2:3], v[2:3], v[12:13]
	v_mul_f64 v[8:9], v[92:93], v[122:123]
	v_fma_f64 v[4:5], v[84:85], v[124:125], -v[4:5]
	v_fmac_f64_e32 v[6:7], v[90:91], v[104:105]
	v_mul_f64 v[10:11], v[84:85], v[126:127]
	v_add_f64 v[0:1], v[0:1], v[4:5]
	v_mul_f64 v[4:5], v[98:99], v[130:131]
	v_fmac_f64_e32 v[8:9], v[94:95], v[120:121]
	v_add_f64 v[2:3], v[2:3], v[6:7]
	v_fma_f64 v[4:5], v[96:97], v[128:129], -v[4:5]
	v_mul_f64 v[12:13], v[96:97], v[130:131]
	v_fmac_f64_e32 v[10:11], v[86:87], v[124:125]
	v_add_f64 v[2:3], v[2:3], v[8:9]
	v_add_f64 v[0:1], v[0:1], v[4:5]
	v_fmac_f64_e32 v[12:13], v[98:99], v[128:129]
	v_add_f64 v[2:3], v[2:3], v[10:11]
	s_add_i32 s17, s17, 64
	s_add_i32 s6, s6, -1
	v_mov_b32_e32 v4, s15
	v_add_co_u32_e64 v8, s[8:9], s16, v152
	v_add_f64 v[2:3], v[2:3], v[12:13]
	s_cmp_eq_u32 s6, 0
	v_addc_co_u32_e64 v9, s[8:9], v153, v4, s[8:9]
	s_barrier
	s_cbranch_scc1 .LBB28_133
.LBB28_129:                             ; =>This Inner Loop Header: Depth=1
	s_and_saveexec_b64 s[12:13], s[2:3]
	s_cbranch_execz .LBB28_131
; %bb.130:                              ;   in Loop: Header=BB28_129 Depth=1
	s_mul_i32 s8, s17, s49
	s_mul_hi_u32 s9, s17, s48
	s_add_i32 s9, s9, s8
	s_mul_i32 s8, s17, s48
	s_lshl_b64 s[8:9], s[8:9], 4
	v_mov_b32_e32 v5, s9
	v_add_co_u32_e64 v4, s[8:9], s8, v156
	v_addc_co_u32_e64 v5, s[8:9], v157, v5, s[8:9]
	global_load_dwordx4 v[4:7], v[4:5], off
	s_waitcnt vmcnt(0)
	ds_write2_b64 v158, v[4:5], v[6:7] offset1:1
.LBB28_131:                             ;   in Loop: Header=BB28_129 Depth=1
	s_or_b64 exec, exec, s[12:13]
	v_add_co_u32_e64 v12, s[8:9], s10, v8
	v_addc_co_u32_e64 v13, s[8:9], v9, v167, s[8:9]
	v_add_co_u32_e64 v16, s[8:9], s10, v12
	s_waitcnt lgkmcnt(0)
	s_barrier
	global_load_dwordx4 v[4:7], v[8:9], off
	v_addc_co_u32_e64 v17, s[8:9], v13, v167, s[8:9]
	global_load_dwordx4 v[8:11], v[12:13], off
	v_add_co_u32_e64 v28, s[8:9], s10, v16
	global_load_dwordx4 v[12:15], v[16:17], off
	v_addc_co_u32_e64 v29, s[8:9], v17, v167, s[8:9]
	global_load_dwordx4 v[16:19], v[28:29], off
	ds_read_b128 v[24:27], v159
	ds_read_b128 v[20:23], v163
	v_add_co_u32_e64 v36, s[8:9], s16, v28
	v_addc_co_u32_e64 v37, s[8:9], v29, v168, s[8:9]
	v_add_co_u32_e64 v38, s[8:9], s10, v36
	v_addc_co_u32_e64 v39, s[8:9], v37, v167, s[8:9]
	;; [unrolled: 2-line block ×3, first 2 shown]
	s_waitcnt vmcnt(3) lgkmcnt(1)
	v_mul_f64 v[28:29], v[6:7], v[26:27]
	v_mul_f64 v[30:31], v[6:7], v[24:25]
	v_fmac_f64_e32 v[28:29], v[4:5], v[24:25]
	v_fma_f64 v[30:31], v[4:5], v[26:27], -v[30:31]
	s_waitcnt vmcnt(2)
	v_mul_f64 v[32:33], v[10:11], v[26:27]
	v_mul_f64 v[34:35], v[10:11], v[24:25]
	ds_write_b128 v164, v[28:31]
	v_fmac_f64_e32 v[32:33], v[8:9], v[24:25]
	v_fma_f64 v[34:35], v[8:9], v[26:27], -v[34:35]
	s_waitcnt vmcnt(1)
	v_mul_f64 v[28:29], v[14:15], v[26:27]
	v_mul_f64 v[30:31], v[14:15], v[24:25]
	ds_read_b128 v[40:43], v163 offset:16
	ds_write_b128 v164, v[32:35] offset:1072
	v_fmac_f64_e32 v[28:29], v[12:13], v[24:25]
	v_fma_f64 v[30:31], v[12:13], v[26:27], -v[30:31]
	s_waitcnt vmcnt(0)
	v_mul_f64 v[32:33], v[18:19], v[26:27]
	v_mul_f64 v[34:35], v[18:19], v[24:25]
	ds_read_b128 v[44:47], v163 offset:32
	ds_write_b128 v164, v[28:31] offset:2144
	v_fmac_f64_e32 v[32:33], v[16:17], v[24:25]
	v_fma_f64 v[34:35], v[16:17], v[26:27], -v[34:35]
	ds_read_b128 v[48:51], v163 offset:48
	ds_write_b128 v164, v[32:35] offset:3216
	s_waitcnt lgkmcnt(0)
	s_barrier
	ds_read_b128 v[128:131], v162
	ds_read_b128 v[124:127], v162 offset:16
	ds_read_b128 v[120:123], v162 offset:32
	ds_read_b128 v[104:107], v162 offset:48
	s_waitcnt lgkmcnt(0)
	s_barrier
	global_load_dwordx4 v[24:27], v[36:37], off
	global_load_dwordx4 v[32:35], v[38:39], off
	;; [unrolled: 1-line block ×3, first 2 shown]
	v_add_co_u32_e64 v52, s[8:9], s10, v52
	v_addc_co_u32_e64 v53, s[8:9], v53, v167, s[8:9]
	global_load_dwordx4 v[36:39], v[52:53], off
	v_add_co_u32_e64 v88, s[8:9], s16, v52
	v_addc_co_u32_e64 v89, s[8:9], v53, v168, s[8:9]
	ds_read_b128 v[52:55], v159
	ds_read_b128 v[68:71], v163 offset:256
	v_add_co_u32_e64 v90, s[8:9], s10, v88
	v_addc_co_u32_e64 v91, s[8:9], v89, v167, s[8:9]
	v_add_co_u32_e64 v92, s[8:9], s10, v90
	v_addc_co_u32_e64 v93, s[8:9], v91, v167, s[8:9]
	v_add_f64 v[128:129], v[128:129], 0
	v_add_f64 v[130:131], v[130:131], 0
	;; [unrolled: 1-line block ×6, first 2 shown]
	s_waitcnt vmcnt(3) lgkmcnt(1)
	v_mul_f64 v[56:57], v[26:27], v[54:55]
	v_mul_f64 v[58:59], v[26:27], v[52:53]
	s_waitcnt vmcnt(2)
	v_mul_f64 v[60:61], v[34:35], v[54:55]
	v_mul_f64 v[62:63], v[34:35], v[52:53]
	v_fmac_f64_e32 v[56:57], v[24:25], v[52:53]
	v_fma_f64 v[58:59], v[24:25], v[54:55], -v[58:59]
	s_waitcnt vmcnt(1)
	v_mul_f64 v[64:65], v[30:31], v[54:55]
	v_mul_f64 v[66:67], v[30:31], v[52:53]
	v_fmac_f64_e32 v[60:61], v[32:33], v[52:53]
	v_fma_f64 v[62:63], v[32:33], v[54:55], -v[62:63]
	ds_write_b128 v164, v[56:59]
	s_waitcnt vmcnt(0)
	v_mul_f64 v[84:85], v[38:39], v[54:55]
	v_mul_f64 v[72:73], v[38:39], v[52:53]
	v_fmac_f64_e32 v[64:65], v[28:29], v[52:53]
	v_fma_f64 v[66:67], v[28:29], v[54:55], -v[66:67]
	ds_read_b128 v[80:83], v163 offset:272
	ds_write_b128 v164, v[60:63] offset:1072
	v_fmac_f64_e32 v[84:85], v[36:37], v[52:53]
	v_fma_f64 v[86:87], v[36:37], v[54:55], -v[72:73]
	ds_read_b128 v[76:79], v163 offset:288
	ds_write_b128 v164, v[64:67] offset:2144
	ds_read_b128 v[72:75], v163 offset:304
	ds_write_b128 v164, v[84:87] offset:3216
	v_add_co_u32_e64 v84, s[8:9], s10, v92
	s_waitcnt lgkmcnt(0)
	s_barrier
	ds_read_b128 v[144:147], v162
	ds_read_b128 v[140:143], v162 offset:16
	ds_read_b128 v[136:139], v162 offset:32
	;; [unrolled: 1-line block ×3, first 2 shown]
	s_waitcnt lgkmcnt(0)
	s_barrier
	global_load_dwordx4 v[52:55], v[88:89], off
	global_load_dwordx4 v[60:63], v[90:91], off
	;; [unrolled: 1-line block ×3, first 2 shown]
	v_addc_co_u32_e64 v85, s[8:9], v93, v167, s[8:9]
	global_load_dwordx4 v[64:67], v[84:85], off
	v_add_co_u32_e64 v152, s[8:9], s16, v84
	v_addc_co_u32_e64 v153, s[8:9], v85, v168, s[8:9]
	ds_read_b128 v[84:87], v159
	ds_read_b128 v[100:103], v163 offset:512
	v_add_co_u32_e64 v186, s[8:9], s10, v152
	v_addc_co_u32_e64 v187, s[8:9], v153, v167, s[8:9]
	v_add_co_u32_e64 v188, s[8:9], s10, v186
	v_addc_co_u32_e64 v189, s[8:9], v187, v167, s[8:9]
	s_waitcnt vmcnt(3) lgkmcnt(1)
	v_mul_f64 v[88:89], v[54:55], v[86:87]
	v_mul_f64 v[90:91], v[54:55], v[84:85]
	s_waitcnt vmcnt(2)
	v_mul_f64 v[92:93], v[62:63], v[86:87]
	v_mul_f64 v[94:95], v[62:63], v[84:85]
	v_fmac_f64_e32 v[88:89], v[52:53], v[84:85]
	v_fma_f64 v[90:91], v[52:53], v[86:87], -v[90:91]
	s_waitcnt vmcnt(1)
	v_mul_f64 v[96:97], v[58:59], v[86:87]
	v_mul_f64 v[98:99], v[58:59], v[84:85]
	v_fmac_f64_e32 v[92:93], v[60:61], v[84:85]
	v_fma_f64 v[94:95], v[60:61], v[86:87], -v[94:95]
	ds_write_b128 v164, v[88:91]
	s_waitcnt vmcnt(0)
	v_mul_f64 v[170:171], v[66:67], v[86:87]
	v_mul_f64 v[108:109], v[66:67], v[84:85]
	v_fmac_f64_e32 v[96:97], v[56:57], v[84:85]
	v_fma_f64 v[98:99], v[56:57], v[86:87], -v[98:99]
	ds_read_b128 v[116:119], v163 offset:528
	ds_write_b128 v164, v[92:95] offset:1072
	v_fmac_f64_e32 v[170:171], v[64:65], v[84:85]
	v_fma_f64 v[172:173], v[64:65], v[86:87], -v[108:109]
	ds_read_b128 v[112:115], v163 offset:544
	ds_write_b128 v164, v[96:99] offset:2144
	ds_read_b128 v[108:111], v163 offset:560
	ds_write_b128 v164, v[170:173] offset:3216
	s_waitcnt lgkmcnt(0)
	s_barrier
	ds_read_b128 v[170:173], v162
	ds_read_b128 v[174:177], v162 offset:16
	ds_read_b128 v[178:181], v162 offset:32
	;; [unrolled: 1-line block ×3, first 2 shown]
	s_waitcnt lgkmcnt(0)
	s_barrier
	global_load_dwordx4 v[88:91], v[152:153], off
	global_load_dwordx4 v[92:95], v[186:187], off
	;; [unrolled: 1-line block ×3, first 2 shown]
	v_add_co_u32_e64 v152, s[8:9], s10, v188
	v_addc_co_u32_e64 v153, s[8:9], v189, v167, s[8:9]
	global_load_dwordx4 v[96:99], v[152:153], off
	v_add_f64 v[186:187], v[120:121], v[104:105]
	v_add_f64 v[188:189], v[122:123], v[106:107]
	;; [unrolled: 1-line block ×10, first 2 shown]
	ds_read_b128 v[120:123], v159
	ds_read_b128 v[104:107], v163 offset:768
	v_add_f64 v[124:125], v[170:171], 0
	v_add_f64 v[126:127], v[172:173], 0
	v_add_f64 v[124:125], v[124:125], v[174:175]
	v_add_f64 v[126:127], v[126:127], v[176:177]
	v_add_f64 v[124:125], v[124:125], v[178:179]
	v_add_f64 v[126:127], v[126:127], v[180:181]
	v_add_f64 v[136:137], v[124:125], v[182:183]
	v_add_f64 v[138:139], v[126:127], v[184:185]
	s_waitcnt vmcnt(3) lgkmcnt(1)
	v_mul_f64 v[124:125], v[90:91], v[122:123]
	v_mul_f64 v[126:127], v[90:91], v[120:121]
	s_waitcnt vmcnt(2)
	v_mul_f64 v[128:129], v[94:95], v[122:123]
	v_mul_f64 v[130:131], v[94:95], v[120:121]
	v_fma_f64 v[126:127], v[88:89], v[122:123], -v[126:127]
	v_fmac_f64_e32 v[124:125], v[88:89], v[120:121]
	s_waitcnt vmcnt(1)
	v_mul_f64 v[140:141], v[86:87], v[122:123]
	v_mul_f64 v[142:143], v[86:87], v[120:121]
	s_waitcnt vmcnt(0)
	v_mul_f64 v[146:147], v[98:99], v[120:121]
	v_mul_f64 v[144:145], v[98:99], v[122:123]
	v_fma_f64 v[130:131], v[92:93], v[122:123], -v[130:131]
	v_fmac_f64_e32 v[128:129], v[92:93], v[120:121]
	ds_write_b128 v164, v[124:127]
	v_fma_f64 v[142:143], v[84:85], v[122:123], -v[142:143]
	v_fma_f64 v[146:147], v[96:97], v[122:123], -v[146:147]
	v_fmac_f64_e32 v[140:141], v[84:85], v[120:121]
	v_fmac_f64_e32 v[144:145], v[96:97], v[120:121]
	ds_read_b128 v[120:123], v163 offset:784
	ds_write_b128 v164, v[128:131] offset:1072
	ds_read_b128 v[124:127], v163 offset:800
	ds_write_b128 v164, v[140:143] offset:2144
	ds_read_b128 v[128:131], v163 offset:816
	ds_write_b128 v164, v[144:147] offset:3216
	s_waitcnt lgkmcnt(0)
	s_barrier
	ds_read_b128 v[140:143], v162
	ds_read_b128 v[144:147], v162 offset:16
	ds_read_b128 v[170:173], v162 offset:32
	;; [unrolled: 1-line block ×3, first 2 shown]
	s_waitcnt lgkmcnt(0)
	s_barrier
	ds_write_b128 v165, v[186:189]
	ds_write_b128 v165, v[132:135] offset:256
	ds_write_b128 v165, v[136:139] offset:512
	v_add_f64 v[132:133], v[140:141], 0
	v_add_f64 v[134:135], v[142:143], 0
	;; [unrolled: 1-line block ×8, first 2 shown]
	ds_write_b128 v165, v[132:135] offset:768
	s_waitcnt lgkmcnt(0)
	s_barrier
	s_and_saveexec_b64 s[12:13], s[4:5]
	s_cbranch_execz .LBB28_128
; %bb.132:                              ;   in Loop: Header=BB28_129 Depth=1
	ds_read_b128 v[132:135], v160
	ds_read_b128 v[136:139], v160 offset:16
	ds_read_b128 v[140:143], v160 offset:32
	;; [unrolled: 1-line block ×3, first 2 shown]
	v_add_u32_e32 v150, s17, v166
	s_waitcnt lgkmcnt(2)
	v_add_f64 v[132:133], v[136:137], v[132:133]
	v_add_f64 v[136:137], v[138:139], v[134:135]
	s_waitcnt lgkmcnt(1)
	v_add_f64 v[138:139], v[132:133], v[140:141]
	ds_read_b128 v[132:135], v160 offset:64
	v_add_f64 v[140:141], v[136:137], v[142:143]
	s_waitcnt lgkmcnt(1)
	v_add_f64 v[142:143], v[138:139], v[144:145]
	ds_read_b128 v[136:139], v160 offset:80
	v_add_f64 v[144:145], v[140:141], v[146:147]
	s_waitcnt lgkmcnt(1)
	v_add_f64 v[132:133], v[142:143], v[132:133]
	ds_read_b128 v[140:143], v160 offset:96
	v_add_f64 v[144:145], v[144:145], v[134:135]
	s_waitcnt lgkmcnt(1)
	v_add_f64 v[136:137], v[132:133], v[136:137]
	ds_read_b128 v[132:135], v160 offset:112
	v_add_f64 v[144:145], v[144:145], v[138:139]
	s_waitcnt lgkmcnt(1)
	v_add_f64 v[140:141], v[136:137], v[140:141]
	ds_read_b128 v[136:139], v160 offset:128
	v_add_f64 v[144:145], v[144:145], v[142:143]
	s_waitcnt lgkmcnt(1)
	v_add_f64 v[132:133], v[140:141], v[132:133]
	ds_read_b128 v[140:143], v160 offset:144
	v_add_f64 v[144:145], v[144:145], v[134:135]
	s_waitcnt lgkmcnt(1)
	v_add_f64 v[136:137], v[132:133], v[136:137]
	ds_read_b128 v[132:135], v160 offset:160
	v_add_f64 v[144:145], v[144:145], v[138:139]
	s_waitcnt lgkmcnt(1)
	v_add_f64 v[140:141], v[136:137], v[140:141]
	ds_read_b128 v[136:139], v160 offset:176
	v_add_f64 v[144:145], v[144:145], v[142:143]
	s_waitcnt lgkmcnt(1)
	v_add_f64 v[132:133], v[140:141], v[132:133]
	ds_read_b128 v[140:143], v160 offset:192
	v_add_f64 v[134:135], v[144:145], v[134:135]
	s_waitcnt lgkmcnt(1)
	v_add_f64 v[136:137], v[132:133], v[136:137]
	v_add_f64 v[144:145], v[134:135], v[138:139]
	ds_read_b128 v[132:135], v160 offset:208
	s_waitcnt lgkmcnt(1)
	v_add_f64 v[146:147], v[136:137], v[140:141]
	ds_read_b128 v[136:139], v160 offset:224
	v_add_f64 v[144:145], v[144:145], v[142:143]
	ds_read_b128 v[140:143], v161
	s_waitcnt lgkmcnt(2)
	v_add_f64 v[132:133], v[146:147], v[132:133]
	v_add_f64 v[134:135], v[144:145], v[134:135]
	s_waitcnt lgkmcnt(1)
	v_add_f64 v[132:133], v[132:133], v[136:137]
	v_lshlrev_b64 v[136:137], 4, v[150:151]
	v_add_f64 v[134:135], v[134:135], v[138:139]
	v_mov_b32_e32 v138, s14
	v_add_co_u32_e64 v136, s[8:9], s7, v136
	s_waitcnt lgkmcnt(0)
	v_add_f64 v[132:133], v[132:133], v[140:141]
	v_add_f64 v[134:135], v[134:135], v[142:143]
	v_addc_co_u32_e64 v137, s[8:9], v138, v137, s[8:9]
	global_store_dwordx4 v[136:137], v[132:135], off
	s_branch .LBB28_128
.LBB28_133:
	s_movk_i32 s2, 0x430
	s_or_b64 s[0:1], s[0:1], vcc
	v_mad_u32_u24 v4, v154, s2, v155
	s_xor_b64 s[0:1], s[0:1], -1
	ds_write_b128 v4, v[0:3]
	s_waitcnt lgkmcnt(0)
	s_barrier
	s_and_saveexec_b64 s[2:3], s[0:1]
	s_cbranch_execz .LBB28_135
; %bb.134:
	ds_read_b128 v[0:3], v155 offset:1072
	ds_read_b128 v[4:7], v155
	ds_read_b128 v[8:11], v155 offset:2144
	ds_read_b128 v[12:15], v155 offset:3216
	s_waitcnt lgkmcnt(2)
	v_add_f64 v[0:1], v[0:1], v[4:5]
	v_add_f64 v[2:3], v[2:3], v[6:7]
	v_lshlrev_b64 v[4:5], 4, v[148:149]
	s_waitcnt lgkmcnt(1)
	v_add_f64 v[0:1], v[0:1], v[8:9]
	v_add_f64 v[2:3], v[2:3], v[10:11]
	v_mov_b32_e32 v6, s14
	v_add_co_u32_e32 v4, vcc, s7, v4
	s_waitcnt lgkmcnt(0)
	v_add_f64 v[0:1], v[0:1], v[12:13]
	v_add_f64 v[2:3], v[2:3], v[14:15]
	v_addc_co_u32_e32 v5, vcc, v6, v5, vcc
	global_store_dwordx4 v[4:5], v[0:3], off
.LBB28_135:
	s_endpgm
	.section	.rodata,"a",@progbits
	.p2align	6, 0x0
	.amdhsa_kernel _ZL26rocblas_hemvn_kernel_lowerILb1ELi64ELi4ELi33ELi32ELi16El19rocblas_complex_numIdEPKS1_PS1_EviT6_lT7_lT5_lS6_lS7_lS5_lT8_i
		.amdhsa_group_segment_fixed_size 19200
		.amdhsa_private_segment_fixed_size 0
		.amdhsa_kernarg_size 392
		.amdhsa_user_sgpr_count 6
		.amdhsa_user_sgpr_private_segment_buffer 1
		.amdhsa_user_sgpr_dispatch_ptr 0
		.amdhsa_user_sgpr_queue_ptr 0
		.amdhsa_user_sgpr_kernarg_segment_ptr 1
		.amdhsa_user_sgpr_dispatch_id 0
		.amdhsa_user_sgpr_flat_scratch_init 0
		.amdhsa_user_sgpr_kernarg_preload_length 0
		.amdhsa_user_sgpr_kernarg_preload_offset 0
		.amdhsa_user_sgpr_private_segment_size 0
		.amdhsa_uses_dynamic_stack 0
		.amdhsa_system_sgpr_private_segment_wavefront_offset 0
		.amdhsa_system_sgpr_workgroup_id_x 1
		.amdhsa_system_sgpr_workgroup_id_y 0
		.amdhsa_system_sgpr_workgroup_id_z 1
		.amdhsa_system_sgpr_workgroup_info 0
		.amdhsa_system_vgpr_workitem_id 1
		.amdhsa_next_free_vgpr 190
		.amdhsa_next_free_sgpr 53
		.amdhsa_accum_offset 192
		.amdhsa_reserve_vcc 1
		.amdhsa_reserve_flat_scratch 0
		.amdhsa_float_round_mode_32 0
		.amdhsa_float_round_mode_16_64 0
		.amdhsa_float_denorm_mode_32 3
		.amdhsa_float_denorm_mode_16_64 3
		.amdhsa_dx10_clamp 1
		.amdhsa_ieee_mode 1
		.amdhsa_fp16_overflow 0
		.amdhsa_tg_split 0
		.amdhsa_exception_fp_ieee_invalid_op 0
		.amdhsa_exception_fp_denorm_src 0
		.amdhsa_exception_fp_ieee_div_zero 0
		.amdhsa_exception_fp_ieee_overflow 0
		.amdhsa_exception_fp_ieee_underflow 0
		.amdhsa_exception_fp_ieee_inexact 0
		.amdhsa_exception_int_div_zero 0
	.end_amdhsa_kernel
	.section	.text._ZL26rocblas_hemvn_kernel_lowerILb1ELi64ELi4ELi33ELi32ELi16El19rocblas_complex_numIdEPKS1_PS1_EviT6_lT7_lT5_lS6_lS7_lS5_lT8_i,"axG",@progbits,_ZL26rocblas_hemvn_kernel_lowerILb1ELi64ELi4ELi33ELi32ELi16El19rocblas_complex_numIdEPKS1_PS1_EviT6_lT7_lT5_lS6_lS7_lS5_lT8_i,comdat
.Lfunc_end28:
	.size	_ZL26rocblas_hemvn_kernel_lowerILb1ELi64ELi4ELi33ELi32ELi16El19rocblas_complex_numIdEPKS1_PS1_EviT6_lT7_lT5_lS6_lS7_lS5_lT8_i, .Lfunc_end28-_ZL26rocblas_hemvn_kernel_lowerILb1ELi64ELi4ELi33ELi32ELi16El19rocblas_complex_numIdEPKS1_PS1_EviT6_lT7_lT5_lS6_lS7_lS5_lT8_i
                                        ; -- End function
	.section	.AMDGPU.csdata,"",@progbits
; Kernel info:
; codeLenInByte = 9696
; NumSgprs: 57
; NumVgprs: 190
; NumAgprs: 0
; TotalNumVgprs: 190
; ScratchSize: 0
; MemoryBound: 0
; FloatMode: 240
; IeeeMode: 1
; LDSByteSize: 19200 bytes/workgroup (compile time only)
; SGPRBlocks: 7
; VGPRBlocks: 23
; NumSGPRsForWavesPerEU: 57
; NumVGPRsForWavesPerEU: 190
; AccumOffset: 192
; Occupancy: 2
; WaveLimiterHint : 0
; COMPUTE_PGM_RSRC2:SCRATCH_EN: 0
; COMPUTE_PGM_RSRC2:USER_SGPR: 6
; COMPUTE_PGM_RSRC2:TRAP_HANDLER: 0
; COMPUTE_PGM_RSRC2:TGID_X_EN: 1
; COMPUTE_PGM_RSRC2:TGID_Y_EN: 0
; COMPUTE_PGM_RSRC2:TGID_Z_EN: 1
; COMPUTE_PGM_RSRC2:TIDIG_COMP_CNT: 1
; COMPUTE_PGM_RSRC3_GFX90A:ACCUM_OFFSET: 47
; COMPUTE_PGM_RSRC3_GFX90A:TG_SPLIT: 0
	.section	.text._ZL36rocblas_hemvn_kernel_lower_block_sumILi64El19rocblas_complex_numIdEPS1_S1_EviT1_lS3_lT2_lT0_lPT3_i,"axG",@progbits,_ZL36rocblas_hemvn_kernel_lower_block_sumILi64El19rocblas_complex_numIdEPS1_S1_EviT1_lS3_lT2_lT0_lPT3_i,comdat
	.globl	_ZL36rocblas_hemvn_kernel_lower_block_sumILi64El19rocblas_complex_numIdEPS1_S1_EviT1_lS3_lT2_lT0_lPT3_i ; -- Begin function _ZL36rocblas_hemvn_kernel_lower_block_sumILi64El19rocblas_complex_numIdEPS1_S1_EviT1_lS3_lT2_lT0_lPT3_i
	.p2align	8
	.type	_ZL36rocblas_hemvn_kernel_lower_block_sumILi64El19rocblas_complex_numIdEPS1_S1_EviT1_lS3_lT2_lT0_lPT3_i,@function
_ZL36rocblas_hemvn_kernel_lower_block_sumILi64El19rocblas_complex_numIdEPS1_S1_EviT1_lS3_lT2_lT0_lPT3_i: ; @_ZL36rocblas_hemvn_kernel_lower_block_sumILi64El19rocblas_complex_numIdEPS1_S1_EviT1_lS3_lT2_lT0_lPT3_i
; %bb.0:
	s_load_dwordx4 s[12:15], s[4:5], 0x8
	s_load_dwordx4 s[8:11], s[4:5], 0x20
	s_waitcnt lgkmcnt(0)
	v_cmp_neq_f64_e64 s[0:1], s[12:13], 0
	v_cmp_neq_f64_e64 s[2:3], s[14:15], 0
	s_or_b64 s[16:17], s[0:1], s[2:3]
	s_mov_b64 s[0:1], -1
	s_and_b64 vcc, exec, s[16:17]
	s_cbranch_vccnz .LBB29_2
; %bb.1:
	v_cmp_neq_f64_e64 s[0:1], s[8:9], 1.0
	v_cmp_neq_f64_e64 s[2:3], s[10:11], 0
	s_or_b64 s[0:1], s[0:1], s[2:3]
.LBB29_2:
	s_andn2_b64 vcc, exec, s[0:1]
	s_cbranch_vccnz .LBB29_22
; %bb.3:
	s_load_dwordx2 s[20:21], s[4:5], 0x50
	s_load_dwordx2 s[22:23], s[4:5], 0x38
	s_load_dword s18, s[4:5], 0x0
	s_load_dwordx4 s[0:3], s[4:5], 0x40
	s_xor_b64 s[16:17], s[16:17], -1
	s_waitcnt lgkmcnt(0)
	s_mul_i32 s19, s7, s21
	s_mul_hi_u32 s21, s7, s20
	s_add_i32 s21, s21, s19
	s_mul_i32 s20, s7, s20
	s_lshl_b64 s[20:21], s[20:21], 4
	s_add_u32 s19, s22, s20
	s_addc_u32 s20, s23, s21
	s_lshl_b64 s[0:1], s[0:1], 4
	s_add_u32 s24, s19, s0
	v_lshl_or_b32 v6, s6, 6, v0
	s_addc_u32 s25, s20, s1
	s_andn2_b64 vcc, exec, s[16:17]
	v_cmp_gt_i32_e64 s[0:1], s18, v6
	s_cbranch_vccnz .LBB29_8
; %bb.4:
	s_mov_b64 s[20:21], 0
	s_mov_b64 s[16:17], 0
                                        ; implicit-def: $vgpr2_vgpr3
                                        ; implicit-def: $vgpr4_vgpr5
	s_and_saveexec_b64 s[22:23], s[0:1]
	s_cbranch_execz .LBB29_9
; %bb.5:
	v_cmp_neq_f64_e64 s[0:1], s[8:9], 0
	v_cmp_neq_f64_e64 s[16:17], s[10:11], 0
	v_ashrrev_i32_e32 v0, 31, v6
	v_pk_mov_b32 v[2:3], 0, 0
	v_mul_lo_u32 v1, v6, s3
	v_mul_lo_u32 v0, v0, s2
	v_mad_u64_u32 v[4:5], s[26:27], v6, s2, 0
	s_or_b64 s[0:1], s[0:1], s[16:17]
	v_add3_u32 v5, v5, v1, v0
	s_andn2_b64 vcc, exec, s[0:1]
	v_pk_mov_b32 v[0:1], v[2:3], v[2:3] op_sel:[0,1]
	s_cbranch_vccnz .LBB29_7
; %bb.6:
	v_lshlrev_b64 v[0:1], 4, v[4:5]
	v_mov_b32_e32 v2, s25
	v_add_co_u32_e32 v0, vcc, s24, v0
	v_addc_co_u32_e32 v1, vcc, v2, v1, vcc
	global_load_dwordx4 v[8:11], v[0:1], off
	s_waitcnt vmcnt(0)
	v_mul_f64 v[0:1], s[10:11], v[10:11]
	v_mul_f64 v[2:3], s[8:9], v[10:11]
	v_fma_f64 v[0:1], s[8:9], v[8:9], -v[0:1]
	v_fmac_f64_e32 v[2:3], s[10:11], v[8:9]
.LBB29_7:
	s_mov_b64 s[16:17], exec
	s_or_b64 exec, exec, s[22:23]
	s_and_b64 vcc, exec, s[20:21]
	s_cbranch_vccnz .LBB29_10
	s_branch .LBB29_20
.LBB29_8:
	s_mov_b64 s[16:17], 0
                                        ; implicit-def: $vgpr2_vgpr3
                                        ; implicit-def: $vgpr4_vgpr5
	s_cbranch_execnz .LBB29_10
	s_branch .LBB29_20
.LBB29_9:
	s_or_b64 exec, exec, s[22:23]
	s_and_b64 vcc, exec, s[20:21]
	s_cbranch_vccz .LBB29_20
.LBB29_10:
	v_cmp_gt_i32_e32 vcc, s18, v6
                                        ; implicit-def: $vgpr2_vgpr3
                                        ; implicit-def: $vgpr4_vgpr5
	s_and_saveexec_b64 s[0:1], vcc
	s_cbranch_execz .LBB29_19
; %bb.11:
	s_load_dword s20, s[4:5], 0x68
	v_pk_mov_b32 v[0:1], 0, 0
	v_pk_mov_b32 v[4:5], v[0:1], v[0:1] op_sel:[0,1]
	s_waitcnt lgkmcnt(0)
	s_cmp_ge_i32 s6, s20
	s_cbranch_scc1 .LBB29_14
; %bb.12:
	s_ashr_i32 s19, s18, 31
	s_mul_i32 s21, s6, s18
	s_load_dwordx2 s[4:5], s[4:5], 0x58
	v_add_u32_e32 v0, s21, v6
	s_mul_hi_u32 s21, s18, s7
	s_mul_i32 s22, s19, s7
	s_add_i32 s21, s21, s22
	s_mul_i32 s7, s18, s7
	s_mul_i32 s21, s21, s20
	s_mul_hi_u32 s22, s7, s20
	s_add_i32 s23, s22, s21
	s_mul_i32 s22, s7, s20
	s_lshl_b64 s[22:23], s[22:23], 4
	v_ashrrev_i32_e32 v1, 31, v0
	s_waitcnt lgkmcnt(0)
	s_add_u32 s4, s4, s22
	v_lshlrev_b64 v[0:1], 4, v[0:1]
	s_addc_u32 s5, s5, s23
	v_mov_b32_e32 v2, s5
	v_add_co_u32_e32 v0, vcc, s4, v0
	v_addc_co_u32_e32 v1, vcc, v2, v1, vcc
	v_add_co_u32_e32 v2, vcc, 8, v0
	v_addc_co_u32_e32 v3, vcc, 0, v1, vcc
	s_lshl_b64 s[4:5], s[18:19], 4
	v_pk_mov_b32 v[0:1], 0, 0
	v_mov_b32_e32 v7, s5
	v_pk_mov_b32 v[4:5], v[0:1], v[0:1] op_sel:[0,1]
.LBB29_13:                              ; =>This Inner Loop Header: Depth=1
	global_load_dwordx4 v[8:11], v[2:3], off offset:-8
	s_add_i32 s6, s6, 1
	v_add_co_u32_e32 v2, vcc, s4, v2
	v_addc_co_u32_e32 v3, vcc, v3, v7, vcc
	s_cmp_ge_i32 s6, s20
	s_waitcnt vmcnt(0)
	v_add_f64 v[4:5], v[4:5], v[8:9]
	v_add_f64 v[0:1], v[0:1], v[10:11]
	s_cbranch_scc0 .LBB29_13
.LBB29_14:
	v_cmp_neq_f64_e64 s[6:7], s[8:9], 0
	v_cmp_neq_f64_e64 s[18:19], s[10:11], 0
	s_or_b64 s[6:7], s[6:7], s[18:19]
	v_mul_f64 v[8:9], s[14:15], v[0:1]
	v_mul_f64 v[2:3], s[12:13], v[0:1]
	v_ashrrev_i32_e32 v10, 31, v6
	s_mov_b64 s[4:5], 0
	s_andn2_b64 vcc, exec, s[6:7]
	v_fma_f64 v[0:1], s[12:13], v[4:5], -v[8:9]
	v_fmac_f64_e32 v[2:3], s[14:15], v[4:5]
	v_mul_lo_u32 v7, v6, s3
	v_mul_lo_u32 v8, v10, s2
	s_cbranch_vccz .LBB29_16
; %bb.15:
	v_mad_u64_u32 v[4:5], s[6:7], v6, s2, 0
	v_add3_u32 v5, v5, v7, v8
	s_andn2_b64 vcc, exec, s[4:5]
	s_cbranch_vccz .LBB29_17
	s_branch .LBB29_18
.LBB29_16:
                                        ; implicit-def: $vgpr4_vgpr5
.LBB29_17:
	v_mad_u64_u32 v[4:5], s[2:3], v6, s2, 0
	v_add3_u32 v5, v5, v7, v8
	v_lshlrev_b64 v[6:7], 4, v[4:5]
	v_mov_b32_e32 v8, s25
	v_add_co_u32_e32 v6, vcc, s24, v6
	v_addc_co_u32_e32 v7, vcc, v8, v7, vcc
	global_load_dwordx4 v[6:9], v[6:7], off
	s_waitcnt vmcnt(0)
	v_mul_f64 v[10:11], s[10:11], v[8:9]
	v_mul_f64 v[8:9], s[8:9], v[8:9]
	v_fma_f64 v[10:11], s[8:9], v[6:7], -v[10:11]
	v_fmac_f64_e32 v[8:9], s[10:11], v[6:7]
	v_add_f64 v[0:1], v[0:1], v[10:11]
	v_add_f64 v[2:3], v[2:3], v[8:9]
.LBB29_18:
	s_or_b64 s[16:17], s[16:17], exec
.LBB29_19:
	s_or_b64 exec, exec, s[0:1]
.LBB29_20:
	s_and_saveexec_b64 s[0:1], s[16:17]
	s_cbranch_execz .LBB29_22
; %bb.21:
	v_lshlrev_b64 v[4:5], 4, v[4:5]
	v_mov_b32_e32 v6, s25
	v_add_co_u32_e32 v4, vcc, s24, v4
	v_addc_co_u32_e32 v5, vcc, v6, v5, vcc
	global_store_dwordx4 v[4:5], v[0:3], off
.LBB29_22:
	s_endpgm
	.section	.rodata,"a",@progbits
	.p2align	6, 0x0
	.amdhsa_kernel _ZL36rocblas_hemvn_kernel_lower_block_sumILi64El19rocblas_complex_numIdEPS1_S1_EviT1_lS3_lT2_lT0_lPT3_i
		.amdhsa_group_segment_fixed_size 0
		.amdhsa_private_segment_fixed_size 0
		.amdhsa_kernarg_size 360
		.amdhsa_user_sgpr_count 6
		.amdhsa_user_sgpr_private_segment_buffer 1
		.amdhsa_user_sgpr_dispatch_ptr 0
		.amdhsa_user_sgpr_queue_ptr 0
		.amdhsa_user_sgpr_kernarg_segment_ptr 1
		.amdhsa_user_sgpr_dispatch_id 0
		.amdhsa_user_sgpr_flat_scratch_init 0
		.amdhsa_user_sgpr_kernarg_preload_length 0
		.amdhsa_user_sgpr_kernarg_preload_offset 0
		.amdhsa_user_sgpr_private_segment_size 0
		.amdhsa_uses_dynamic_stack 0
		.amdhsa_system_sgpr_private_segment_wavefront_offset 0
		.amdhsa_system_sgpr_workgroup_id_x 1
		.amdhsa_system_sgpr_workgroup_id_y 0
		.amdhsa_system_sgpr_workgroup_id_z 1
		.amdhsa_system_sgpr_workgroup_info 0
		.amdhsa_system_vgpr_workitem_id 0
		.amdhsa_next_free_vgpr 12
		.amdhsa_next_free_sgpr 28
		.amdhsa_accum_offset 12
		.amdhsa_reserve_vcc 1
		.amdhsa_reserve_flat_scratch 0
		.amdhsa_float_round_mode_32 0
		.amdhsa_float_round_mode_16_64 0
		.amdhsa_float_denorm_mode_32 3
		.amdhsa_float_denorm_mode_16_64 3
		.amdhsa_dx10_clamp 1
		.amdhsa_ieee_mode 1
		.amdhsa_fp16_overflow 0
		.amdhsa_tg_split 0
		.amdhsa_exception_fp_ieee_invalid_op 0
		.amdhsa_exception_fp_denorm_src 0
		.amdhsa_exception_fp_ieee_div_zero 0
		.amdhsa_exception_fp_ieee_overflow 0
		.amdhsa_exception_fp_ieee_underflow 0
		.amdhsa_exception_fp_ieee_inexact 0
		.amdhsa_exception_int_div_zero 0
	.end_amdhsa_kernel
	.section	.text._ZL36rocblas_hemvn_kernel_lower_block_sumILi64El19rocblas_complex_numIdEPS1_S1_EviT1_lS3_lT2_lT0_lPT3_i,"axG",@progbits,_ZL36rocblas_hemvn_kernel_lower_block_sumILi64El19rocblas_complex_numIdEPS1_S1_EviT1_lS3_lT2_lT0_lPT3_i,comdat
.Lfunc_end29:
	.size	_ZL36rocblas_hemvn_kernel_lower_block_sumILi64El19rocblas_complex_numIdEPS1_S1_EviT1_lS3_lT2_lT0_lPT3_i, .Lfunc_end29-_ZL36rocblas_hemvn_kernel_lower_block_sumILi64El19rocblas_complex_numIdEPS1_S1_EviT1_lS3_lT2_lT0_lPT3_i
                                        ; -- End function
	.section	.AMDGPU.csdata,"",@progbits
; Kernel info:
; codeLenInByte = 852
; NumSgprs: 32
; NumVgprs: 12
; NumAgprs: 0
; TotalNumVgprs: 12
; ScratchSize: 0
; MemoryBound: 0
; FloatMode: 240
; IeeeMode: 1
; LDSByteSize: 0 bytes/workgroup (compile time only)
; SGPRBlocks: 3
; VGPRBlocks: 1
; NumSGPRsForWavesPerEU: 32
; NumVGPRsForWavesPerEU: 12
; AccumOffset: 12
; Occupancy: 8
; WaveLimiterHint : 0
; COMPUTE_PGM_RSRC2:SCRATCH_EN: 0
; COMPUTE_PGM_RSRC2:USER_SGPR: 6
; COMPUTE_PGM_RSRC2:TRAP_HANDLER: 0
; COMPUTE_PGM_RSRC2:TGID_X_EN: 1
; COMPUTE_PGM_RSRC2:TGID_Y_EN: 0
; COMPUTE_PGM_RSRC2:TGID_Z_EN: 1
; COMPUTE_PGM_RSRC2:TIDIG_COMP_CNT: 0
; COMPUTE_PGM_RSRC3_GFX90A:ACCUM_OFFSET: 2
; COMPUTE_PGM_RSRC3_GFX90A:TG_SPLIT: 0
	.section	.text._ZL26rocblas_hemvn_kernel_lowerILb1ELi64ELi4ELi33ELi32ELi16Ei19rocblas_complex_numIdEPKS1_PS1_EviT6_lT7_lT5_lS6_lS7_lS5_lT8_i,"axG",@progbits,_ZL26rocblas_hemvn_kernel_lowerILb1ELi64ELi4ELi33ELi32ELi16Ei19rocblas_complex_numIdEPKS1_PS1_EviT6_lT7_lT5_lS6_lS7_lS5_lT8_i,comdat
	.globl	_ZL26rocblas_hemvn_kernel_lowerILb1ELi64ELi4ELi33ELi32ELi16Ei19rocblas_complex_numIdEPKS1_PS1_EviT6_lT7_lT5_lS6_lS7_lS5_lT8_i ; -- Begin function _ZL26rocblas_hemvn_kernel_lowerILb1ELi64ELi4ELi33ELi32ELi16Ei19rocblas_complex_numIdEPKS1_PS1_EviT6_lT7_lT5_lS6_lS7_lS5_lT8_i
	.p2align	8
	.type	_ZL26rocblas_hemvn_kernel_lowerILb1ELi64ELi4ELi33ELi32ELi16Ei19rocblas_complex_numIdEPKS1_PS1_EviT6_lT7_lT5_lS6_lS7_lS5_lT8_i,@function
_ZL26rocblas_hemvn_kernel_lowerILb1ELi64ELi4ELi33ELi32ELi16Ei19rocblas_complex_numIdEPKS1_PS1_EviT6_lT7_lT5_lS6_lS7_lS5_lT8_i: ; @_ZL26rocblas_hemvn_kernel_lowerILb1ELi64ELi4ELi33ELi32ELi16Ei19rocblas_complex_numIdEPKS1_PS1_EviT6_lT7_lT5_lS6_lS7_lS5_lT8_i
; %bb.0:
	s_load_dwordx2 s[0:1], s[4:5], 0x94
	s_add_u32 s12, s4, 0x88
	s_addc_u32 s13, s5, 0
	s_waitcnt lgkmcnt(0)
	s_lshr_b32 s2, s0, 16
	s_and_b32 s0, s0, 0xffff
	s_and_b32 s1, s1, 0xffff
	s_mul_i32 s0, s2, s0
	s_mul_i32 s0, s0, s1
	s_cmpk_lg_i32 s0, 0x100
	s_cbranch_scc1 .LBB30_135
; %bb.1:
	s_load_dwordx4 s[16:19], s[4:5], 0x8
	s_load_dwordx4 s[0:3], s[4:5], 0x58
	s_load_dwordx2 s[10:11], s[4:5], 0x68
	s_waitcnt lgkmcnt(0)
	v_cmp_neq_f64_e64 s[8:9], s[16:17], 0
	v_cmp_neq_f64_e64 s[14:15], s[18:19], 0
	s_or_b64 s[8:9], s[8:9], s[14:15]
	s_mov_b64 s[14:15], -1
	s_and_b64 vcc, exec, s[8:9]
	s_cbranch_vccnz .LBB30_3
; %bb.2:
	v_cmp_neq_f64_e64 s[2:3], s[2:3], 1.0
	v_cmp_neq_f64_e64 s[10:11], s[10:11], 0
	s_or_b64 s[14:15], s[2:3], s[10:11]
.LBB30_3:
	s_andn2_b64 vcc, exec, s[14:15]
	s_cbranch_vccnz .LBB30_135
; %bb.4:
	s_andn2_b64 vcc, exec, s[8:9]
	s_cbranch_vccnz .LBB30_135
; %bb.5:
	s_load_dword s41, s[12:13], 0x0
	s_load_dword s40, s[4:5], 0x0
	s_load_dwordx4 s[8:11], s[4:5], 0x38
	s_load_dwordx2 s[2:3], s[4:5], 0x48
	s_load_dword s33, s[4:5], 0x50
	s_mul_i32 s1, s7, s1
	s_mul_hi_u32 s12, s7, s0
	s_add_i32 s1, s12, s1
	s_mul_i32 s0, s7, s0
	s_lshl_b64 s[0:1], s[0:1], 4
	s_waitcnt lgkmcnt(0)
	s_add_u32 s10, s10, s0
	s_addc_u32 s11, s11, s1
	s_lshl_b64 s[0:1], s[2:3], 4
	s_add_u32 s0, s10, s0
	s_addc_u32 s1, s11, s1
	v_and_b32_e32 v42, 0x3ff, v0
	s_lshl_b32 s24, s6, 6
	s_ashr_i32 s42, s40, 31
	s_lshr_b32 s3, s42, 26
	v_add_u32_e32 v148, s24, v42
	v_bfe_u32 v149, v0, 10, 10
	s_add_i32 s3, s40, s3
	v_mul_lo_u32 v0, v148, s33
	s_andn2_b32 s3, s3, 63
	v_ashrrev_i32_e32 v1, 31, v0
	s_add_i32 s2, s41, -1
	s_sub_i32 s3, s40, s3
	v_lshlrev_b64 v[0:1], 4, v[0:1]
	s_cmp_eq_u32 s6, s2
	v_mov_b32_e32 v2, s1
	v_add_co_u32_e32 v36, vcc, s0, v0
	s_cselect_b32 s22, s3, 0
	v_addc_co_u32_e32 v37, vcc, v2, v1, vcc
	v_cmp_ne_u32_e64 s[0:1], 0, v149
	v_cmp_eq_u32_e64 s[2:3], 0, v149
	s_and_saveexec_b64 s[10:11], s[2:3]
	s_cbranch_execz .LBB30_10
; %bb.6:
	s_cmp_lg_u32 s22, 0
	s_cselect_b64 s[12:13], -1, 0
	v_cmp_le_i32_e32 vcc, s22, v42
	v_mov_b32_e32 v0, 0x4700
	s_and_b64 s[12:13], s[12:13], vcc
	v_lshl_add_u32 v0, v42, 4, v0
	s_and_saveexec_b64 s[14:15], s[12:13]
	s_xor_b64 s[12:13], exec, s[14:15]
	s_cbranch_execz .LBB30_8
; %bb.7:
	v_mov_b32_e32 v2, 0
	v_mov_b32_e32 v3, v2
	;; [unrolled: 1-line block ×4, first 2 shown]
	ds_write_b128 v0, v[2:5]
                                        ; implicit-def: $vgpr0
.LBB30_8:
	s_andn2_saveexec_b64 s[12:13], s[12:13]
	s_cbranch_execz .LBB30_10
; %bb.9:
	global_load_dwordx4 v[2:5], v[36:37], off
	s_waitcnt vmcnt(0)
	ds_write2_b64 v0, v[2:3], v[4:5] offset1:1
.LBB30_10:
	s_or_b64 exec, exec, s[10:11]
	s_load_dwordx4 s[12:15], s[4:5], 0x20
	s_load_dword s26, s[4:5], 0x30
	s_mul_i32 s9, s7, s9
	s_mul_hi_u32 s10, s7, s8
	s_add_i32 s9, s10, s9
	s_mul_i32 s8, s7, s8
	s_lshl_b64 s[8:9], s[8:9], 4
	s_waitcnt lgkmcnt(0)
	s_add_u32 s10, s12, s8
	s_addc_u32 s11, s13, s9
	s_lshl_b64 s[8:9], s[14:15], 4
	s_add_u32 s10, s10, s8
	s_addc_u32 s11, s11, s9
	s_ashr_i32 s25, s24, 31
	v_lshl_add_u32 v43, v149, 6, v42
	s_lshl_b64 s[8:9], s[24:25], 4
	v_and_b32_e32 v4, 31, v42
	v_lshrrev_b32_e32 v5, 5, v43
	s_add_u32 s10, s10, s8
	s_addc_u32 s11, s11, s9
	v_mad_u64_u32 v[0:1], s[8:9], v5, s26, v[4:5]
	s_mul_i32 s8, s24, s26
	s_ashr_i32 s9, s8, 31
	s_lshl_b64 s[28:29], s[8:9], 4
	v_ashrrev_i32_e32 v1, 31, v0
	s_add_u32 s8, s28, s10
	v_lshlrev_b64 v[38:39], 4, v[0:1]
	s_addc_u32 s9, s29, s11
	v_mov_b32_e32 v0, s9
	v_add_co_u32_e32 v6, vcc, s8, v38
	s_cmp_lg_u32 s22, 0
	v_addc_co_u32_e32 v7, vcc, v0, v39, vcc
	s_cselect_b64 s[30:31], -1, 0
	s_cmp_eq_u32 s22, 0
	s_cselect_b64 s[34:35], -1, 0
	s_and_b64 vcc, exec, s[30:31]
	s_cbranch_vccnz .LBB30_12
; %bb.11:
	s_lshl_b32 s8, s26, 3
	s_ashr_i32 s9, s8, 31
	s_lshl_b64 s[8:9], s[8:9], 4
	v_mov_b32_e32 v8, s9
	v_add_co_u32_e32 v12, vcc, s8, v6
	s_ashr_i32 s27, s26, 31
	v_addc_co_u32_e32 v13, vcc, v7, v8, vcc
	s_lshl_b64 s[8:9], s[26:27], 7
	v_mov_b32_e32 v18, s9
	v_add_co_u32_e32 v16, vcc, s8, v12
	global_load_dwordx4 v[0:3], v[6:7], off
	global_load_dwordx4 v[8:11], v[12:13], off
	v_addc_co_u32_e32 v17, vcc, v13, v18, vcc
	global_load_dwordx4 v[12:15], v[16:17], off
	v_add_co_u32_e32 v16, vcc, s8, v16
	v_addc_co_u32_e32 v17, vcc, v17, v18, vcc
	global_load_dwordx4 v[16:19], v[16:17], off
	v_mul_u32_u24_e32 v20, 33, v5
	v_add_lshl_u32 v20, v20, v4, 4
	v_add_u32_e32 v21, 0x1080, v20
	v_add_u32_e32 v22, 0x2100, v20
	;; [unrolled: 1-line block ×3, first 2 shown]
	s_waitcnt vmcnt(3)
	ds_write2_b64 v20, v[0:1], v[2:3] offset1:1
	s_waitcnt vmcnt(2)
	ds_write2_b64 v21, v[8:9], v[10:11] offset1:1
	;; [unrolled: 2-line block ×4, first 2 shown]
	s_cbranch_execz .LBB30_13
	s_branch .LBB30_30
.LBB30_12:
.LBB30_13:
	v_lshlrev_b32_e32 v2, 4, v4
	v_sub_co_u32_e32 v0, vcc, v6, v2
	s_ashr_i32 s23, s22, 31
	v_subbrev_co_u32_e32 v1, vcc, 0, v7, vcc
	s_lshl_b64 s[10:11], s[22:23], 4
	v_mov_b32_e32 v3, s11
	v_add_co_u32_e32 v0, vcc, s10, v0
	v_addc_co_u32_e32 v1, vcc, v1, v3, vcc
	v_add_co_u32_e32 v0, vcc, -16, v0
	v_addc_co_u32_e32 v1, vcc, -1, v1, vcc
	v_cmp_gt_i32_e32 vcc, s22, v4
	v_mul_u32_u24_e32 v3, 33, v5
	v_cndmask_b32_e32 v1, v1, v7, vcc
	v_cndmask_b32_e32 v0, v0, v6, vcc
	v_cmp_le_i32_e64 s[8:9], s22, v5
	v_add_lshl_u32 v3, v3, v4, 4
	s_and_saveexec_b64 s[12:13], s[8:9]
	s_xor_b64 s[8:9], exec, s[12:13]
	s_cbranch_execz .LBB30_15
; %bb.14:
	v_mov_b32_e32 v8, 0
	v_mov_b32_e32 v9, v8
	;; [unrolled: 1-line block ×4, first 2 shown]
	ds_write_b128 v3, v[8:11]
.LBB30_15:
	s_andn2_saveexec_b64 s[8:9], s[8:9]
	s_cbranch_execz .LBB30_17
; %bb.16:
	global_load_dwordx4 v[8:11], v[0:1], off
	s_waitcnt vmcnt(0)
	ds_write2_b64 v3, v[8:9], v[10:11] offset1:1
.LBB30_17:
	s_or_b64 exec, exec, s[8:9]
	v_add_u32_e32 v8, 8, v5
	v_cmp_le_i32_e64 s[8:9], s22, v8
	s_and_saveexec_b64 s[12:13], s[8:9]
	s_xor_b64 s[8:9], exec, s[12:13]
	s_cbranch_execz .LBB30_19
; %bb.18:
	v_mul_u32_u24_e32 v8, 33, v8
	v_add_lshl_u32 v12, v8, v4, 4
	v_mov_b32_e32 v8, 0
	v_mov_b32_e32 v9, v8
	;; [unrolled: 1-line block ×4, first 2 shown]
	ds_write_b128 v12, v[8:11]
.LBB30_19:
	s_andn2_saveexec_b64 s[12:13], s[8:9]
	s_cbranch_execz .LBB30_21
; %bb.20:
	s_lshl_b32 s8, s26, 3
	s_ashr_i32 s9, s8, 31
	s_lshl_b64 s[8:9], s[8:9], 4
	v_mov_b32_e32 v9, s9
	v_add_co_u32_e64 v8, s[8:9], s8, v0
	v_addc_co_u32_e64 v9, s[8:9], v1, v9, s[8:9]
	global_load_dwordx4 v[8:11], v[8:9], off
	v_add_u32_e32 v12, 0x1080, v3
	s_waitcnt vmcnt(0)
	ds_write2_b64 v12, v[8:9], v[10:11] offset1:1
.LBB30_21:
	s_or_b64 exec, exec, s[12:13]
	v_add_u32_e32 v8, 16, v5
	v_cmp_le_i32_e64 s[8:9], s22, v8
	s_and_saveexec_b64 s[12:13], s[8:9]
	s_xor_b64 s[8:9], exec, s[12:13]
	s_cbranch_execz .LBB30_23
; %bb.22:
	v_mul_u32_u24_e32 v8, 33, v8
	v_add_lshl_u32 v12, v8, v4, 4
	v_mov_b32_e32 v8, 0
	v_mov_b32_e32 v9, v8
	;; [unrolled: 1-line block ×4, first 2 shown]
	ds_write_b128 v12, v[8:11]
.LBB30_23:
	s_andn2_saveexec_b64 s[12:13], s[8:9]
	s_cbranch_execz .LBB30_25
; %bb.24:
	s_lshl_b32 s8, s26, 4
	s_ashr_i32 s9, s8, 31
	s_lshl_b64 s[8:9], s[8:9], 4
	v_mov_b32_e32 v9, s9
	v_add_co_u32_e64 v8, s[8:9], s8, v0
	v_addc_co_u32_e64 v9, s[8:9], v1, v9, s[8:9]
	global_load_dwordx4 v[8:11], v[8:9], off
	v_add_u32_e32 v12, 0x2100, v3
	s_waitcnt vmcnt(0)
	ds_write2_b64 v12, v[8:9], v[10:11] offset1:1
.LBB30_25:
	s_or_b64 exec, exec, s[12:13]
	v_add_u32_e32 v8, 24, v5
	v_cmp_le_i32_e64 s[8:9], s22, v8
	s_and_saveexec_b64 s[12:13], s[8:9]
	s_xor_b64 s[8:9], exec, s[12:13]
	s_cbranch_execz .LBB30_27
; %bb.26:
	v_mov_b32_e32 v8, 0
	v_mov_b32_e32 v9, v8
	;; [unrolled: 1-line block ×4, first 2 shown]
	ds_write_b128 v3, v[8:11] offset:12672
                                        ; implicit-def: $vgpr3
.LBB30_27:
	s_andn2_saveexec_b64 s[12:13], s[8:9]
	s_cbranch_execz .LBB30_29
; %bb.28:
	s_mul_i32 s8, s26, 24
	s_ashr_i32 s9, s8, 31
	s_lshl_b64 s[8:9], s[8:9], 4
	v_mov_b32_e32 v9, s9
	v_add_co_u32_e64 v8, s[8:9], s8, v0
	v_addc_co_u32_e64 v9, s[8:9], v1, v9, s[8:9]
	global_load_dwordx4 v[8:11], v[8:9], off
	v_add_u32_e32 v3, 0x3180, v3
	s_waitcnt vmcnt(0)
	ds_write2_b64 v3, v[8:9], v[10:11] offset1:1
.LBB30_29:
	s_or_b64 exec, exec, s[12:13]
	v_add_co_u32_e64 v0, s[8:9], v0, v2
	v_addc_co_u32_e64 v1, s[8:9], 0, v1, s[8:9]
	v_mov_b32_e32 v2, s11
	v_subrev_co_u32_e64 v0, s[8:9], s10, v0
	v_subb_co_u32_e64 v1, s[8:9], v1, v2, s[8:9]
	v_add_co_u32_e64 v0, s[8:9], 16, v0
	v_addc_co_u32_e64 v1, s[8:9], 0, v1, s[8:9]
	v_cndmask_b32_e32 v7, v1, v7, vcc
	v_cndmask_b32_e32 v6, v0, v6, vcc
.LBB30_30:
	v_lshlrev_b32_e32 v12, 2, v5
	v_cmp_ge_u32_e64 s[8:9], v12, v4
	s_waitcnt lgkmcnt(0)
	s_barrier
	s_and_saveexec_b64 s[10:11], s[8:9]
	s_xor_b64 s[10:11], exec, s[10:11]
	s_cbranch_execz .LBB30_34
; %bb.31:
	v_cmp_eq_u32_e32 vcc, v12, v4
	s_and_saveexec_b64 s[12:13], vcc
	s_cbranch_execz .LBB30_33
; %bb.32:
	v_mul_u32_u24_e32 v0, 34, v4
	v_lshlrev_b32_e32 v2, 4, v0
	v_mov_b32_e32 v0, 0
	v_mov_b32_e32 v1, v0
	ds_write_b64 v2, v[0:1] offset:8
.LBB30_33:
	s_or_b64 exec, exec, s[12:13]
.LBB30_34:
	s_or_saveexec_b64 s[10:11], s[10:11]
	v_mul_u32_u24_e32 v44, 33, v4
	v_add_lshl_u32 v10, v12, v44, 4
	s_xor_b64 exec, exec, s[10:11]
	s_cbranch_execz .LBB30_36
; %bb.35:
	v_mul_u32_u24_e32 v0, 0x84, v5
	v_add_lshl_u32 v0, v0, v4, 4
	ds_read_b128 v[0:3], v0
	s_waitcnt lgkmcnt(0)
	v_xor_b32_e32 v3, 0x80000000, v3
	ds_write_b128 v10, v[0:3]
.LBB30_36:
	s_or_b64 exec, exec, s[10:11]
	v_or_b32_e32 v13, 1, v12
	v_cmp_ge_u32_e64 s[10:11], v13, v4
	s_and_saveexec_b64 s[12:13], s[10:11]
	s_xor_b64 s[12:13], exec, s[12:13]
	s_cbranch_execz .LBB30_40
; %bb.37:
	v_cmp_eq_u32_e32 vcc, v13, v4
	s_and_saveexec_b64 s[14:15], vcc
	s_cbranch_execz .LBB30_39
; %bb.38:
	v_mul_u32_u24_e32 v0, 34, v4
	v_lshlrev_b32_e32 v2, 4, v0
	v_mov_b32_e32 v0, 0
	v_mov_b32_e32 v1, v0
	ds_write_b64 v2, v[0:1] offset:8
.LBB30_39:
	s_or_b64 exec, exec, s[14:15]
.LBB30_40:
	s_or_saveexec_b64 s[12:13], s[12:13]
	v_mul_u32_u24_e32 v0, 33, v13
	s_xor_b64 exec, exec, s[12:13]
	s_cbranch_execz .LBB30_42
; %bb.41:
	v_add_lshl_u32 v1, v0, v4, 4
	ds_read_b128 v[14:17], v1
	s_waitcnt lgkmcnt(0)
	v_xor_b32_e32 v17, 0x80000000, v17
	ds_write_b128 v10, v[14:17] offset:16
.LBB30_42:
	s_or_b64 exec, exec, s[12:13]
	v_or_b32_e32 v14, 2, v12
	v_cmp_ge_u32_e64 s[12:13], v14, v4
	s_and_saveexec_b64 s[14:15], s[12:13]
	s_xor_b64 s[14:15], exec, s[14:15]
	s_cbranch_execz .LBB30_46
; %bb.43:
	v_cmp_eq_u32_e32 vcc, v14, v4
	s_and_saveexec_b64 s[16:17], vcc
	s_cbranch_execz .LBB30_45
; %bb.44:
	v_mul_u32_u24_e32 v1, 34, v4
	v_mov_b32_e32 v2, 0
	v_lshlrev_b32_e32 v1, 4, v1
	v_mov_b32_e32 v3, v2
	ds_write_b64 v1, v[2:3] offset:8
.LBB30_45:
	s_or_b64 exec, exec, s[16:17]
.LBB30_46:
	s_andn2_saveexec_b64 s[14:15], s[14:15]
	s_cbranch_execz .LBB30_48
; %bb.47:
	v_mul_u32_u24_e32 v1, 33, v14
	v_add_lshl_u32 v1, v1, v4, 4
	ds_read_b128 v[16:19], v1
	s_waitcnt lgkmcnt(0)
	v_xor_b32_e32 v19, 0x80000000, v19
	ds_write_b128 v10, v[16:19] offset:32
.LBB30_48:
	s_or_b64 exec, exec, s[14:15]
	v_or_b32_e32 v15, 3, v12
	v_cmp_ge_u32_e64 s[14:15], v15, v4
	s_and_saveexec_b64 s[16:17], s[14:15]
	s_xor_b64 s[16:17], exec, s[16:17]
	s_cbranch_execz .LBB30_52
; %bb.49:
	v_cmp_eq_u32_e32 vcc, v15, v4
	s_and_saveexec_b64 s[18:19], vcc
	s_cbranch_execz .LBB30_51
; %bb.50:
	v_mul_u32_u24_e32 v1, 34, v4
	v_mov_b32_e32 v2, 0
	v_lshlrev_b32_e32 v1, 4, v1
	v_mov_b32_e32 v3, v2
	ds_write_b64 v1, v[2:3] offset:8
.LBB30_51:
	s_or_b64 exec, exec, s[18:19]
.LBB30_52:
	s_andn2_saveexec_b64 s[16:17], s[16:17]
	s_cbranch_execz .LBB30_54
; %bb.53:
	v_mul_u32_u24_e32 v1, 33, v15
	v_add_lshl_u32 v1, v1, v4, 4
	ds_read_b128 v[16:19], v1
	s_waitcnt lgkmcnt(0)
	v_xor_b32_e32 v19, 0x80000000, v19
	ds_write_b128 v10, v[16:19] offset:48
.LBB30_54:
	s_or_b64 exec, exec, s[16:17]
	v_mul_u32_u24_e32 v1, 0x84, v5
	v_lshlrev_b32_e32 v17, 4, v12
	s_waitcnt lgkmcnt(0)
	s_barrier
	v_add_lshl_u32 v16, v1, v4, 4
	ds_read_b128 v[18:21], v17 offset:18176
	ds_read_b128 v[22:25], v17 offset:18192
	ds_read_b128 v[26:29], v16
	ds_read_b128 v[30:33], v17 offset:18208
	ds_read_b128 v[46:49], v17 offset:18224
	v_add_lshl_u32 v11, v0, v4, 4
	ds_read_b128 v[0:3], v11
	s_waitcnt lgkmcnt(3)
	v_mul_f64 v[8:9], v[20:21], v[28:29]
	v_fma_f64 v[8:9], v[18:19], v[26:27], -v[8:9]
	v_mul_f64 v[18:19], v[18:19], v[28:29]
	v_fmac_f64_e32 v[18:19], v[20:21], v[26:27]
	v_add_f64 v[26:27], v[18:19], 0
	s_waitcnt lgkmcnt(0)
	v_mul_f64 v[18:19], v[24:25], v[2:3]
	v_fma_f64 v[28:29], v[22:23], v[0:1], -v[18:19]
	v_mul_f64 v[2:3], v[22:23], v[2:3]
	ds_read_b128 v[18:21], v11 offset:528
	v_fmac_f64_e32 v[2:3], v[24:25], v[0:1]
	v_add_f64 v[22:23], v[26:27], v[2:3]
	ds_read_b128 v[0:3], v11 offset:1056
	v_add_f64 v[8:9], v[8:9], 0
	s_waitcnt lgkmcnt(1)
	v_mul_f64 v[24:25], v[32:33], v[20:21]
	v_mul_f64 v[20:21], v[30:31], v[20:21]
	v_fmac_f64_e32 v[20:21], v[32:33], v[18:19]
	v_add_f64 v[8:9], v[8:9], v[28:29]
	v_fma_f64 v[24:25], v[30:31], v[18:19], -v[24:25]
	v_add_f64 v[18:19], v[22:23], v[20:21]
	s_waitcnt lgkmcnt(0)
	v_mul_f64 v[20:21], v[48:49], v[2:3]
	v_mul_f64 v[2:3], v[46:47], v[2:3]
	v_add_f64 v[8:9], v[8:9], v[24:25]
	v_fma_f64 v[20:21], v[46:47], v[0:1], -v[20:21]
	v_fmac_f64_e32 v[2:3], v[48:49], v[0:1]
	v_add_f64 v[0:1], v[8:9], v[20:21]
	v_add_f64 v[2:3], v[18:19], v[2:3]
	v_add_lshl_u32 v45, v5, v44, 4
	s_barrier
	ds_write_b128 v45, v[0:3]
	v_pk_mov_b32 v[0:1], 0, 0
	v_cmp_gt_u32_e64 s[20:21], 32, v43
	v_pk_mov_b32 v[2:3], v[0:1], v[0:1] op_sel:[0,1]
	s_waitcnt lgkmcnt(0)
	s_barrier
	s_and_saveexec_b64 s[16:17], s[20:21]
	s_cbranch_execz .LBB30_56
; %bb.55:
	v_lshlrev_b32_e32 v30, 4, v44
	ds_read_b128 v[0:3], v30
	ds_read_b128 v[18:21], v30 offset:16
	ds_read_b128 v[22:25], v30 offset:32
	;; [unrolled: 1-line block ×3, first 2 shown]
	s_waitcnt lgkmcnt(2)
	v_add_f64 v[0:1], v[18:19], v[0:1]
	v_add_f64 v[8:9], v[20:21], v[2:3]
	s_waitcnt lgkmcnt(1)
	v_add_f64 v[18:19], v[0:1], v[22:23]
	ds_read_b128 v[0:3], v30 offset:64
	v_add_f64 v[8:9], v[8:9], v[24:25]
	s_waitcnt lgkmcnt(1)
	v_add_f64 v[22:23], v[18:19], v[26:27]
	ds_read_b128 v[18:21], v30 offset:80
	;; [unrolled: 4-line block ×3, first 2 shown]
	v_add_f64 v[8:9], v[8:9], v[2:3]
	ds_read_b128 v[0:3], v30 offset:112
	s_waitcnt lgkmcnt(2)
	v_add_f64 v[18:19], v[26:27], v[18:19]
	v_add_f64 v[8:9], v[8:9], v[20:21]
	s_waitcnt lgkmcnt(1)
	v_add_f64 v[18:19], v[18:19], v[22:23]
	v_add_f64 v[8:9], v[8:9], v[24:25]
	;; [unrolled: 3-line block ×3, first 2 shown]
.LBB30_56:
	s_or_b64 exec, exec, s[16:17]
	s_lshl_b32 s16, s26, 5
	s_ashr_i32 s17, s16, 31
	s_lshl_b64 s[36:37], s[16:17], 4
	v_mov_b32_e32 v9, s37
	v_add_co_u32_e32 v8, vcc, s36, v6
	v_addc_co_u32_e32 v9, vcc, v7, v9, vcc
	v_add_co_u32_e32 v6, vcc, 0x200, v8
	v_cndmask_b32_e64 v7, 0, 1, s[34:35]
	s_mov_b64 s[18:19], vcc
	v_cmp_ne_u32_e64 s[16:17], 1, v7
	s_andn2_b64 vcc, exec, s[34:35]
	v_addc_co_u32_e64 v7, s[18:19], 0, v9, s[18:19]
	s_barrier
	s_cbranch_vccnz .LBB30_58
; %bb.57:
	s_lshl_b32 s18, s26, 3
	s_ashr_i32 s19, s18, 31
	s_lshl_b64 s[18:19], s[18:19], 4
	v_mov_b32_e32 v22, s19
	v_add_co_u32_e32 v8, vcc, s18, v8
	s_ashr_i32 s27, s26, 31
	v_addc_co_u32_e32 v9, vcc, v9, v22, vcc
	s_lshl_b64 s[18:19], s[26:27], 7
	v_mov_b32_e32 v32, s19
	v_add_co_u32_e32 v30, vcc, s18, v8
	global_load_dwordx4 v[18:21], v[6:7], off
	v_addc_co_u32_e32 v31, vcc, v9, v32, vcc
	global_load_dwordx4 v[22:25], v[8:9], off offset:512
	global_load_dwordx4 v[26:29], v[30:31], off offset:512
	v_add_co_u32_e32 v8, vcc, s18, v30
	v_addc_co_u32_e32 v9, vcc, v31, v32, vcc
	global_load_dwordx4 v[30:33], v[8:9], off offset:512
	v_mul_u32_u24_e32 v8, 33, v5
	v_add_lshl_u32 v8, v8, v4, 4
	v_add_u32_e32 v9, 0x1080, v8
	v_add_u32_e32 v34, 0x2100, v8
	;; [unrolled: 1-line block ×3, first 2 shown]
	s_waitcnt vmcnt(3)
	ds_write2_b64 v8, v[18:19], v[20:21] offset1:1
	s_waitcnt vmcnt(2)
	ds_write2_b64 v9, v[22:23], v[24:25] offset1:1
	;; [unrolled: 2-line block ×4, first 2 shown]
	s_cbranch_execz .LBB30_59
	s_branch .LBB30_76
.LBB30_58:
.LBB30_59:
	v_lshlrev_b32_e32 v18, 4, v4
	v_sub_co_u32_e32 v9, vcc, v6, v18
	s_ashr_i32 s23, s22, 31
	v_subbrev_co_u32_e32 v19, vcc, 0, v7, vcc
	s_lshl_b64 s[34:35], s[22:23], 4
	v_mov_b32_e32 v20, s35
	v_add_co_u32_e32 v9, vcc, s34, v9
	v_addc_co_u32_e32 v19, vcc, v19, v20, vcc
	v_or_b32_e32 v8, 32, v4
	v_add_co_u32_e32 v20, vcc, 0xfffffdf0, v9
	v_addc_co_u32_e32 v9, vcc, -1, v19, vcc
	v_cmp_gt_i32_e64 s[18:19], s22, v8
	s_sub_i32 s23, s22, 32
	v_mul_u32_u24_e32 v19, 33, v5
	v_cndmask_b32_e64 v9, v9, v7, s[18:19]
	v_cndmask_b32_e64 v8, v20, v6, s[18:19]
	v_cmp_le_i32_e32 vcc, s23, v5
	v_add_lshl_u32 v19, v19, v4, 4
	s_and_saveexec_b64 s[38:39], vcc
	s_xor_b64 s[38:39], exec, s[38:39]
	s_cbranch_execz .LBB30_61
; %bb.60:
	v_mov_b32_e32 v20, 0
	v_mov_b32_e32 v21, v20
	;; [unrolled: 1-line block ×4, first 2 shown]
	ds_write_b128 v19, v[20:23]
.LBB30_61:
	s_andn2_saveexec_b64 s[38:39], s[38:39]
	s_cbranch_execz .LBB30_63
; %bb.62:
	global_load_dwordx4 v[20:23], v[8:9], off
	s_waitcnt vmcnt(0)
	ds_write2_b64 v19, v[20:21], v[22:23] offset1:1
.LBB30_63:
	s_or_b64 exec, exec, s[38:39]
	v_add_u32_e32 v20, 8, v5
	v_cmp_le_i32_e32 vcc, s23, v20
	s_and_saveexec_b64 s[38:39], vcc
	s_xor_b64 s[38:39], exec, s[38:39]
	s_cbranch_execz .LBB30_65
; %bb.64:
	v_mul_u32_u24_e32 v20, 33, v20
	v_add_lshl_u32 v24, v20, v4, 4
	v_mov_b32_e32 v20, 0
	v_mov_b32_e32 v21, v20
	;; [unrolled: 1-line block ×4, first 2 shown]
	ds_write_b128 v24, v[20:23]
.LBB30_65:
	s_andn2_saveexec_b64 s[38:39], s[38:39]
	s_cbranch_execz .LBB30_67
; %bb.66:
	s_lshl_b32 s44, s26, 3
	s_ashr_i32 s45, s44, 31
	s_lshl_b64 s[44:45], s[44:45], 4
	v_mov_b32_e32 v21, s45
	v_add_co_u32_e32 v20, vcc, s44, v8
	v_addc_co_u32_e32 v21, vcc, v9, v21, vcc
	global_load_dwordx4 v[20:23], v[20:21], off
	v_add_u32_e32 v24, 0x1080, v19
	s_waitcnt vmcnt(0)
	ds_write2_b64 v24, v[20:21], v[22:23] offset1:1
.LBB30_67:
	s_or_b64 exec, exec, s[38:39]
	v_add_u32_e32 v20, 16, v5
	v_cmp_le_i32_e32 vcc, s23, v20
	s_and_saveexec_b64 s[38:39], vcc
	s_xor_b64 s[38:39], exec, s[38:39]
	s_cbranch_execz .LBB30_69
; %bb.68:
	v_mul_u32_u24_e32 v20, 33, v20
	v_add_lshl_u32 v24, v20, v4, 4
	v_mov_b32_e32 v20, 0
	v_mov_b32_e32 v21, v20
	;; [unrolled: 1-line block ×4, first 2 shown]
	ds_write_b128 v24, v[20:23]
.LBB30_69:
	s_andn2_saveexec_b64 s[38:39], s[38:39]
	s_cbranch_execz .LBB30_71
; %bb.70:
	s_lshl_b32 s44, s26, 4
	s_ashr_i32 s45, s44, 31
	s_lshl_b64 s[44:45], s[44:45], 4
	v_mov_b32_e32 v21, s45
	v_add_co_u32_e32 v20, vcc, s44, v8
	v_addc_co_u32_e32 v21, vcc, v9, v21, vcc
	global_load_dwordx4 v[20:23], v[20:21], off
	v_add_u32_e32 v24, 0x2100, v19
	s_waitcnt vmcnt(0)
	ds_write2_b64 v24, v[20:21], v[22:23] offset1:1
.LBB30_71:
	s_or_b64 exec, exec, s[38:39]
	v_add_u32_e32 v20, 24, v5
	v_cmp_le_i32_e32 vcc, s23, v20
	s_and_saveexec_b64 s[38:39], vcc
	s_xor_b64 s[38:39], exec, s[38:39]
	s_cbranch_execz .LBB30_73
; %bb.72:
	v_mov_b32_e32 v20, 0
	v_mov_b32_e32 v21, v20
	;; [unrolled: 1-line block ×4, first 2 shown]
	ds_write_b128 v19, v[20:23] offset:12672
                                        ; implicit-def: $vgpr19
.LBB30_73:
	s_andn2_saveexec_b64 s[38:39], s[38:39]
	s_cbranch_execz .LBB30_75
; %bb.74:
	s_mul_i32 s44, s26, 24
	s_ashr_i32 s45, s44, 31
	s_lshl_b64 s[44:45], s[44:45], 4
	v_mov_b32_e32 v21, s45
	v_add_co_u32_e32 v20, vcc, s44, v8
	v_addc_co_u32_e32 v21, vcc, v9, v21, vcc
	global_load_dwordx4 v[20:23], v[20:21], off
	v_add_u32_e32 v19, 0x3180, v19
	s_waitcnt vmcnt(0)
	ds_write2_b64 v19, v[20:21], v[22:23] offset1:1
.LBB30_75:
	s_or_b64 exec, exec, s[38:39]
	v_add_co_u32_e32 v8, vcc, v8, v18
	v_addc_co_u32_e32 v9, vcc, 0, v9, vcc
	v_mov_b32_e32 v18, s35
	v_subrev_co_u32_e32 v8, vcc, s34, v8
	v_subb_co_u32_e32 v9, vcc, v9, v18, vcc
	v_add_co_u32_e32 v8, vcc, 0x210, v8
	v_addc_co_u32_e32 v9, vcc, 0, v9, vcc
	v_cndmask_b32_e64 v7, v9, v7, s[18:19]
	v_cndmask_b32_e64 v6, v8, v6, s[18:19]
.LBB30_76:
	v_add_u32_e32 v8, 0x4700, v17
	s_waitcnt lgkmcnt(0)
	s_barrier
	s_and_saveexec_b64 s[18:19], s[8:9]
	s_xor_b64 s[8:9], exec, s[18:19]
	s_cbranch_execnz .LBB30_89
; %bb.77:
	s_andn2_saveexec_b64 s[8:9], s[8:9]
	s_cbranch_execnz .LBB30_92
.LBB30_78:
	s_or_b64 exec, exec, s[8:9]
	s_and_saveexec_b64 s[8:9], s[10:11]
	s_xor_b64 s[8:9], exec, s[8:9]
	s_cbranch_execnz .LBB30_93
.LBB30_79:
	s_andn2_saveexec_b64 s[8:9], s[8:9]
	s_cbranch_execnz .LBB30_96
.LBB30_80:
	s_or_b64 exec, exec, s[8:9]
	s_and_saveexec_b64 s[8:9], s[12:13]
	s_xor_b64 s[8:9], exec, s[8:9]
	s_cbranch_execnz .LBB30_97
.LBB30_81:
	s_andn2_saveexec_b64 s[8:9], s[8:9]
	s_cbranch_execnz .LBB30_100
.LBB30_82:
	s_or_b64 exec, exec, s[8:9]
	s_and_saveexec_b64 s[8:9], s[14:15]
	s_xor_b64 s[8:9], exec, s[8:9]
	s_cbranch_execnz .LBB30_101
.LBB30_83:
	s_andn2_saveexec_b64 s[8:9], s[8:9]
	s_cbranch_execz .LBB30_85
.LBB30_84:
	ds_read_b128 v[12:15], v11 offset:1056
	s_waitcnt lgkmcnt(0)
	v_xor_b32_e32 v15, 0x80000000, v15
	ds_write_b128 v10, v[12:15] offset:48
.LBB30_85:
	s_or_b64 exec, exec, s[8:9]
	s_waitcnt lgkmcnt(0)
	s_barrier
	ds_read_b128 v[12:15], v8 offset:512
	ds_read_b128 v[16:19], v16
	ds_read_b128 v[20:23], v8 offset:528
	ds_read_b128 v[24:27], v8 offset:544
	v_cmp_eq_u32_e64 s[8:9], 1, v5
	s_waitcnt lgkmcnt(2)
	v_mul_f64 v[28:29], v[14:15], v[18:19]
	v_fma_f64 v[40:41], v[12:13], v[16:17], -v[28:29]
	ds_read_b128 v[28:31], v8 offset:560
	ds_read_b128 v[32:35], v11
	v_mul_f64 v[12:13], v[12:13], v[18:19]
	v_fmac_f64_e32 v[12:13], v[14:15], v[16:17]
	v_add_f64 v[18:19], v[12:13], 0
	v_add_f64 v[16:17], v[40:41], 0
	s_waitcnt lgkmcnt(0)
	v_mul_f64 v[12:13], v[22:23], v[34:35]
	v_fma_f64 v[40:41], v[20:21], v[32:33], -v[12:13]
	v_mul_f64 v[20:21], v[20:21], v[34:35]
	ds_read_b128 v[12:15], v11 offset:528
	v_fmac_f64_e32 v[20:21], v[22:23], v[32:33]
	v_add_f64 v[22:23], v[16:17], v[40:41]
	v_add_f64 v[20:21], v[18:19], v[20:21]
	ds_read_b128 v[16:19], v11 offset:1056
	s_waitcnt lgkmcnt(1)
	v_mul_f64 v[32:33], v[26:27], v[14:15]
	v_mul_f64 v[14:15], v[24:25], v[14:15]
	v_fmac_f64_e32 v[14:15], v[26:27], v[12:13]
	v_fma_f64 v[32:33], v[24:25], v[12:13], -v[32:33]
	v_add_f64 v[14:15], v[20:21], v[14:15]
	s_waitcnt lgkmcnt(0)
	v_mul_f64 v[20:21], v[30:31], v[18:19]
	v_mul_f64 v[18:19], v[28:29], v[18:19]
	v_add_f64 v[12:13], v[22:23], v[32:33]
	v_fma_f64 v[20:21], v[28:29], v[16:17], -v[20:21]
	v_fmac_f64_e32 v[18:19], v[30:31], v[16:17]
	v_add_f64 v[12:13], v[12:13], v[20:21]
	v_add_f64 v[14:15], v[14:15], v[18:19]
	s_barrier
	ds_write_b128 v45, v[12:15]
	s_waitcnt lgkmcnt(0)
	s_barrier
	s_and_saveexec_b64 s[10:11], s[8:9]
	s_cbranch_execz .LBB30_87
; %bb.86:
	v_lshlrev_b32_e32 v9, 4, v44
	ds_read_b128 v[0:3], v9
	ds_read_b128 v[12:15], v9 offset:16
	ds_read_b128 v[16:19], v9 offset:32
	;; [unrolled: 1-line block ×3, first 2 shown]
	s_waitcnt lgkmcnt(2)
	v_add_f64 v[0:1], v[12:13], v[0:1]
	v_add_f64 v[12:13], v[14:15], v[2:3]
	s_waitcnt lgkmcnt(1)
	v_add_f64 v[14:15], v[0:1], v[16:17]
	ds_read_b128 v[0:3], v9 offset:64
	v_add_f64 v[12:13], v[12:13], v[18:19]
	s_waitcnt lgkmcnt(1)
	v_add_f64 v[16:17], v[14:15], v[20:21]
	v_add_f64 v[20:21], v[12:13], v[22:23]
	ds_read_b128 v[12:15], v9 offset:80
	s_waitcnt lgkmcnt(1)
	v_add_f64 v[22:23], v[16:17], v[0:1]
	ds_read_b128 v[16:19], v9 offset:96
	v_add_f64 v[20:21], v[20:21], v[2:3]
	ds_read_b128 v[0:3], v9 offset:112
	s_waitcnt lgkmcnt(2)
	v_add_f64 v[12:13], v[22:23], v[12:13]
	v_add_f64 v[14:15], v[20:21], v[14:15]
	s_waitcnt lgkmcnt(1)
	v_add_f64 v[12:13], v[12:13], v[16:17]
	v_add_f64 v[14:15], v[14:15], v[18:19]
	;; [unrolled: 3-line block ×3, first 2 shown]
.LBB30_87:
	s_or_b64 exec, exec, s[10:11]
	v_mov_b32_e32 v9, s37
	v_subrev_co_u32_e64 v40, s[10:11], s36, v6
	s_and_b64 vcc, exec, s[16:17]
	v_subb_co_u32_e64 v41, s[10:11], v7, v9, s[10:11]
	s_barrier
	s_cbranch_vccnz .LBB30_104
; %bb.88:
	s_lshl_b32 s10, s26, 3
	s_ashr_i32 s11, s10, 31
	s_lshl_b64 s[10:11], s[10:11], 4
	v_mov_b32_e32 v7, s11
	v_add_co_u32_e32 v6, vcc, s10, v40
	s_ashr_i32 s27, s26, 31
	v_addc_co_u32_e32 v7, vcc, v41, v7, vcc
	s_lshl_b64 s[10:11], s[26:27], 7
	global_load_dwordx4 v[16:19], v[40:41], off
	global_load_dwordx4 v[20:23], v[6:7], off
	v_mov_b32_e32 v9, s11
	v_add_co_u32_e32 v6, vcc, s10, v6
	v_addc_co_u32_e32 v7, vcc, v7, v9, vcc
	v_add_co_u32_e32 v12, vcc, s10, v6
	v_addc_co_u32_e32 v13, vcc, v7, v9, vcc
	global_load_dwordx4 v[24:27], v[6:7], off
	global_load_dwordx4 v[28:31], v[12:13], off
	v_mad_u32_u24 v9, v5, 33, v4
	v_add_u32_e32 v11, 8, v5
	v_add_u32_e32 v12, 16, v5
	;; [unrolled: 1-line block ×3, first 2 shown]
	v_lshlrev_b32_e32 v15, 4, v9
	v_add_u32_e32 v7, 0x108, v9
	v_add_u32_e32 v6, 0x210, v9
	;; [unrolled: 1-line block ×6, first 2 shown]
	s_waitcnt vmcnt(3)
	ds_write2_b64 v15, v[16:17], v[18:19] offset1:1
	s_waitcnt vmcnt(2)
	ds_write2_b64 v32, v[20:21], v[22:23] offset1:1
	;; [unrolled: 2-line block ×4, first 2 shown]
	s_cbranch_execz .LBB30_105
	s_branch .LBB30_122
.LBB30_89:
	v_cmp_eq_u32_e32 vcc, v12, v4
	s_and_saveexec_b64 s[18:19], vcc
	s_cbranch_execz .LBB30_91
; %bb.90:
	v_mul_u32_u24_e32 v9, 34, v4
	v_mov_b32_e32 v18, 0
	v_lshlrev_b32_e32 v9, 4, v9
	v_mov_b32_e32 v19, v18
	ds_write_b64 v9, v[18:19] offset:8
.LBB30_91:
	s_or_b64 exec, exec, s[18:19]
	s_andn2_saveexec_b64 s[8:9], s[8:9]
	s_cbranch_execz .LBB30_78
.LBB30_92:
	ds_read_b128 v[18:21], v16
	s_waitcnt lgkmcnt(0)
	v_xor_b32_e32 v21, 0x80000000, v21
	ds_write_b128 v10, v[18:21]
	s_or_b64 exec, exec, s[8:9]
	s_and_saveexec_b64 s[8:9], s[10:11]
	s_xor_b64 s[8:9], exec, s[8:9]
	s_cbranch_execz .LBB30_79
.LBB30_93:
	v_cmp_eq_u32_e32 vcc, v13, v4
	s_and_saveexec_b64 s[10:11], vcc
	s_cbranch_execz .LBB30_95
; %bb.94:
	v_mul_u32_u24_e32 v9, 34, v4
	v_mov_b32_e32 v12, 0
	v_lshlrev_b32_e32 v9, 4, v9
	v_mov_b32_e32 v13, v12
	ds_write_b64 v9, v[12:13] offset:8
.LBB30_95:
	s_or_b64 exec, exec, s[10:11]
	s_andn2_saveexec_b64 s[8:9], s[8:9]
	s_cbranch_execz .LBB30_80
.LBB30_96:
	ds_read_b128 v[18:21], v11
	s_waitcnt lgkmcnt(0)
	v_xor_b32_e32 v21, 0x80000000, v21
	ds_write_b128 v10, v[18:21] offset:16
	s_or_b64 exec, exec, s[8:9]
	s_and_saveexec_b64 s[8:9], s[12:13]
	s_xor_b64 s[8:9], exec, s[8:9]
	s_cbranch_execz .LBB30_81
.LBB30_97:
	v_cmp_eq_u32_e32 vcc, v14, v4
	s_and_saveexec_b64 s[10:11], vcc
	s_cbranch_execz .LBB30_99
; %bb.98:
	v_mul_u32_u24_e32 v9, 34, v4
	v_mov_b32_e32 v12, 0
	v_lshlrev_b32_e32 v9, 4, v9
	v_mov_b32_e32 v13, v12
	ds_write_b64 v9, v[12:13] offset:8
.LBB30_99:
	s_or_b64 exec, exec, s[10:11]
	s_andn2_saveexec_b64 s[8:9], s[8:9]
	s_cbranch_execz .LBB30_82
.LBB30_100:
	ds_read_b128 v[18:21], v11 offset:528
	s_waitcnt lgkmcnt(0)
	v_xor_b32_e32 v21, 0x80000000, v21
	ds_write_b128 v10, v[18:21] offset:32
	s_or_b64 exec, exec, s[8:9]
	s_and_saveexec_b64 s[8:9], s[14:15]
	s_xor_b64 s[8:9], exec, s[8:9]
	s_cbranch_execz .LBB30_83
.LBB30_101:
	v_cmp_eq_u32_e32 vcc, v15, v4
	s_and_saveexec_b64 s[10:11], vcc
	s_cbranch_execz .LBB30_103
; %bb.102:
	v_mul_u32_u24_e32 v9, 34, v4
	v_mov_b32_e32 v12, 0
	v_lshlrev_b32_e32 v9, 4, v9
	v_mov_b32_e32 v13, v12
	ds_write_b64 v9, v[12:13] offset:8
.LBB30_103:
	s_or_b64 exec, exec, s[10:11]
	s_andn2_saveexec_b64 s[8:9], s[8:9]
	s_cbranch_execnz .LBB30_84
	s_branch .LBB30_85
.LBB30_104:
                                        ; implicit-def: $vgpr9
                                        ; implicit-def: $vgpr11
                                        ; implicit-def: $vgpr7
                                        ; implicit-def: $vgpr12
                                        ; implicit-def: $vgpr6
                                        ; implicit-def: $vgpr13
                                        ; implicit-def: $vgpr14
.LBB30_105:
	v_lshlrev_b32_e32 v15, 4, v4
	v_sub_co_u32_e32 v7, vcc, v40, v15
	s_ashr_i32 s23, s22, 31
	v_subbrev_co_u32_e32 v9, vcc, 0, v41, vcc
	s_lshl_b64 s[12:13], s[22:23], 4
	v_mov_b32_e32 v11, s13
	v_add_co_u32_e32 v7, vcc, s12, v7
	v_addc_co_u32_e32 v9, vcc, v9, v11, vcc
	v_or_b32_e32 v6, 32, v4
	v_add_co_u32_e32 v11, vcc, 0xfffffdf0, v7
	v_addc_co_u32_e32 v7, vcc, -1, v9, vcc
	v_cmp_gt_i32_e64 s[10:11], s22, v6
	v_mad_u32_u24 v9, v5, 33, v4
	v_cndmask_b32_e64 v7, v7, v41, s[10:11]
	v_cndmask_b32_e64 v6, v11, v40, s[10:11]
	v_cmp_le_i32_e32 vcc, s22, v5
	v_lshlrev_b32_e32 v16, 4, v9
	s_and_saveexec_b64 s[14:15], vcc
	s_xor_b64 s[14:15], exec, s[14:15]
	s_cbranch_execz .LBB30_107
; %bb.106:
	v_mov_b32_e32 v18, 0
	v_mov_b32_e32 v19, v18
	;; [unrolled: 1-line block ×4, first 2 shown]
	ds_write_b128 v16, v[18:21]
.LBB30_107:
	s_andn2_saveexec_b64 s[14:15], s[14:15]
	s_cbranch_execz .LBB30_109
; %bb.108:
	global_load_dwordx4 v[18:21], v[6:7], off
	s_waitcnt vmcnt(0)
	ds_write2_b64 v16, v[18:19], v[20:21] offset1:1
.LBB30_109:
	s_or_b64 exec, exec, s[14:15]
	v_add_u32_e32 v11, 8, v5
	v_cmp_le_i32_e32 vcc, s22, v11
	s_and_saveexec_b64 s[14:15], vcc
	s_xor_b64 s[14:15], exec, s[14:15]
	s_cbranch_execz .LBB30_111
; %bb.110:
	v_mul_u32_u24_e32 v12, 33, v11
	v_mov_b32_e32 v18, 0
	v_add_lshl_u32 v12, v12, v4, 4
	v_mov_b32_e32 v19, v18
	v_mov_b32_e32 v20, v18
	;; [unrolled: 1-line block ×3, first 2 shown]
	ds_write_b128 v12, v[18:21]
.LBB30_111:
	s_andn2_saveexec_b64 s[14:15], s[14:15]
	s_cbranch_execz .LBB30_113
; %bb.112:
	s_lshl_b32 s16, s26, 3
	s_ashr_i32 s17, s16, 31
	s_lshl_b64 s[16:17], s[16:17], 4
	v_mov_b32_e32 v13, s17
	v_add_co_u32_e32 v12, vcc, s16, v6
	v_addc_co_u32_e32 v13, vcc, v7, v13, vcc
	global_load_dwordx4 v[18:21], v[12:13], off
	v_add_u32_e32 v12, 0x1080, v16
	s_waitcnt vmcnt(0)
	ds_write2_b64 v12, v[18:19], v[20:21] offset1:1
.LBB30_113:
	s_or_b64 exec, exec, s[14:15]
	v_add_u32_e32 v12, 16, v5
	v_cmp_le_i32_e32 vcc, s22, v12
	s_and_saveexec_b64 s[14:15], vcc
	s_xor_b64 s[14:15], exec, s[14:15]
	s_cbranch_execz .LBB30_115
; %bb.114:
	v_mul_u32_u24_e32 v13, 33, v12
	v_mov_b32_e32 v18, 0
	v_add_lshl_u32 v13, v13, v4, 4
	v_mov_b32_e32 v19, v18
	v_mov_b32_e32 v20, v18
	;; [unrolled: 1-line block ×3, first 2 shown]
	ds_write_b128 v13, v[18:21]
.LBB30_115:
	s_andn2_saveexec_b64 s[14:15], s[14:15]
	s_cbranch_execz .LBB30_117
; %bb.116:
	s_lshl_b32 s16, s26, 4
	s_ashr_i32 s17, s16, 31
	s_lshl_b64 s[16:17], s[16:17], 4
	v_mov_b32_e32 v13, s17
	v_add_co_u32_e32 v18, vcc, s16, v6
	v_addc_co_u32_e32 v19, vcc, v7, v13, vcc
	global_load_dwordx4 v[18:21], v[18:19], off
	v_add_u32_e32 v13, 0x2100, v16
	s_waitcnt vmcnt(0)
	ds_write2_b64 v13, v[18:19], v[20:21] offset1:1
.LBB30_117:
	s_or_b64 exec, exec, s[14:15]
	v_add_u32_e32 v13, 24, v5
	v_cmp_le_i32_e32 vcc, s22, v13
                                        ; implicit-def: $vgpr14
	s_and_saveexec_b64 s[14:15], vcc
	s_xor_b64 s[14:15], exec, s[14:15]
	s_cbranch_execz .LBB30_119
; %bb.118:
	v_mad_u32_u24 v14, v13, 33, v4
	v_mov_b32_e32 v16, 0
	v_lshlrev_b32_e32 v4, 4, v14
	v_mov_b32_e32 v17, v16
	v_mov_b32_e32 v18, v16
	;; [unrolled: 1-line block ×3, first 2 shown]
	ds_write_b128 v4, v[16:19]
                                        ; implicit-def: $vgpr16
.LBB30_119:
	s_andn2_saveexec_b64 s[14:15], s[14:15]
	s_cbranch_execz .LBB30_121
; %bb.120:
	s_mul_i32 s16, s26, 24
	s_ashr_i32 s17, s16, 31
	s_lshl_b64 s[16:17], s[16:17], 4
	v_mov_b32_e32 v4, s17
	v_add_co_u32_e32 v18, vcc, s16, v6
	v_addc_co_u32_e32 v19, vcc, v7, v4, vcc
	global_load_dwordx4 v[18:21], v[18:19], off
	v_add_u32_e32 v14, 0x318, v9
	v_add_u32_e32 v4, 0x3180, v16
	s_waitcnt vmcnt(0)
	ds_write2_b64 v4, v[18:19], v[20:21] offset1:1
.LBB30_121:
	s_or_b64 exec, exec, s[14:15]
	v_add_co_u32_e32 v4, vcc, v6, v15
	v_addc_co_u32_e32 v6, vcc, 0, v7, vcc
	v_mov_b32_e32 v7, s13
	v_subrev_co_u32_e32 v4, vcc, s12, v4
	v_subb_co_u32_e32 v6, vcc, v6, v7, vcc
	v_add_co_u32_e32 v4, vcc, 0x210, v4
	v_addc_co_u32_e32 v6, vcc, 0, v6, vcc
	v_cndmask_b32_e64 v41, v6, v41, s[10:11]
	v_cndmask_b32_e64 v40, v4, v40, s[10:11]
	v_add_u32_e32 v7, 0x108, v9
	v_add_u32_e32 v6, 0x210, v9
.LBB30_122:
	v_lshlrev_b32_e32 v5, 4, v5
	s_waitcnt lgkmcnt(0)
	s_barrier
	v_lshlrev_b32_e32 v4, 4, v9
	ds_read_b128 v[46:49], v5 offset:18176
	ds_read_b128 v[50:53], v4
	v_lshlrev_b32_e32 v5, 4, v11
	v_lshlrev_b32_e32 v4, 4, v7
	ds_read_b128 v[54:57], v5 offset:18176
	ds_read_b128 v[58:61], v4
	v_lshlrev_b32_e32 v7, 4, v12
	;; [unrolled: 4-line block ×3, first 2 shown]
	v_lshlrev_b32_e32 v6, 4, v14
	ds_read_b128 v[70:73], v7 offset:18176
	ds_read_b128 v[74:77], v6
	s_waitcnt lgkmcnt(6)
	v_mul_f64 v[4:5], v[48:49], v[52:53]
	v_fma_f64 v[4:5], v[46:47], v[50:51], -v[4:5]
	s_waitcnt lgkmcnt(4)
	v_mul_f64 v[16:17], v[56:57], v[60:61]
	v_add_f64 v[4:5], v[4:5], 0
	v_fma_f64 v[16:17], v[54:55], v[58:59], -v[16:17]
	s_waitcnt lgkmcnt(2)
	v_mul_f64 v[6:7], v[64:65], v[68:69]
	v_add_f64 v[4:5], v[4:5], v[16:17]
	v_fma_f64 v[6:7], v[62:63], v[66:67], -v[6:7]
	v_add_f64 v[4:5], v[4:5], v[6:7]
	s_waitcnt lgkmcnt(0)
	v_mul_f64 v[6:7], v[72:73], v[76:77]
	v_fma_f64 v[6:7], v[70:71], v[74:75], -v[6:7]
	v_add_f64 v[78:79], v[4:5], v[6:7]
	ds_read_b128 v[28:31], v10
	ds_read_b128 v[20:23], v10 offset:16
	ds_read_b128 v[12:15], v10 offset:32
	;; [unrolled: 1-line block ×7, first 2 shown]
	v_mul_f64 v[46:47], v[46:47], v[52:53]
	v_fmac_f64_e32 v[46:47], v[48:49], v[50:51]
	v_mul_f64 v[48:49], v[54:55], v[60:61]
	v_add_f64 v[46:47], v[46:47], 0
	v_fmac_f64_e32 v[48:49], v[56:57], v[58:59]
	v_add_f64 v[46:47], v[46:47], v[48:49]
	v_mul_f64 v[48:49], v[62:63], v[68:69]
	v_fmac_f64_e32 v[48:49], v[64:65], v[66:67]
	v_add_f64 v[46:47], v[46:47], v[48:49]
	v_mul_f64 v[48:49], v[70:71], v[76:77]
	v_fmac_f64_e32 v[48:49], v[72:73], v[74:75]
	v_add_f64 v[80:81], v[46:47], v[48:49]
	s_waitcnt lgkmcnt(0)
	s_barrier
	ds_write_b128 v45, v[78:81]
	s_waitcnt lgkmcnt(0)
	s_barrier
	s_and_saveexec_b64 s[10:11], s[8:9]
	s_cbranch_execz .LBB30_124
; %bb.123:
	v_lshlrev_b32_e32 v62, 4, v44
	ds_read_b128 v[46:49], v62
	ds_read_b128 v[50:53], v62 offset:16
	ds_read_b128 v[54:57], v62 offset:32
	;; [unrolled: 1-line block ×3, first 2 shown]
	s_waitcnt lgkmcnt(3)
	v_add_f64 v[0:1], v[0:1], v[46:47]
	v_add_f64 v[2:3], v[2:3], v[48:49]
	s_waitcnt lgkmcnt(2)
	v_add_f64 v[0:1], v[0:1], v[50:51]
	v_add_f64 v[46:47], v[2:3], v[52:53]
	s_waitcnt lgkmcnt(1)
	v_add_f64 v[48:49], v[0:1], v[54:55]
	ds_read_b128 v[0:3], v62 offset:64
	v_add_f64 v[46:47], v[46:47], v[56:57]
	s_waitcnt lgkmcnt(1)
	v_add_f64 v[50:51], v[48:49], v[58:59]
	v_add_f64 v[54:55], v[46:47], v[60:61]
	ds_read_b128 v[46:49], v62 offset:80
	s_waitcnt lgkmcnt(1)
	v_add_f64 v[56:57], v[50:51], v[0:1]
	ds_read_b128 v[50:53], v62 offset:96
	v_add_f64 v[54:55], v[54:55], v[2:3]
	ds_read_b128 v[0:3], v62 offset:112
	s_waitcnt lgkmcnt(2)
	v_add_f64 v[46:47], v[56:57], v[46:47]
	v_add_f64 v[48:49], v[54:55], v[48:49]
	s_waitcnt lgkmcnt(1)
	v_add_f64 v[46:47], v[46:47], v[50:51]
	v_add_f64 v[48:49], v[48:49], v[52:53]
	;; [unrolled: 3-line block ×3, first 2 shown]
.LBB30_124:
	s_or_b64 exec, exec, s[10:11]
	v_mul_f64 v[46:47], v[30:31], v[34:35]
	v_mul_f64 v[30:31], v[30:31], v[32:33]
	v_fmac_f64_e32 v[46:47], v[28:29], v[32:33]
	v_fma_f64 v[28:29], v[28:29], v[34:35], -v[30:31]
	v_mul_f64 v[32:33], v[22:23], v[26:27]
	v_mul_f64 v[22:23], v[22:23], v[24:25]
	v_add_f64 v[30:31], v[46:47], 0
	v_add_f64 v[28:29], v[28:29], 0
	v_fmac_f64_e32 v[32:33], v[20:21], v[24:25]
	v_fma_f64 v[20:21], v[20:21], v[26:27], -v[22:23]
	v_mul_f64 v[24:25], v[14:15], v[18:19]
	v_mul_f64 v[14:15], v[14:15], v[16:17]
	v_add_f64 v[22:23], v[30:31], v[32:33]
	v_add_f64 v[20:21], v[28:29], v[20:21]
	;; [unrolled: 6-line block ×3, first 2 shown]
	v_fmac_f64_e32 v[16:17], v[4:5], v[8:9]
	v_fma_f64 v[6:7], v[4:5], v[10:11], -v[6:7]
	v_add_f64 v[4:5], v[14:15], v[16:17]
	v_add_f64 v[6:7], v[12:13], v[6:7]
	s_barrier
	ds_write_b128 v45, v[4:7]
	s_waitcnt lgkmcnt(0)
	s_barrier
	s_and_saveexec_b64 s[8:9], s[20:21]
	s_cbranch_execz .LBB30_126
; %bb.125:
	v_lshlrev_b32_e32 v20, 4, v44
	ds_read_b128 v[4:7], v20
	ds_read_b128 v[8:11], v20 offset:16
	ds_read_b128 v[12:15], v20 offset:32
	;; [unrolled: 1-line block ×3, first 2 shown]
	s_waitcnt lgkmcnt(3)
	v_add_f64 v[0:1], v[0:1], v[4:5]
	v_add_f64 v[2:3], v[2:3], v[6:7]
	s_waitcnt lgkmcnt(2)
	v_add_f64 v[0:1], v[0:1], v[8:9]
	v_add_f64 v[4:5], v[2:3], v[10:11]
	s_waitcnt lgkmcnt(1)
	v_add_f64 v[6:7], v[0:1], v[12:13]
	ds_read_b128 v[0:3], v20 offset:64
	v_add_f64 v[4:5], v[4:5], v[14:15]
	s_waitcnt lgkmcnt(1)
	v_add_f64 v[8:9], v[6:7], v[16:17]
	v_add_f64 v[12:13], v[4:5], v[18:19]
	ds_read_b128 v[4:7], v20 offset:80
	s_waitcnt lgkmcnt(1)
	v_add_f64 v[14:15], v[8:9], v[0:1]
	ds_read_b128 v[8:11], v20 offset:96
	v_add_f64 v[12:13], v[12:13], v[2:3]
	ds_read_b128 v[0:3], v20 offset:112
	s_waitcnt lgkmcnt(2)
	v_add_f64 v[4:5], v[14:15], v[4:5]
	v_add_f64 v[6:7], v[12:13], v[6:7]
	s_waitcnt lgkmcnt(1)
	v_add_f64 v[4:5], v[4:5], v[8:9]
	v_add_f64 v[6:7], v[6:7], v[10:11]
	;; [unrolled: 3-line block ×3, first 2 shown]
.LBB30_126:
	s_or_b64 exec, exec, s[8:9]
	s_load_dwordx2 s[4:5], s[4:5], 0x78
	s_mul_hi_u32 s8, s40, s7
	s_mul_i32 s42, s42, s7
	s_add_i32 s8, s8, s42
	s_mul_i32 s7, s40, s7
	s_mul_i32 s8, s8, s41
	s_mul_hi_u32 s9, s7, s41
	s_add_i32 s9, s9, s8
	s_mul_i32 s8, s7, s41
	s_lshl_b64 s[8:9], s[8:9], 4
	s_waitcnt lgkmcnt(0)
	s_add_u32 s7, s4, s8
	s_mul_i32 s4, s6, s40
	s_addc_u32 s8, s5, s9
	s_ashr_i32 s5, s4, 31
	s_lshl_b64 s[4:5], s[4:5], 4
	s_add_u32 s7, s7, s4
	v_cmp_le_i32_e32 vcc, s22, v42
	s_addc_u32 s16, s8, s5
	s_and_b64 vcc, s[30:31], vcc
	s_cmp_lt_i32 s6, 1
	v_lshlrev_b32_e32 v154, 4, v42
	s_barrier
	s_cbranch_scc1 .LBB30_133
; %bb.127:
	s_mul_i32 s4, s24, s33
	s_ashr_i32 s5, s4, 31
	s_lshl_b64 s[4:5], s[4:5], 4
	v_mov_b32_e32 v4, s5
	v_subrev_co_u32_e64 v155, s[4:5], s4, v36
	v_subb_co_u32_e64 v156, s[4:5], v37, v4, s[4:5]
	v_mov_b32_e32 v4, s29
	v_subrev_co_u32_e64 v5, s[4:5], s28, v40
	v_subb_co_u32_e64 v4, s[4:5], v41, v4, s[4:5]
	v_sub_co_u32_e64 v7, s[4:5], v5, v38
	v_subb_co_u32_e64 v8, s[4:5], v4, v39, s[4:5]
	v_mul_lo_u32 v4, v149, s26
	v_lshl_add_u32 v4, v4, 2, v42
	v_ashrrev_i32_e32 v5, 31, v4
	v_lshlrev_b64 v[4:5], 4, v[4:5]
	v_add_co_u32_e64 v4, s[4:5], v7, v4
	v_addc_co_u32_e64 v5, s[4:5], v8, v5, s[4:5]
	s_movk_i32 s4, 0xfe00
	v_add_co_u32_e64 v7, s[4:5], s4, v4
	v_addc_co_u32_e64 v8, s[4:5], -1, v5, s[4:5]
	v_sub_co_u32_e64 v4, s[4:5], v4, v154
	v_subbrev_co_u32_e64 v5, s[4:5], 0, v5, s[4:5]
	s_ashr_i32 s23, s22, 31
	s_lshl_b64 s[4:5], s[22:23], 4
	v_mov_b32_e32 v9, s5
	v_add_co_u32_e64 v4, s[4:5], s4, v4
	v_addc_co_u32_e64 v5, s[4:5], v5, v9, s[4:5]
	s_movk_i32 s4, 0xfdf0
	v_add_co_u32_e64 v4, s[4:5], s4, v4
	v_addc_co_u32_e64 v5, s[4:5], -1, v5, s[4:5]
	v_cndmask_b32_e32 v9, v8, v5, vcc
	v_cndmask_b32_e32 v8, v7, v4, vcc
	v_and_b32_e32 v4, 48, v42
	v_and_b32_e32 v6, 15, v42
	v_lshlrev_b32_e32 v5, 4, v4
	s_movk_i32 s8, 0x430
	v_mad_u32_u24 v159, v6, s8, v5
	v_or_b32_e32 v5, 0xf0, v154
	v_mad_u32_u24 v160, v6, s8, v5
	v_lshlrev_b32_e32 v5, 2, v43
	v_and_b32_e32 v5, 0x7ffc0, v5
	v_mad_u32_u24 v161, v6, s8, v5
	s_ashr_i32 s27, s26, 31
	v_mov_b32_e32 v5, 0x4300
	v_lshl_add_u32 v162, v149, 6, v5
	s_movk_i32 s9, 0x10c0
	v_and_b32_e32 v5, 0x1fff0, v43
	s_lshl_b64 s[10:11], s[26:27], 4
	s_mul_hi_i32 s18, s26, 0xd0
	v_mov_b32_e32 v151, 0
	s_lshl_b32 s17, s33, 6
	v_add_u32_e32 v157, 0x4300, v154
	v_add_u32_e32 v158, 0x4700, v154
	v_cmp_gt_u32_e64 s[4:5], 64, v43
	v_mad_u32_u24 v163, v149, s9, v154
	v_mad_u32_u24 v164, v6, s8, v5
	s_mul_i32 s19, s26, 0xd0
	v_or_b32_e32 v150, v4, v6
	s_mov_b32 s12, 0
	v_mov_b32_e32 v165, s11
	v_mov_b32_e32 v166, s18
	s_branch .LBB30_129
.LBB30_128:                             ;   in Loop: Header=BB30_129 Depth=1
	s_or_b64 exec, exec, s[14:15]
	v_mul_f64 v[132:133], v[6:7], v[22:23]
	v_fma_f64 v[132:133], v[4:5], v[20:21], -v[132:133]
	v_mul_f64 v[4:5], v[4:5], v[22:23]
	v_mul_f64 v[22:23], v[10:11], v[42:43]
	v_add_f64 v[0:1], v[0:1], v[132:133]
	v_fma_f64 v[22:23], v[8:9], v[40:41], -v[22:23]
	v_add_f64 v[0:1], v[0:1], v[22:23]
	v_mul_f64 v[22:23], v[14:15], v[46:47]
	v_fma_f64 v[22:23], v[12:13], v[44:45], -v[22:23]
	v_add_f64 v[0:1], v[0:1], v[22:23]
	v_mul_f64 v[22:23], v[18:19], v[50:51]
	v_fmac_f64_e32 v[4:5], v[6:7], v[20:21]
	v_fma_f64 v[22:23], v[16:17], v[48:49], -v[22:23]
	v_add_f64 v[2:3], v[2:3], v[4:5]
	v_mul_f64 v[4:5], v[26:27], v[70:71]
	v_add_f64 v[0:1], v[0:1], v[22:23]
	v_fma_f64 v[4:5], v[24:25], v[68:69], -v[4:5]
	v_add_f64 v[0:1], v[0:1], v[4:5]
	v_mul_f64 v[4:5], v[34:35], v[82:83]
	v_fma_f64 v[4:5], v[32:33], v[80:81], -v[4:5]
	v_add_f64 v[0:1], v[0:1], v[4:5]
	v_mul_f64 v[4:5], v[30:31], v[78:79]
	;; [unrolled: 3-line block ×4, first 2 shown]
	v_mul_f64 v[8:9], v[8:9], v[42:43]
	v_fma_f64 v[4:5], v[52:53], v[100:101], -v[4:5]
	v_mul_f64 v[12:13], v[12:13], v[46:47]
	v_fmac_f64_e32 v[8:9], v[10:11], v[40:41]
	v_add_f64 v[0:1], v[0:1], v[4:5]
	v_mul_f64 v[4:5], v[62:63], v[118:119]
	v_mul_f64 v[16:17], v[16:17], v[50:51]
	v_add_f64 v[2:3], v[2:3], v[8:9]
	v_fmac_f64_e32 v[12:13], v[14:15], v[44:45]
	v_fma_f64 v[4:5], v[60:61], v[116:117], -v[4:5]
	v_add_f64 v[2:3], v[2:3], v[12:13]
	v_fmac_f64_e32 v[16:17], v[18:19], v[48:49]
	v_mul_f64 v[6:7], v[24:25], v[70:71]
	v_add_f64 v[0:1], v[0:1], v[4:5]
	v_mul_f64 v[4:5], v[58:59], v[114:115]
	v_add_f64 v[2:3], v[2:3], v[16:17]
	v_mul_f64 v[8:9], v[32:33], v[82:83]
	v_fmac_f64_e32 v[6:7], v[26:27], v[68:69]
	v_fma_f64 v[4:5], v[56:57], v[112:113], -v[4:5]
	v_mul_f64 v[10:11], v[28:29], v[78:79]
	v_add_f64 v[2:3], v[2:3], v[6:7]
	v_fmac_f64_e32 v[8:9], v[34:35], v[80:81]
	v_add_f64 v[0:1], v[0:1], v[4:5]
	v_mul_f64 v[4:5], v[66:67], v[110:111]
	v_mul_f64 v[12:13], v[36:37], v[74:75]
	v_add_f64 v[2:3], v[2:3], v[8:9]
	v_fmac_f64_e32 v[10:11], v[30:31], v[76:77]
	v_fma_f64 v[4:5], v[64:65], v[108:109], -v[4:5]
	v_add_f64 v[2:3], v[2:3], v[10:11]
	v_fmac_f64_e32 v[12:13], v[38:39], v[72:73]
	v_mul_f64 v[6:7], v[52:53], v[102:103]
	v_add_f64 v[0:1], v[0:1], v[4:5]
	v_mul_f64 v[4:5], v[90:91], v[106:107]
	v_add_f64 v[2:3], v[2:3], v[12:13]
	v_mul_f64 v[8:9], v[60:61], v[118:119]
	v_fmac_f64_e32 v[6:7], v[54:55], v[100:101]
	v_fma_f64 v[4:5], v[88:89], v[104:105], -v[4:5]
	v_mul_f64 v[10:11], v[56:57], v[114:115]
	v_add_f64 v[2:3], v[2:3], v[6:7]
	v_fmac_f64_e32 v[8:9], v[62:63], v[116:117]
	v_add_f64 v[0:1], v[0:1], v[4:5]
	v_mul_f64 v[4:5], v[94:95], v[122:123]
	v_mul_f64 v[12:13], v[64:65], v[110:111]
	v_add_f64 v[2:3], v[2:3], v[8:9]
	v_fmac_f64_e32 v[10:11], v[58:59], v[112:113]
	v_fma_f64 v[4:5], v[92:93], v[120:121], -v[4:5]
	v_add_f64 v[2:3], v[2:3], v[10:11]
	v_fmac_f64_e32 v[12:13], v[66:67], v[108:109]
	v_mul_f64 v[6:7], v[88:89], v[106:107]
	v_add_f64 v[0:1], v[0:1], v[4:5]
	v_mul_f64 v[4:5], v[86:87], v[126:127]
	v_add_f64 v[2:3], v[2:3], v[12:13]
	v_mul_f64 v[8:9], v[92:93], v[122:123]
	v_fma_f64 v[4:5], v[84:85], v[124:125], -v[4:5]
	v_fmac_f64_e32 v[6:7], v[90:91], v[104:105]
	v_mul_f64 v[10:11], v[84:85], v[126:127]
	v_add_f64 v[0:1], v[0:1], v[4:5]
	v_mul_f64 v[4:5], v[98:99], v[130:131]
	v_fmac_f64_e32 v[8:9], v[94:95], v[120:121]
	v_add_f64 v[2:3], v[2:3], v[6:7]
	v_fma_f64 v[4:5], v[96:97], v[128:129], -v[4:5]
	v_mul_f64 v[12:13], v[96:97], v[130:131]
	v_fmac_f64_e32 v[10:11], v[86:87], v[124:125]
	v_add_f64 v[2:3], v[2:3], v[8:9]
	v_add_f64 v[0:1], v[0:1], v[4:5]
	v_fmac_f64_e32 v[12:13], v[98:99], v[128:129]
	v_add_f64 v[2:3], v[2:3], v[10:11]
	s_add_i32 s6, s6, -1
	s_add_i32 s12, s12, s17
	v_mov_b32_e32 v4, s18
	v_add_co_u32_e64 v8, s[8:9], s19, v152
	v_add_f64 v[2:3], v[2:3], v[12:13]
	v_add_u32_e32 v150, 64, v150
	s_cmp_eq_u32 s6, 0
	v_addc_co_u32_e64 v9, s[8:9], v153, v4, s[8:9]
	s_barrier
	s_cbranch_scc1 .LBB30_133
.LBB30_129:                             ; =>This Inner Loop Header: Depth=1
	s_and_saveexec_b64 s[14:15], s[2:3]
	s_cbranch_execz .LBB30_131
; %bb.130:                              ;   in Loop: Header=BB30_129 Depth=1
	s_ashr_i32 s13, s12, 31
	s_lshl_b64 s[8:9], s[12:13], 4
	v_mov_b32_e32 v5, s9
	v_add_co_u32_e64 v4, s[8:9], s8, v155
	v_addc_co_u32_e64 v5, s[8:9], v156, v5, s[8:9]
	global_load_dwordx4 v[4:7], v[4:5], off
	s_waitcnt vmcnt(0)
	ds_write2_b64 v157, v[4:5], v[6:7] offset1:1
.LBB30_131:                             ;   in Loop: Header=BB30_129 Depth=1
	s_or_b64 exec, exec, s[14:15]
	v_add_co_u32_e64 v12, s[8:9], s10, v8
	v_addc_co_u32_e64 v13, s[8:9], v9, v165, s[8:9]
	v_add_co_u32_e64 v16, s[8:9], s10, v12
	s_waitcnt lgkmcnt(0)
	s_barrier
	global_load_dwordx4 v[4:7], v[8:9], off
	v_addc_co_u32_e64 v17, s[8:9], v13, v165, s[8:9]
	global_load_dwordx4 v[8:11], v[12:13], off
	v_add_co_u32_e64 v28, s[8:9], s10, v16
	global_load_dwordx4 v[12:15], v[16:17], off
	v_addc_co_u32_e64 v29, s[8:9], v17, v165, s[8:9]
	global_load_dwordx4 v[16:19], v[28:29], off
	ds_read_b128 v[24:27], v158
	ds_read_b128 v[20:23], v162
	v_add_co_u32_e64 v36, s[8:9], s19, v28
	v_addc_co_u32_e64 v37, s[8:9], v29, v166, s[8:9]
	v_add_co_u32_e64 v38, s[8:9], s10, v36
	v_addc_co_u32_e64 v39, s[8:9], v37, v165, s[8:9]
	;; [unrolled: 2-line block ×3, first 2 shown]
	s_waitcnt vmcnt(3) lgkmcnt(1)
	v_mul_f64 v[28:29], v[6:7], v[26:27]
	v_mul_f64 v[30:31], v[6:7], v[24:25]
	v_fmac_f64_e32 v[28:29], v[4:5], v[24:25]
	v_fma_f64 v[30:31], v[4:5], v[26:27], -v[30:31]
	s_waitcnt vmcnt(2)
	v_mul_f64 v[32:33], v[10:11], v[26:27]
	v_mul_f64 v[34:35], v[10:11], v[24:25]
	ds_write_b128 v163, v[28:31]
	v_fmac_f64_e32 v[32:33], v[8:9], v[24:25]
	v_fma_f64 v[34:35], v[8:9], v[26:27], -v[34:35]
	s_waitcnt vmcnt(1)
	v_mul_f64 v[28:29], v[14:15], v[26:27]
	v_mul_f64 v[30:31], v[14:15], v[24:25]
	ds_read_b128 v[40:43], v162 offset:16
	ds_write_b128 v163, v[32:35] offset:1072
	v_fmac_f64_e32 v[28:29], v[12:13], v[24:25]
	v_fma_f64 v[30:31], v[12:13], v[26:27], -v[30:31]
	s_waitcnt vmcnt(0)
	v_mul_f64 v[32:33], v[18:19], v[26:27]
	v_mul_f64 v[34:35], v[18:19], v[24:25]
	ds_read_b128 v[44:47], v162 offset:32
	ds_write_b128 v163, v[28:31] offset:2144
	v_fmac_f64_e32 v[32:33], v[16:17], v[24:25]
	v_fma_f64 v[34:35], v[16:17], v[26:27], -v[34:35]
	ds_read_b128 v[48:51], v162 offset:48
	ds_write_b128 v163, v[32:35] offset:3216
	s_waitcnt lgkmcnt(0)
	s_barrier
	ds_read_b128 v[128:131], v161
	ds_read_b128 v[124:127], v161 offset:16
	ds_read_b128 v[120:123], v161 offset:32
	;; [unrolled: 1-line block ×3, first 2 shown]
	s_waitcnt lgkmcnt(0)
	s_barrier
	global_load_dwordx4 v[24:27], v[36:37], off
	global_load_dwordx4 v[32:35], v[38:39], off
	;; [unrolled: 1-line block ×3, first 2 shown]
	v_add_co_u32_e64 v52, s[8:9], s10, v52
	v_addc_co_u32_e64 v53, s[8:9], v53, v165, s[8:9]
	global_load_dwordx4 v[36:39], v[52:53], off
	v_add_co_u32_e64 v88, s[8:9], s19, v52
	v_addc_co_u32_e64 v89, s[8:9], v53, v166, s[8:9]
	ds_read_b128 v[52:55], v158
	ds_read_b128 v[68:71], v162 offset:256
	v_add_co_u32_e64 v90, s[8:9], s10, v88
	v_addc_co_u32_e64 v91, s[8:9], v89, v165, s[8:9]
	v_add_co_u32_e64 v92, s[8:9], s10, v90
	v_addc_co_u32_e64 v93, s[8:9], v91, v165, s[8:9]
	v_add_f64 v[128:129], v[128:129], 0
	v_add_f64 v[130:131], v[130:131], 0
	;; [unrolled: 1-line block ×6, first 2 shown]
	s_waitcnt vmcnt(3) lgkmcnt(1)
	v_mul_f64 v[56:57], v[26:27], v[54:55]
	v_mul_f64 v[58:59], v[26:27], v[52:53]
	s_waitcnt vmcnt(2)
	v_mul_f64 v[60:61], v[34:35], v[54:55]
	v_mul_f64 v[62:63], v[34:35], v[52:53]
	v_fmac_f64_e32 v[56:57], v[24:25], v[52:53]
	v_fma_f64 v[58:59], v[24:25], v[54:55], -v[58:59]
	s_waitcnt vmcnt(1)
	v_mul_f64 v[64:65], v[30:31], v[54:55]
	v_mul_f64 v[66:67], v[30:31], v[52:53]
	v_fmac_f64_e32 v[60:61], v[32:33], v[52:53]
	v_fma_f64 v[62:63], v[32:33], v[54:55], -v[62:63]
	ds_write_b128 v163, v[56:59]
	s_waitcnt vmcnt(0)
	v_mul_f64 v[84:85], v[38:39], v[54:55]
	v_mul_f64 v[72:73], v[38:39], v[52:53]
	v_fmac_f64_e32 v[64:65], v[28:29], v[52:53]
	v_fma_f64 v[66:67], v[28:29], v[54:55], -v[66:67]
	ds_read_b128 v[80:83], v162 offset:272
	ds_write_b128 v163, v[60:63] offset:1072
	v_fmac_f64_e32 v[84:85], v[36:37], v[52:53]
	v_fma_f64 v[86:87], v[36:37], v[54:55], -v[72:73]
	ds_read_b128 v[76:79], v162 offset:288
	ds_write_b128 v163, v[64:67] offset:2144
	ds_read_b128 v[72:75], v162 offset:304
	ds_write_b128 v163, v[84:87] offset:3216
	v_add_co_u32_e64 v84, s[8:9], s10, v92
	s_waitcnt lgkmcnt(0)
	s_barrier
	ds_read_b128 v[144:147], v161
	ds_read_b128 v[140:143], v161 offset:16
	ds_read_b128 v[136:139], v161 offset:32
	;; [unrolled: 1-line block ×3, first 2 shown]
	s_waitcnt lgkmcnt(0)
	s_barrier
	global_load_dwordx4 v[52:55], v[88:89], off
	global_load_dwordx4 v[60:63], v[90:91], off
	;; [unrolled: 1-line block ×3, first 2 shown]
	v_addc_co_u32_e64 v85, s[8:9], v93, v165, s[8:9]
	global_load_dwordx4 v[64:67], v[84:85], off
	v_add_co_u32_e64 v152, s[8:9], s19, v84
	v_addc_co_u32_e64 v153, s[8:9], v85, v166, s[8:9]
	ds_read_b128 v[84:87], v158
	ds_read_b128 v[100:103], v162 offset:512
	v_add_co_u32_e64 v184, s[8:9], s10, v152
	v_addc_co_u32_e64 v185, s[8:9], v153, v165, s[8:9]
	v_add_co_u32_e64 v186, s[8:9], s10, v184
	v_addc_co_u32_e64 v187, s[8:9], v185, v165, s[8:9]
	s_waitcnt vmcnt(3) lgkmcnt(1)
	v_mul_f64 v[88:89], v[54:55], v[86:87]
	v_mul_f64 v[90:91], v[54:55], v[84:85]
	s_waitcnt vmcnt(2)
	v_mul_f64 v[92:93], v[62:63], v[86:87]
	v_mul_f64 v[94:95], v[62:63], v[84:85]
	v_fmac_f64_e32 v[88:89], v[52:53], v[84:85]
	v_fma_f64 v[90:91], v[52:53], v[86:87], -v[90:91]
	s_waitcnt vmcnt(1)
	v_mul_f64 v[96:97], v[58:59], v[86:87]
	v_mul_f64 v[98:99], v[58:59], v[84:85]
	v_fmac_f64_e32 v[92:93], v[60:61], v[84:85]
	v_fma_f64 v[94:95], v[60:61], v[86:87], -v[94:95]
	ds_write_b128 v163, v[88:91]
	s_waitcnt vmcnt(0)
	v_mul_f64 v[168:169], v[66:67], v[86:87]
	v_mul_f64 v[108:109], v[66:67], v[84:85]
	v_fmac_f64_e32 v[96:97], v[56:57], v[84:85]
	v_fma_f64 v[98:99], v[56:57], v[86:87], -v[98:99]
	ds_read_b128 v[116:119], v162 offset:528
	ds_write_b128 v163, v[92:95] offset:1072
	v_fmac_f64_e32 v[168:169], v[64:65], v[84:85]
	v_fma_f64 v[170:171], v[64:65], v[86:87], -v[108:109]
	ds_read_b128 v[112:115], v162 offset:544
	ds_write_b128 v163, v[96:99] offset:2144
	ds_read_b128 v[108:111], v162 offset:560
	ds_write_b128 v163, v[168:171] offset:3216
	s_waitcnt lgkmcnt(0)
	s_barrier
	ds_read_b128 v[168:171], v161
	ds_read_b128 v[172:175], v161 offset:16
	ds_read_b128 v[176:179], v161 offset:32
	;; [unrolled: 1-line block ×3, first 2 shown]
	s_waitcnt lgkmcnt(0)
	s_barrier
	global_load_dwordx4 v[88:91], v[152:153], off
	global_load_dwordx4 v[92:95], v[184:185], off
	;; [unrolled: 1-line block ×3, first 2 shown]
	v_add_co_u32_e64 v152, s[8:9], s10, v186
	v_addc_co_u32_e64 v153, s[8:9], v187, v165, s[8:9]
	global_load_dwordx4 v[96:99], v[152:153], off
	v_add_f64 v[184:185], v[120:121], v[104:105]
	v_add_f64 v[186:187], v[122:123], v[106:107]
	;; [unrolled: 1-line block ×10, first 2 shown]
	ds_read_b128 v[120:123], v158
	ds_read_b128 v[104:107], v162 offset:768
	v_add_f64 v[124:125], v[168:169], 0
	v_add_f64 v[126:127], v[170:171], 0
	;; [unrolled: 1-line block ×8, first 2 shown]
	s_waitcnt vmcnt(3) lgkmcnt(1)
	v_mul_f64 v[124:125], v[90:91], v[122:123]
	v_mul_f64 v[126:127], v[90:91], v[120:121]
	s_waitcnt vmcnt(2)
	v_mul_f64 v[128:129], v[94:95], v[122:123]
	v_mul_f64 v[130:131], v[94:95], v[120:121]
	v_fma_f64 v[126:127], v[88:89], v[122:123], -v[126:127]
	v_fmac_f64_e32 v[124:125], v[88:89], v[120:121]
	s_waitcnt vmcnt(1)
	v_mul_f64 v[140:141], v[86:87], v[122:123]
	v_mul_f64 v[142:143], v[86:87], v[120:121]
	s_waitcnt vmcnt(0)
	v_mul_f64 v[146:147], v[98:99], v[120:121]
	v_mul_f64 v[144:145], v[98:99], v[122:123]
	v_fma_f64 v[130:131], v[92:93], v[122:123], -v[130:131]
	v_fmac_f64_e32 v[128:129], v[92:93], v[120:121]
	ds_write_b128 v163, v[124:127]
	v_fma_f64 v[142:143], v[84:85], v[122:123], -v[142:143]
	v_fma_f64 v[146:147], v[96:97], v[122:123], -v[146:147]
	v_fmac_f64_e32 v[140:141], v[84:85], v[120:121]
	v_fmac_f64_e32 v[144:145], v[96:97], v[120:121]
	ds_read_b128 v[120:123], v162 offset:784
	ds_write_b128 v163, v[128:131] offset:1072
	ds_read_b128 v[124:127], v162 offset:800
	ds_write_b128 v163, v[140:143] offset:2144
	;; [unrolled: 2-line block ×3, first 2 shown]
	s_waitcnt lgkmcnt(0)
	s_barrier
	ds_read_b128 v[140:143], v161
	ds_read_b128 v[144:147], v161 offset:16
	ds_read_b128 v[168:171], v161 offset:32
	;; [unrolled: 1-line block ×3, first 2 shown]
	s_waitcnt lgkmcnt(0)
	s_barrier
	ds_write_b128 v164, v[184:187]
	ds_write_b128 v164, v[132:135] offset:256
	ds_write_b128 v164, v[136:139] offset:512
	v_add_f64 v[132:133], v[140:141], 0
	v_add_f64 v[134:135], v[142:143], 0
	;; [unrolled: 1-line block ×8, first 2 shown]
	ds_write_b128 v164, v[132:135] offset:768
	s_waitcnt lgkmcnt(0)
	s_barrier
	s_and_saveexec_b64 s[14:15], s[4:5]
	s_cbranch_execz .LBB30_128
; %bb.132:                              ;   in Loop: Header=BB30_129 Depth=1
	ds_read_b128 v[132:135], v159
	ds_read_b128 v[136:139], v159 offset:16
	ds_read_b128 v[140:143], v159 offset:32
	;; [unrolled: 1-line block ×3, first 2 shown]
	s_waitcnt lgkmcnt(2)
	v_add_f64 v[132:133], v[136:137], v[132:133]
	v_add_f64 v[136:137], v[138:139], v[134:135]
	s_waitcnt lgkmcnt(1)
	v_add_f64 v[138:139], v[132:133], v[140:141]
	ds_read_b128 v[132:135], v159 offset:64
	v_add_f64 v[140:141], v[136:137], v[142:143]
	s_waitcnt lgkmcnt(1)
	v_add_f64 v[142:143], v[138:139], v[144:145]
	ds_read_b128 v[136:139], v159 offset:80
	v_add_f64 v[144:145], v[140:141], v[146:147]
	s_waitcnt lgkmcnt(1)
	v_add_f64 v[132:133], v[142:143], v[132:133]
	ds_read_b128 v[140:143], v159 offset:96
	v_add_f64 v[144:145], v[144:145], v[134:135]
	s_waitcnt lgkmcnt(1)
	v_add_f64 v[136:137], v[132:133], v[136:137]
	ds_read_b128 v[132:135], v159 offset:112
	v_add_f64 v[144:145], v[144:145], v[138:139]
	s_waitcnt lgkmcnt(1)
	v_add_f64 v[140:141], v[136:137], v[140:141]
	ds_read_b128 v[136:139], v159 offset:128
	v_add_f64 v[144:145], v[144:145], v[142:143]
	s_waitcnt lgkmcnt(1)
	v_add_f64 v[132:133], v[140:141], v[132:133]
	ds_read_b128 v[140:143], v159 offset:144
	v_add_f64 v[144:145], v[144:145], v[134:135]
	s_waitcnt lgkmcnt(1)
	v_add_f64 v[136:137], v[132:133], v[136:137]
	ds_read_b128 v[132:135], v159 offset:160
	v_add_f64 v[144:145], v[144:145], v[138:139]
	s_waitcnt lgkmcnt(1)
	v_add_f64 v[140:141], v[136:137], v[140:141]
	ds_read_b128 v[136:139], v159 offset:176
	v_add_f64 v[144:145], v[144:145], v[142:143]
	s_waitcnt lgkmcnt(1)
	v_add_f64 v[132:133], v[140:141], v[132:133]
	ds_read_b128 v[140:143], v159 offset:192
	v_add_f64 v[134:135], v[144:145], v[134:135]
	s_waitcnt lgkmcnt(1)
	v_add_f64 v[136:137], v[132:133], v[136:137]
	v_add_f64 v[144:145], v[134:135], v[138:139]
	ds_read_b128 v[132:135], v159 offset:208
	s_waitcnt lgkmcnt(1)
	v_add_f64 v[146:147], v[136:137], v[140:141]
	ds_read_b128 v[136:139], v159 offset:224
	v_add_f64 v[144:145], v[144:145], v[142:143]
	ds_read_b128 v[140:143], v160
	s_waitcnt lgkmcnt(2)
	v_add_f64 v[132:133], v[146:147], v[132:133]
	v_add_f64 v[134:135], v[144:145], v[134:135]
	s_waitcnt lgkmcnt(1)
	v_add_f64 v[132:133], v[132:133], v[136:137]
	v_lshlrev_b64 v[136:137], 4, v[150:151]
	v_add_f64 v[134:135], v[134:135], v[138:139]
	v_mov_b32_e32 v138, s16
	v_add_co_u32_e64 v136, s[8:9], s7, v136
	s_waitcnt lgkmcnt(0)
	v_add_f64 v[132:133], v[132:133], v[140:141]
	v_add_f64 v[134:135], v[134:135], v[142:143]
	v_addc_co_u32_e64 v137, s[8:9], v138, v137, s[8:9]
	global_store_dwordx4 v[136:137], v[132:135], off
	s_branch .LBB30_128
.LBB30_133:
	s_movk_i32 s2, 0x430
	s_or_b64 s[0:1], s[0:1], vcc
	v_mad_u32_u24 v4, v149, s2, v154
	s_xor_b64 s[0:1], s[0:1], -1
	ds_write_b128 v4, v[0:3]
	s_waitcnt lgkmcnt(0)
	s_barrier
	s_and_saveexec_b64 s[2:3], s[0:1]
	s_cbranch_execz .LBB30_135
; %bb.134:
	ds_read_b128 v[0:3], v154 offset:1072
	ds_read_b128 v[4:7], v154
	ds_read_b128 v[8:11], v154 offset:2144
	ds_read_b128 v[12:15], v154 offset:3216
	v_ashrrev_i32_e32 v149, 31, v148
	s_waitcnt lgkmcnt(2)
	v_add_f64 v[0:1], v[0:1], v[4:5]
	v_add_f64 v[2:3], v[2:3], v[6:7]
	v_lshlrev_b64 v[4:5], 4, v[148:149]
	s_waitcnt lgkmcnt(1)
	v_add_f64 v[0:1], v[0:1], v[8:9]
	v_add_f64 v[2:3], v[2:3], v[10:11]
	v_mov_b32_e32 v6, s16
	v_add_co_u32_e32 v4, vcc, s7, v4
	s_waitcnt lgkmcnt(0)
	v_add_f64 v[0:1], v[0:1], v[12:13]
	v_add_f64 v[2:3], v[2:3], v[14:15]
	v_addc_co_u32_e32 v5, vcc, v6, v5, vcc
	global_store_dwordx4 v[4:5], v[0:3], off
.LBB30_135:
	s_endpgm
	.section	.rodata,"a",@progbits
	.p2align	6, 0x0
	.amdhsa_kernel _ZL26rocblas_hemvn_kernel_lowerILb1ELi64ELi4ELi33ELi32ELi16Ei19rocblas_complex_numIdEPKS1_PS1_EviT6_lT7_lT5_lS6_lS7_lS5_lT8_i
		.amdhsa_group_segment_fixed_size 19200
		.amdhsa_private_segment_fixed_size 0
		.amdhsa_kernarg_size 392
		.amdhsa_user_sgpr_count 6
		.amdhsa_user_sgpr_private_segment_buffer 1
		.amdhsa_user_sgpr_dispatch_ptr 0
		.amdhsa_user_sgpr_queue_ptr 0
		.amdhsa_user_sgpr_kernarg_segment_ptr 1
		.amdhsa_user_sgpr_dispatch_id 0
		.amdhsa_user_sgpr_flat_scratch_init 0
		.amdhsa_user_sgpr_kernarg_preload_length 0
		.amdhsa_user_sgpr_kernarg_preload_offset 0
		.amdhsa_user_sgpr_private_segment_size 0
		.amdhsa_uses_dynamic_stack 0
		.amdhsa_system_sgpr_private_segment_wavefront_offset 0
		.amdhsa_system_sgpr_workgroup_id_x 1
		.amdhsa_system_sgpr_workgroup_id_y 0
		.amdhsa_system_sgpr_workgroup_id_z 1
		.amdhsa_system_sgpr_workgroup_info 0
		.amdhsa_system_vgpr_workitem_id 1
		.amdhsa_next_free_vgpr 188
		.amdhsa_next_free_sgpr 46
		.amdhsa_accum_offset 188
		.amdhsa_reserve_vcc 1
		.amdhsa_reserve_flat_scratch 0
		.amdhsa_float_round_mode_32 0
		.amdhsa_float_round_mode_16_64 0
		.amdhsa_float_denorm_mode_32 3
		.amdhsa_float_denorm_mode_16_64 3
		.amdhsa_dx10_clamp 1
		.amdhsa_ieee_mode 1
		.amdhsa_fp16_overflow 0
		.amdhsa_tg_split 0
		.amdhsa_exception_fp_ieee_invalid_op 0
		.amdhsa_exception_fp_denorm_src 0
		.amdhsa_exception_fp_ieee_div_zero 0
		.amdhsa_exception_fp_ieee_overflow 0
		.amdhsa_exception_fp_ieee_underflow 0
		.amdhsa_exception_fp_ieee_inexact 0
		.amdhsa_exception_int_div_zero 0
	.end_amdhsa_kernel
	.section	.text._ZL26rocblas_hemvn_kernel_lowerILb1ELi64ELi4ELi33ELi32ELi16Ei19rocblas_complex_numIdEPKS1_PS1_EviT6_lT7_lT5_lS6_lS7_lS5_lT8_i,"axG",@progbits,_ZL26rocblas_hemvn_kernel_lowerILb1ELi64ELi4ELi33ELi32ELi16Ei19rocblas_complex_numIdEPKS1_PS1_EviT6_lT7_lT5_lS6_lS7_lS5_lT8_i,comdat
.Lfunc_end30:
	.size	_ZL26rocblas_hemvn_kernel_lowerILb1ELi64ELi4ELi33ELi32ELi16Ei19rocblas_complex_numIdEPKS1_PS1_EviT6_lT7_lT5_lS6_lS7_lS5_lT8_i, .Lfunc_end30-_ZL26rocblas_hemvn_kernel_lowerILb1ELi64ELi4ELi33ELi32ELi16Ei19rocblas_complex_numIdEPKS1_PS1_EviT6_lT7_lT5_lS6_lS7_lS5_lT8_i
                                        ; -- End function
	.section	.AMDGPU.csdata,"",@progbits
; Kernel info:
; codeLenInByte = 9724
; NumSgprs: 50
; NumVgprs: 188
; NumAgprs: 0
; TotalNumVgprs: 188
; ScratchSize: 0
; MemoryBound: 0
; FloatMode: 240
; IeeeMode: 1
; LDSByteSize: 19200 bytes/workgroup (compile time only)
; SGPRBlocks: 6
; VGPRBlocks: 23
; NumSGPRsForWavesPerEU: 50
; NumVGPRsForWavesPerEU: 188
; AccumOffset: 188
; Occupancy: 2
; WaveLimiterHint : 1
; COMPUTE_PGM_RSRC2:SCRATCH_EN: 0
; COMPUTE_PGM_RSRC2:USER_SGPR: 6
; COMPUTE_PGM_RSRC2:TRAP_HANDLER: 0
; COMPUTE_PGM_RSRC2:TGID_X_EN: 1
; COMPUTE_PGM_RSRC2:TGID_Y_EN: 0
; COMPUTE_PGM_RSRC2:TGID_Z_EN: 1
; COMPUTE_PGM_RSRC2:TIDIG_COMP_CNT: 1
; COMPUTE_PGM_RSRC3_GFX90A:ACCUM_OFFSET: 46
; COMPUTE_PGM_RSRC3_GFX90A:TG_SPLIT: 0
	.section	.text._ZL36rocblas_hemvn_kernel_lower_block_sumILi64Ei19rocblas_complex_numIdEPS1_S1_EviT1_lS3_lT2_lT0_lPT3_i,"axG",@progbits,_ZL36rocblas_hemvn_kernel_lower_block_sumILi64Ei19rocblas_complex_numIdEPS1_S1_EviT1_lS3_lT2_lT0_lPT3_i,comdat
	.globl	_ZL36rocblas_hemvn_kernel_lower_block_sumILi64Ei19rocblas_complex_numIdEPS1_S1_EviT1_lS3_lT2_lT0_lPT3_i ; -- Begin function _ZL36rocblas_hemvn_kernel_lower_block_sumILi64Ei19rocblas_complex_numIdEPS1_S1_EviT1_lS3_lT2_lT0_lPT3_i
	.p2align	8
	.type	_ZL36rocblas_hemvn_kernel_lower_block_sumILi64Ei19rocblas_complex_numIdEPS1_S1_EviT1_lS3_lT2_lT0_lPT3_i,@function
_ZL36rocblas_hemvn_kernel_lower_block_sumILi64Ei19rocblas_complex_numIdEPS1_S1_EviT1_lS3_lT2_lT0_lPT3_i: ; @_ZL36rocblas_hemvn_kernel_lower_block_sumILi64Ei19rocblas_complex_numIdEPS1_S1_EviT1_lS3_lT2_lT0_lPT3_i
; %bb.0:
	s_load_dwordx4 s[12:15], s[4:5], 0x8
	s_load_dwordx4 s[8:11], s[4:5], 0x20
	s_waitcnt lgkmcnt(0)
	v_cmp_neq_f64_e64 s[0:1], s[12:13], 0
	v_cmp_neq_f64_e64 s[2:3], s[14:15], 0
	s_or_b64 s[0:1], s[0:1], s[2:3]
	s_mov_b64 s[2:3], -1
	s_and_b64 vcc, exec, s[0:1]
	s_cbranch_vccnz .LBB31_2
; %bb.1:
	v_cmp_neq_f64_e64 s[2:3], s[8:9], 1.0
	v_cmp_neq_f64_e64 s[16:17], s[10:11], 0
	s_or_b64 s[2:3], s[2:3], s[16:17]
.LBB31_2:
	s_andn2_b64 vcc, exec, s[2:3]
	s_cbranch_vccnz .LBB31_22
; %bb.3:
	s_load_dwordx2 s[2:3], s[4:5], 0x50
	s_load_dword s24, s[4:5], 0x48
	s_load_dwordx4 s[20:23], s[4:5], 0x38
	s_load_dword s16, s[4:5], 0x0
	s_xor_b64 s[0:1], s[0:1], -1
	s_waitcnt lgkmcnt(0)
	s_mul_i32 s3, s7, s3
	s_mul_hi_u32 s17, s7, s2
	s_add_i32 s3, s17, s3
	s_mul_i32 s2, s7, s2
	s_lshl_b64 s[2:3], s[2:3], 4
	s_add_u32 s17, s20, s2
	s_addc_u32 s18, s21, s3
	s_lshl_b64 s[2:3], s[22:23], 4
	s_add_u32 s22, s17, s2
	v_lshl_or_b32 v8, s6, 6, v0
	s_addc_u32 s23, s18, s3
	s_andn2_b64 vcc, exec, s[0:1]
	v_cmp_gt_i32_e64 s[0:1], s16, v8
	s_cbranch_vccnz .LBB31_8
; %bb.4:
	s_mov_b64 s[18:19], 0
	s_mov_b64 s[2:3], 0
                                        ; implicit-def: $vgpr2_vgpr3
                                        ; implicit-def: $vgpr4_vgpr5
	s_and_saveexec_b64 s[20:21], s[0:1]
	s_cbranch_execz .LBB31_9
; %bb.5:
	v_cmp_neq_f64_e64 s[0:1], s[8:9], 0
	v_cmp_neq_f64_e64 s[2:3], s[10:11], 0
	v_pk_mov_b32 v[2:3], 0, 0
	v_mul_lo_u32 v4, v8, s24
	s_or_b64 s[0:1], s[0:1], s[2:3]
	v_ashrrev_i32_e32 v5, 31, v4
	s_andn2_b64 vcc, exec, s[0:1]
	v_pk_mov_b32 v[0:1], v[2:3], v[2:3] op_sel:[0,1]
	s_cbranch_vccnz .LBB31_7
; %bb.6:
	v_lshlrev_b64 v[0:1], 4, v[4:5]
	v_mov_b32_e32 v2, s23
	v_add_co_u32_e32 v0, vcc, s22, v0
	v_addc_co_u32_e32 v1, vcc, v2, v1, vcc
	global_load_dwordx4 v[10:13], v[0:1], off
	s_waitcnt vmcnt(0)
	v_mul_f64 v[0:1], s[10:11], v[12:13]
	v_mul_f64 v[2:3], s[8:9], v[12:13]
	v_fma_f64 v[0:1], s[8:9], v[10:11], -v[0:1]
	v_fmac_f64_e32 v[2:3], s[10:11], v[10:11]
.LBB31_7:
	s_mov_b64 s[2:3], exec
	s_or_b64 exec, exec, s[20:21]
	s_and_b64 vcc, exec, s[18:19]
	s_cbranch_vccnz .LBB31_10
	s_branch .LBB31_20
.LBB31_8:
	s_mov_b64 s[2:3], 0
                                        ; implicit-def: $vgpr2_vgpr3
                                        ; implicit-def: $vgpr4_vgpr5
	s_cbranch_execnz .LBB31_10
	s_branch .LBB31_20
.LBB31_9:
	s_or_b64 exec, exec, s[20:21]
	s_and_b64 vcc, exec, s[18:19]
	s_cbranch_vccz .LBB31_20
.LBB31_10:
	v_cmp_gt_i32_e32 vcc, s16, v8
                                        ; implicit-def: $vgpr2_vgpr3
                                        ; implicit-def: $vgpr4_vgpr5
	s_and_saveexec_b64 s[0:1], vcc
	s_cbranch_execz .LBB31_19
; %bb.11:
	s_load_dword s18, s[4:5], 0x68
	v_pk_mov_b32 v[0:1], 0, 0
	v_pk_mov_b32 v[6:7], v[0:1], v[0:1] op_sel:[0,1]
	s_waitcnt lgkmcnt(0)
	s_cmp_ge_i32 s6, s18
	s_cbranch_scc1 .LBB31_14
; %bb.12:
	s_ashr_i32 s17, s16, 31
	s_mul_i32 s19, s6, s16
	s_load_dwordx2 s[4:5], s[4:5], 0x58
	v_add_u32_e32 v0, s19, v8
	s_mul_hi_u32 s19, s16, s7
	s_mul_i32 s20, s17, s7
	s_add_i32 s19, s19, s20
	s_mul_i32 s7, s16, s7
	s_mul_i32 s19, s19, s18
	s_mul_hi_u32 s20, s7, s18
	s_add_i32 s21, s20, s19
	s_mul_i32 s20, s7, s18
	s_lshl_b64 s[20:21], s[20:21], 4
	v_ashrrev_i32_e32 v1, 31, v0
	s_waitcnt lgkmcnt(0)
	s_add_u32 s4, s4, s20
	v_lshlrev_b64 v[0:1], 4, v[0:1]
	s_addc_u32 s5, s5, s21
	v_mov_b32_e32 v2, s5
	v_add_co_u32_e32 v0, vcc, s4, v0
	v_addc_co_u32_e32 v1, vcc, v2, v1, vcc
	v_add_co_u32_e32 v2, vcc, 8, v0
	v_addc_co_u32_e32 v3, vcc, 0, v1, vcc
	s_lshl_b64 s[4:5], s[16:17], 4
	v_pk_mov_b32 v[0:1], 0, 0
	v_mov_b32_e32 v4, s5
	v_pk_mov_b32 v[6:7], v[0:1], v[0:1] op_sel:[0,1]
.LBB31_13:                              ; =>This Inner Loop Header: Depth=1
	global_load_dwordx4 v[10:13], v[2:3], off offset:-8
	s_add_i32 s6, s6, 1
	v_add_co_u32_e32 v2, vcc, s4, v2
	v_addc_co_u32_e32 v3, vcc, v3, v4, vcc
	s_cmp_ge_i32 s6, s18
	s_waitcnt vmcnt(0)
	v_add_f64 v[6:7], v[6:7], v[10:11]
	v_add_f64 v[0:1], v[0:1], v[12:13]
	s_cbranch_scc0 .LBB31_13
.LBB31_14:
	v_cmp_neq_f64_e64 s[6:7], s[8:9], 0
	v_cmp_neq_f64_e64 s[16:17], s[10:11], 0
	s_or_b64 s[6:7], s[6:7], s[16:17]
	v_mul_f64 v[10:11], s[14:15], v[0:1]
	v_mul_f64 v[2:3], s[12:13], v[0:1]
	v_mul_lo_u32 v4, v8, s24
	s_mov_b64 s[4:5], 0
	s_andn2_b64 vcc, exec, s[6:7]
	v_fma_f64 v[0:1], s[12:13], v[6:7], -v[10:11]
	v_fmac_f64_e32 v[2:3], s[14:15], v[6:7]
	v_ashrrev_i32_e32 v5, 31, v4
	s_cbranch_vccnz .LBB31_16
; %bb.15:
	s_mov_b64 s[4:5], -1
.LBB31_16:
	s_andn2_b64 vcc, exec, s[4:5]
	s_cbranch_vccnz .LBB31_18
; %bb.17:
	v_lshlrev_b64 v[6:7], 4, v[4:5]
	v_mov_b32_e32 v8, s23
	v_add_co_u32_e32 v6, vcc, s22, v6
	v_addc_co_u32_e32 v7, vcc, v8, v7, vcc
	global_load_dwordx4 v[6:9], v[6:7], off
	s_waitcnt vmcnt(0)
	v_mul_f64 v[10:11], s[10:11], v[8:9]
	v_mul_f64 v[8:9], s[8:9], v[8:9]
	v_fma_f64 v[10:11], s[8:9], v[6:7], -v[10:11]
	v_fmac_f64_e32 v[8:9], s[10:11], v[6:7]
	v_add_f64 v[0:1], v[0:1], v[10:11]
	v_add_f64 v[2:3], v[2:3], v[8:9]
.LBB31_18:
	s_or_b64 s[2:3], s[2:3], exec
.LBB31_19:
	s_or_b64 exec, exec, s[0:1]
.LBB31_20:
	s_and_saveexec_b64 s[0:1], s[2:3]
	s_cbranch_execz .LBB31_22
; %bb.21:
	v_lshlrev_b64 v[4:5], 4, v[4:5]
	v_mov_b32_e32 v6, s23
	v_add_co_u32_e32 v4, vcc, s22, v4
	v_addc_co_u32_e32 v5, vcc, v6, v5, vcc
	global_store_dwordx4 v[4:5], v[0:3], off
.LBB31_22:
	s_endpgm
	.section	.rodata,"a",@progbits
	.p2align	6, 0x0
	.amdhsa_kernel _ZL36rocblas_hemvn_kernel_lower_block_sumILi64Ei19rocblas_complex_numIdEPS1_S1_EviT1_lS3_lT2_lT0_lPT3_i
		.amdhsa_group_segment_fixed_size 0
		.amdhsa_private_segment_fixed_size 0
		.amdhsa_kernarg_size 360
		.amdhsa_user_sgpr_count 6
		.amdhsa_user_sgpr_private_segment_buffer 1
		.amdhsa_user_sgpr_dispatch_ptr 0
		.amdhsa_user_sgpr_queue_ptr 0
		.amdhsa_user_sgpr_kernarg_segment_ptr 1
		.amdhsa_user_sgpr_dispatch_id 0
		.amdhsa_user_sgpr_flat_scratch_init 0
		.amdhsa_user_sgpr_kernarg_preload_length 0
		.amdhsa_user_sgpr_kernarg_preload_offset 0
		.amdhsa_user_sgpr_private_segment_size 0
		.amdhsa_uses_dynamic_stack 0
		.amdhsa_system_sgpr_private_segment_wavefront_offset 0
		.amdhsa_system_sgpr_workgroup_id_x 1
		.amdhsa_system_sgpr_workgroup_id_y 0
		.amdhsa_system_sgpr_workgroup_id_z 1
		.amdhsa_system_sgpr_workgroup_info 0
		.amdhsa_system_vgpr_workitem_id 0
		.amdhsa_next_free_vgpr 14
		.amdhsa_next_free_sgpr 25
		.amdhsa_accum_offset 16
		.amdhsa_reserve_vcc 1
		.amdhsa_reserve_flat_scratch 0
		.amdhsa_float_round_mode_32 0
		.amdhsa_float_round_mode_16_64 0
		.amdhsa_float_denorm_mode_32 3
		.amdhsa_float_denorm_mode_16_64 3
		.amdhsa_dx10_clamp 1
		.amdhsa_ieee_mode 1
		.amdhsa_fp16_overflow 0
		.amdhsa_tg_split 0
		.amdhsa_exception_fp_ieee_invalid_op 0
		.amdhsa_exception_fp_denorm_src 0
		.amdhsa_exception_fp_ieee_div_zero 0
		.amdhsa_exception_fp_ieee_overflow 0
		.amdhsa_exception_fp_ieee_underflow 0
		.amdhsa_exception_fp_ieee_inexact 0
		.amdhsa_exception_int_div_zero 0
	.end_amdhsa_kernel
	.section	.text._ZL36rocblas_hemvn_kernel_lower_block_sumILi64Ei19rocblas_complex_numIdEPS1_S1_EviT1_lS3_lT2_lT0_lPT3_i,"axG",@progbits,_ZL36rocblas_hemvn_kernel_lower_block_sumILi64Ei19rocblas_complex_numIdEPS1_S1_EviT1_lS3_lT2_lT0_lPT3_i,comdat
.Lfunc_end31:
	.size	_ZL36rocblas_hemvn_kernel_lower_block_sumILi64Ei19rocblas_complex_numIdEPS1_S1_EviT1_lS3_lT2_lT0_lPT3_i, .Lfunc_end31-_ZL36rocblas_hemvn_kernel_lower_block_sumILi64Ei19rocblas_complex_numIdEPS1_S1_EviT1_lS3_lT2_lT0_lPT3_i
                                        ; -- End function
	.section	.AMDGPU.csdata,"",@progbits
; Kernel info:
; codeLenInByte = 788
; NumSgprs: 29
; NumVgprs: 14
; NumAgprs: 0
; TotalNumVgprs: 14
; ScratchSize: 0
; MemoryBound: 0
; FloatMode: 240
; IeeeMode: 1
; LDSByteSize: 0 bytes/workgroup (compile time only)
; SGPRBlocks: 3
; VGPRBlocks: 1
; NumSGPRsForWavesPerEU: 29
; NumVGPRsForWavesPerEU: 14
; AccumOffset: 16
; Occupancy: 8
; WaveLimiterHint : 0
; COMPUTE_PGM_RSRC2:SCRATCH_EN: 0
; COMPUTE_PGM_RSRC2:USER_SGPR: 6
; COMPUTE_PGM_RSRC2:TRAP_HANDLER: 0
; COMPUTE_PGM_RSRC2:TGID_X_EN: 1
; COMPUTE_PGM_RSRC2:TGID_Y_EN: 0
; COMPUTE_PGM_RSRC2:TGID_Z_EN: 1
; COMPUTE_PGM_RSRC2:TIDIG_COMP_CNT: 0
; COMPUTE_PGM_RSRC3_GFX90A:ACCUM_OFFSET: 3
; COMPUTE_PGM_RSRC3_GFX90A:TG_SPLIT: 0
	.section	.text._ZL26rocblas_hemvn_kernel_upperILb1ELi64ELi4ELi33ELi32ELi16ElPK19rocblas_complex_numIfEPKS3_PS1_EviT6_lT7_lT5_lS8_lS9_lS7_lT8_i,"axG",@progbits,_ZL26rocblas_hemvn_kernel_upperILb1ELi64ELi4ELi33ELi32ELi16ElPK19rocblas_complex_numIfEPKS3_PS1_EviT6_lT7_lT5_lS8_lS9_lS7_lT8_i,comdat
	.globl	_ZL26rocblas_hemvn_kernel_upperILb1ELi64ELi4ELi33ELi32ELi16ElPK19rocblas_complex_numIfEPKS3_PS1_EviT6_lT7_lT5_lS8_lS9_lS7_lT8_i ; -- Begin function _ZL26rocblas_hemvn_kernel_upperILb1ELi64ELi4ELi33ELi32ELi16ElPK19rocblas_complex_numIfEPKS3_PS1_EviT6_lT7_lT5_lS8_lS9_lS7_lT8_i
	.p2align	8
	.type	_ZL26rocblas_hemvn_kernel_upperILb1ELi64ELi4ELi33ELi32ELi16ElPK19rocblas_complex_numIfEPKS3_PS1_EviT6_lT7_lT5_lS8_lS9_lS7_lT8_i,@function
_ZL26rocblas_hemvn_kernel_upperILb1ELi64ELi4ELi33ELi32ELi16ElPK19rocblas_complex_numIfEPKS3_PS1_EviT6_lT7_lT5_lS8_lS9_lS7_lT8_i: ; @_ZL26rocblas_hemvn_kernel_upperILb1ELi64ELi4ELi33ELi32ELi16ElPK19rocblas_complex_numIfEPKS3_PS1_EviT6_lT7_lT5_lS8_lS9_lS7_lT8_i
; %bb.0:
	s_load_dwordx2 s[0:1], s[4:5], 0x84
	s_add_u32 s18, s4, 0x78
	s_addc_u32 s19, s5, 0
	s_waitcnt lgkmcnt(0)
	s_lshr_b32 s2, s0, 16
	s_and_b32 s0, s0, 0xffff
	s_and_b32 s1, s1, 0xffff
	s_mul_i32 s0, s2, s0
	s_mul_i32 s0, s0, s1
	s_cmpk_lg_i32 s0, 0x100
	s_cbranch_scc1 .LBB32_186
; %bb.1:
	s_load_dwordx8 s[8:15], s[4:5], 0x8
	s_mov_b32 s26, s7
	s_mov_b32 s27, 0
	s_waitcnt lgkmcnt(0)
	s_mul_i32 s0, s7, s11
	s_mul_hi_u32 s1, s7, s10
	s_add_i32 s1, s1, s0
	s_mul_i32 s0, s7, s10
	s_lshl_b64 s[0:1], s[0:1], 3
	s_add_u32 s8, s8, s0
	s_addc_u32 s9, s9, s1
	s_load_dwordx2 s[10:11], s[8:9], 0x0
	s_load_dwordx2 s[28:29], s[4:5], 0x68
	s_load_dwordx2 s[22:23], s[4:5], 0x28
	s_load_dwordx4 s[0:3], s[4:5], 0x58
	s_waitcnt lgkmcnt(0)
	s_or_b32 s7, s10, s11
	s_bitset0_b32 s7, 31
	s_cmp_lg_u32 s7, 0
	s_cselect_b64 s[20:21], -1, 0
	s_and_b64 vcc, exec, s[20:21]
	s_cbranch_vccnz .LBB32_4
; %bb.2:
	s_mul_i32 s3, s26, s3
	s_mul_hi_u32 s7, s26, s2
	s_add_i32 s3, s7, s3
	s_mul_i32 s2, s26, s2
	s_lshl_b64 s[2:3], s[2:3], 3
	s_add_u32 s0, s0, s2
	s_addc_u32 s1, s1, s3
	s_load_dwordx2 s[0:1], s[0:1], 0x0
	s_mov_b64 s[8:9], 0
	s_waitcnt lgkmcnt(0)
	v_cmp_eq_f32_e64 s[2:3], s0, 1.0
	v_cmp_eq_f32_e64 s[0:1], s1, 0
	s_and_b64 s[0:1], s[2:3], s[0:1]
	s_andn2_b64 vcc, exec, s[0:1]
	s_mov_b64 s[0:1], 0
                                        ; implicit-def: $sgpr2_sgpr3
	s_cbranch_vccz .LBB32_5
; %bb.3:
	s_mov_b64 s[0:1], -1
	s_mov_b64 s[2:3], 0
	s_branch .LBB32_5
.LBB32_4:
	s_mov_b64 s[8:9], -1
	s_mov_b64 s[0:1], 0
                                        ; implicit-def: $sgpr2_sgpr3
.LBB32_5:
	s_and_b64 vcc, exec, s[8:9]
	s_cbranch_vccz .LBB32_7
; %bb.6:
	s_lshl_b64 s[0:1], s[26:27], 3
	s_add_u32 s0, s12, s0
	s_addc_u32 s1, s13, s1
	s_load_dwordx2 s[0:1], s[0:1], 0x0
	s_lshl_b64 s[2:3], s[14:15], 3
	s_waitcnt lgkmcnt(0)
	s_add_u32 s2, s0, s2
	s_addc_u32 s3, s1, s3
	s_mov_b64 s[0:1], -1
.LBB32_7:
	s_andn2_b64 vcc, exec, s[0:1]
	s_cbranch_vccnz .LBB32_186
; %bb.8:
	s_load_dwordx4 s[8:11], s[4:5], 0x38
	s_load_dwordx2 s[16:17], s[4:5], 0x48
	v_cndmask_b32_e64 v1, 0, 1, s[20:21]
	v_cmp_ne_u32_e64 s[0:1], 1, v1
	s_andn2_b64 vcc, exec, s[20:21]
	s_mov_b64 s[12:13], 0
	s_cbranch_vccnz .LBB32_10
; %bb.9:
	s_lshl_b64 s[12:13], s[26:27], 3
	s_waitcnt lgkmcnt(0)
	s_add_u32 s8, s8, s12
	s_addc_u32 s9, s9, s13
	s_load_dwordx2 s[8:9], s[8:9], 0x0
	s_lshl_b64 s[10:11], s[10:11], 3
	s_waitcnt lgkmcnt(0)
	s_add_u32 s12, s8, s10
	s_addc_u32 s13, s9, s11
.LBB32_10:
	s_and_b64 vcc, exec, s[0:1]
	s_cbranch_vccnz .LBB32_186
; %bb.11:
	s_load_dword s7, s[18:19], 0x0
	s_load_dword s33, s[4:5], 0x0
	v_and_b32_e32 v65, 0x3ff, v0
	s_lshl_b32 s24, s6, 6
	v_add_u32_e32 v28, s24, v65
	s_waitcnt lgkmcnt(0)
	s_add_i32 s0, s7, -1
	s_ashr_i32 s38, s33, 31
	s_lshr_b32 s1, s38, 26
	s_add_i32 s1, s33, s1
	s_andn2_b32 s1, s1, 63
	s_sub_i32 s27, s33, s1
	v_ashrrev_i32_e32 v29, 31, v28
	v_bfe_u32 v109, v0, 10, 10
	s_cmp_eq_u32 s6, s0
	v_mul_lo_u32 v2, v29, s16
	v_mul_lo_u32 v3, v28, s17
	v_mad_u64_u32 v[0:1], s[0:1], v28, s16, 0
	v_add3_u32 v1, v1, v3, v2
	v_lshlrev_b64 v[0:1], 3, v[0:1]
	v_mov_b32_e32 v2, s13
	v_add_co_u32_e32 v14, vcc, s12, v0
	s_cselect_b32 s18, s27, 0
	v_addc_co_u32_e32 v15, vcc, v2, v1, vcc
	v_cmp_eq_u32_e64 s[0:1], 0, v109
	s_and_saveexec_b64 s[4:5], s[0:1]
	s_cbranch_execz .LBB32_16
; %bb.12:
	s_cmp_lg_u32 s18, 0
	s_cselect_b64 s[8:9], -1, 0
	v_cmp_le_i32_e32 vcc, s18, v65
	v_mov_b32_e32 v0, 0x2380
	s_and_b64 s[8:9], s[8:9], vcc
	v_lshl_add_u32 v0, v65, 3, v0
	s_and_saveexec_b64 s[10:11], s[8:9]
	s_xor_b64 s[8:9], exec, s[10:11]
	s_cbranch_execz .LBB32_14
; %bb.13:
	v_mov_b32_e32 v2, 0
	v_mov_b32_e32 v3, v2
	ds_write_b64 v0, v[2:3]
                                        ; implicit-def: $vgpr0
.LBB32_14:
	s_andn2_saveexec_b64 s[8:9], s[8:9]
	s_cbranch_execz .LBB32_16
; %bb.15:
	flat_load_dwordx2 v[2:3], v[14:15]
	s_waitcnt vmcnt(0) lgkmcnt(0)
	ds_write_b64 v0, v[2:3]
.LBB32_16:
	s_or_b64 exec, exec, s[4:5]
	s_ashr_i32 s25, s24, 31
	v_lshl_add_u32 v22, v109, 6, v65
	s_lshl_b64 s[4:5], s[24:25], 3
	v_and_b32_e32 v0, 31, v65
	v_lshrrev_b32_e32 v10, 5, v22
	s_add_u32 s4, s2, s4
	v_mov_b32_e32 v1, 0
	s_addc_u32 s5, s3, s5
	v_mad_u64_u32 v[2:3], s[2:3], v10, s22, v[0:1]
	v_mov_b32_e32 v4, v3
	v_mad_u64_u32 v[4:5], s[2:3], v10, s23, v[4:5]
	s_mul_i32 s2, s24, s23
	s_mul_hi_u32 s3, s24, s22
	s_add_i32 s2, s3, s2
	s_mul_i32 s3, s25, s22
	s_add_i32 s3, s2, s3
	s_mul_i32 s2, s24, s22
	s_lshl_b64 s[2:3], s[2:3], 3
	s_add_u32 s2, s2, s4
	v_mov_b32_e32 v3, v4
	s_addc_u32 s3, s3, s5
	v_lshlrev_b64 v[12:13], 3, v[2:3]
	s_cmp_eq_u32 s18, 0
	v_mov_b32_e32 v2, s3
	v_add_co_u32_e32 v4, vcc, s2, v12
	s_cselect_b64 s[20:21], -1, 0
	s_cmp_lg_u32 s18, 0
	v_addc_co_u32_e32 v5, vcc, v2, v13, vcc
	s_cselect_b64 s[30:31], -1, 0
	s_and_b64 vcc, exec, s[30:31]
	v_cmp_gt_i32_e64 s[2:3], s18, v0
	v_lshlrev_b32_e32 v11, 3, v0
	s_mul_i32 s39, s23, 0xc0
	s_cbranch_vccz .LBB32_32
; %bb.17:
	v_sub_co_u32_e32 v2, vcc, v4, v11
	s_ashr_i32 s19, s18, 31
	v_subbrev_co_u32_e32 v3, vcc, 0, v5, vcc
	s_lshl_b64 s[4:5], s[18:19], 3
	v_mov_b32_e32 v6, s5
	v_add_co_u32_e32 v2, vcc, s4, v2
	v_addc_co_u32_e32 v3, vcc, v3, v6, vcc
	v_add_co_u32_e32 v2, vcc, -8, v2
	v_addc_co_u32_e32 v3, vcc, -1, v3, vcc
	v_cndmask_b32_e64 v3, v3, v5, s[2:3]
	v_cndmask_b32_e64 v2, v2, v4, s[2:3]
	v_cmp_gt_i32_e32 vcc, s18, v10
	v_mov_b32_e32 v7, 0
	s_and_saveexec_b64 s[8:9], vcc
	s_cbranch_execz .LBB32_19
; %bb.18:
	flat_load_dwordx2 v[6:7], v[2:3]
	s_waitcnt vmcnt(0) lgkmcnt(0)
	v_mov_b32_e32 v1, v6
.LBB32_19:
	s_or_b64 exec, exec, s[8:9]
	v_mul_u32_u24_e32 v6, 33, v10
	v_add_lshl_u32 v8, v6, v0, 3
	v_mov_b32_e32 v6, v1
	v_add_u32_e32 v1, 8, v10
	v_cmp_le_i32_e32 vcc, s18, v1
	ds_write_b64 v8, v[6:7]
	s_and_saveexec_b64 s[8:9], vcc
	s_xor_b64 s[8:9], exec, s[8:9]
	s_cbranch_execz .LBB32_21
; %bb.20:
	v_mul_u32_u24_e32 v1, 33, v1
	v_mov_b32_e32 v6, 0
	v_add_lshl_u32 v1, v1, v0, 3
	v_mov_b32_e32 v7, v6
	ds_write_b64 v1, v[6:7]
.LBB32_21:
	s_andn2_saveexec_b64 s[8:9], s[8:9]
	s_cbranch_execz .LBB32_23
; %bb.22:
	s_lshl_b64 s[10:11], s[22:23], 6
	v_mov_b32_e32 v1, s11
	v_add_co_u32_e32 v6, vcc, s10, v2
	v_addc_co_u32_e32 v7, vcc, v3, v1, vcc
	flat_load_dwordx2 v[6:7], v[6:7]
	s_waitcnt vmcnt(0) lgkmcnt(0)
	ds_write_b64 v8, v[6:7] offset:2112
.LBB32_23:
	s_or_b64 exec, exec, s[8:9]
	v_add_u32_e32 v1, 16, v10
	v_cmp_le_i32_e32 vcc, s18, v1
	s_and_saveexec_b64 s[8:9], vcc
	s_xor_b64 s[8:9], exec, s[8:9]
	s_cbranch_execz .LBB32_25
; %bb.24:
	v_mov_b32_e32 v6, 0
	v_mov_b32_e32 v7, v6
	ds_write_b64 v8, v[6:7] offset:4224
.LBB32_25:
	s_andn2_saveexec_b64 s[8:9], s[8:9]
	s_cbranch_execz .LBB32_27
; %bb.26:
	s_lshl_b64 s[10:11], s[22:23], 7
	v_mov_b32_e32 v1, s11
	v_add_co_u32_e32 v6, vcc, s10, v2
	v_addc_co_u32_e32 v7, vcc, v3, v1, vcc
	flat_load_dwordx2 v[6:7], v[6:7]
	s_waitcnt vmcnt(0) lgkmcnt(0)
	ds_write_b64 v8, v[6:7] offset:4224
.LBB32_27:
	s_or_b64 exec, exec, s[8:9]
	v_add_u32_e32 v1, 24, v10
	v_cmp_le_i32_e32 vcc, s18, v1
	s_and_saveexec_b64 s[8:9], vcc
	s_xor_b64 s[8:9], exec, s[8:9]
	s_cbranch_execz .LBB32_29
; %bb.28:
	v_mov_b32_e32 v6, 0
	v_mov_b32_e32 v7, v6
	ds_write_b64 v8, v[6:7] offset:6336
                                        ; implicit-def: $vgpr8
.LBB32_29:
	s_andn2_saveexec_b64 s[8:9], s[8:9]
	s_cbranch_execz .LBB32_31
; %bb.30:
	v_mov_b32_e32 v1, 0xc0
	v_mad_u64_u32 v[6:7], s[10:11], s22, v1, v[2:3]
	v_add_u32_e32 v7, s39, v7
	flat_load_dwordx2 v[6:7], v[6:7]
	s_waitcnt vmcnt(0) lgkmcnt(0)
	ds_write_b64 v8, v[6:7] offset:6336
.LBB32_31:
	s_or_b64 exec, exec, s[8:9]
	v_add_co_u32_e32 v1, vcc, v2, v11
	v_addc_co_u32_e32 v2, vcc, 0, v3, vcc
	v_mov_b32_e32 v3, s5
	v_subrev_co_u32_e32 v1, vcc, s4, v1
	v_subb_co_u32_e32 v2, vcc, v2, v3, vcc
	v_add_co_u32_e32 v1, vcc, 8, v1
	v_addc_co_u32_e32 v2, vcc, 0, v2, vcc
	v_cndmask_b32_e64 v3, v2, v5, s[2:3]
	v_cndmask_b32_e64 v2, v1, v4, s[2:3]
	v_mul_u32_u24_e32 v1, 33, v10
	s_branch .LBB32_34
.LBB32_32:
                                        ; implicit-def: $vgpr2_vgpr3
	v_mul_u32_u24_e32 v1, 33, v10
	s_cbranch_execz .LBB32_34
; %bb.33:
	flat_load_dwordx2 v[2:3], v[4:5]
	s_lshl_b64 s[2:3], s[22:23], 6
	v_add_lshl_u32 v8, v1, v0, 3
	v_mov_b32_e32 v9, s3
	v_add_co_u32_e32 v6, vcc, s2, v4
	v_addc_co_u32_e32 v7, vcc, v5, v9, vcc
	s_waitcnt vmcnt(0) lgkmcnt(0)
	ds_write_b64 v8, v[2:3]
	flat_load_dwordx2 v[2:3], v[6:7]
	v_add_co_u32_e32 v6, vcc, s2, v6
	v_addc_co_u32_e32 v7, vcc, v7, v9, vcc
	s_waitcnt vmcnt(0) lgkmcnt(0)
	ds_write_b64 v8, v[2:3] offset:2112
	flat_load_dwordx2 v[2:3], v[6:7]
	v_mov_b32_e32 v6, 0xc0
	v_mad_u64_u32 v[6:7], s[2:3], s22, v6, v[4:5]
	v_add_u32_e32 v7, s39, v7
	s_waitcnt vmcnt(0) lgkmcnt(0)
	ds_write_b64 v8, v[2:3] offset:4224
	flat_load_dwordx2 v[2:3], v[6:7]
	s_waitcnt vmcnt(0) lgkmcnt(0)
	ds_write_b64 v8, v[2:3] offset:6336
	v_pk_mov_b32 v[2:3], v[4:5], v[4:5] op_sel:[0,1]
.LBB32_34:
	v_lshlrev_b32_e32 v21, 2, v10
	v_cmp_le_u32_e64 s[4:5], v21, v0
	s_waitcnt lgkmcnt(0)
	s_barrier
	s_and_saveexec_b64 s[2:3], s[4:5]
	s_xor_b64 s[2:3], exec, s[2:3]
	s_cbranch_execz .LBB32_38
; %bb.35:
	v_cmp_eq_u32_e32 vcc, v21, v0
	s_and_saveexec_b64 s[8:9], vcc
	s_cbranch_execz .LBB32_37
; %bb.36:
	v_mul_u32_u24_e32 v4, 34, v0
	v_lshlrev_b32_e32 v4, 3, v4
	v_mov_b32_e32 v5, 0
	ds_write_b32 v4, v5 offset:4
.LBB32_37:
	s_or_b64 exec, exec, s[8:9]
.LBB32_38:
	s_or_saveexec_b64 s[2:3], s[2:3]
	v_mul_u32_u24_e32 v18, 33, v0
	v_add_lshl_u32 v16, v21, v18, 3
	s_xor_b64 exec, exec, s[2:3]
	s_cbranch_execz .LBB32_40
; %bb.39:
	v_mul_u32_u24_e32 v4, 0x84, v10
	v_add_lshl_u32 v4, v4, v0, 3
	ds_read_b64 v[4:5], v4
	s_waitcnt lgkmcnt(0)
	v_xor_b32_e32 v5, 0x80000000, v5
	ds_write_b64 v16, v[4:5]
.LBB32_40:
	s_or_b64 exec, exec, s[2:3]
	v_or_b32_e32 v17, 1, v21
	v_cmp_ge_u32_e64 s[14:15], v21, v0
	v_mul_u32_u24_e32 v4, 33, v17
	s_and_saveexec_b64 s[2:3], s[14:15]
	s_xor_b64 s[2:3], exec, s[2:3]
	s_cbranch_execz .LBB32_42
; %bb.41:
	v_add_lshl_u32 v5, v4, v0, 3
	ds_read_b64 v[6:7], v5
	s_waitcnt lgkmcnt(0)
	v_xor_b32_e32 v7, 0x80000000, v7
	ds_write_b64 v16, v[6:7] offset:8
.LBB32_42:
	s_andn2_saveexec_b64 s[2:3], s[2:3]
	s_cbranch_execz .LBB32_46
; %bb.43:
	v_cmp_eq_u32_e32 vcc, v17, v0
	s_and_saveexec_b64 s[8:9], vcc
	s_cbranch_execz .LBB32_45
; %bb.44:
	v_mul_u32_u24_e32 v5, 34, v0
	v_lshlrev_b32_e32 v5, 3, v5
	v_mov_b32_e32 v6, 0
	ds_write_b32 v5, v6 offset:4
.LBB32_45:
	s_or_b64 exec, exec, s[8:9]
.LBB32_46:
	s_or_b64 exec, exec, s[2:3]
	v_or_b32_e32 v25, 2, v21
	v_cmp_le_u32_e64 s[8:9], v25, v0
	s_and_saveexec_b64 s[2:3], s[8:9]
	s_xor_b64 s[2:3], exec, s[2:3]
	s_cbranch_execz .LBB32_50
; %bb.47:
	v_cmp_eq_u32_e32 vcc, v25, v0
	s_and_saveexec_b64 s[10:11], vcc
	s_cbranch_execz .LBB32_49
; %bb.48:
	v_mul_u32_u24_e32 v5, 34, v0
	v_lshlrev_b32_e32 v5, 3, v5
	v_mov_b32_e32 v6, 0
	ds_write_b32 v5, v6 offset:4
.LBB32_49:
	s_or_b64 exec, exec, s[10:11]
.LBB32_50:
	s_andn2_saveexec_b64 s[2:3], s[2:3]
	s_cbranch_execz .LBB32_52
; %bb.51:
	v_mul_u32_u24_e32 v5, 33, v25
	v_add_lshl_u32 v5, v5, v0, 3
	ds_read_b64 v[6:7], v5
	s_waitcnt lgkmcnt(0)
	v_xor_b32_e32 v7, 0x80000000, v7
	ds_write_b64 v16, v[6:7] offset:16
.LBB32_52:
	s_or_b64 exec, exec, s[2:3]
	v_or_b32_e32 v26, 3, v21
	v_cmp_le_u32_e64 s[10:11], v26, v0
	s_and_saveexec_b64 s[2:3], s[10:11]
	s_xor_b64 s[2:3], exec, s[2:3]
	s_cbranch_execz .LBB32_56
; %bb.53:
	v_cmp_eq_u32_e32 vcc, v26, v0
	s_and_saveexec_b64 s[12:13], vcc
	s_cbranch_execz .LBB32_55
; %bb.54:
	v_mul_u32_u24_e32 v5, 34, v0
	v_lshlrev_b32_e32 v5, 3, v5
	v_mov_b32_e32 v6, 0
	ds_write_b32 v5, v6 offset:4
.LBB32_55:
	s_or_b64 exec, exec, s[12:13]
.LBB32_56:
	s_andn2_saveexec_b64 s[2:3], s[2:3]
	s_cbranch_execz .LBB32_58
; %bb.57:
	v_mul_u32_u24_e32 v5, 33, v26
	v_add_lshl_u32 v5, v5, v0, 3
	ds_read_b64 v[6:7], v5
	s_waitcnt lgkmcnt(0)
	v_xor_b32_e32 v7, 0x80000000, v7
	ds_write_b64 v16, v[6:7] offset:24
.LBB32_58:
	s_or_b64 exec, exec, s[2:3]
	v_mul_u32_u24_e32 v5, 0x84, v10
	v_lshlrev_b32_e32 v27, 3, v21
	s_waitcnt lgkmcnt(0)
	s_barrier
	v_add_lshl_u32 v20, v5, v0, 3
	v_add_lshl_u32 v19, v4, v0, 3
	ds_read_b128 v[4:7], v27 offset:9088
	ds_read_b64 v[8:9], v20
	ds_read2_b64 v[30:33], v19 offset1:33
	ds_read_b64 v[38:39], v19 offset:528
	ds_read_b128 v[34:37], v27 offset:9104
	s_mov_b32 s12, 0
	s_waitcnt lgkmcnt(3)
	v_pk_mul_f32 v[40:41], v[4:5], v[8:9] op_sel:[0,1]
	v_pk_fma_f32 v[42:43], v[4:5], v[8:9], v[40:41] op_sel:[0,0,1] op_sel_hi:[1,1,0] neg_lo:[0,0,1] neg_hi:[0,0,1]
	v_pk_fma_f32 v[4:5], v[4:5], v[8:9], v[40:41] op_sel:[0,0,1] op_sel_hi:[1,0,0]
	s_waitcnt lgkmcnt(2)
	v_pk_mul_f32 v[8:9], v[6:7], v[30:31] op_sel:[0,1]
	v_pk_fma_f32 v[40:41], v[6:7], v[30:31], v[8:9] op_sel:[0,0,1] op_sel_hi:[1,1,0] neg_lo:[0,0,1] neg_hi:[0,0,1]
	v_pk_fma_f32 v[6:7], v[6:7], v[30:31], v[8:9] op_sel:[0,0,1] op_sel_hi:[1,0,0]
	v_mov_b32_e32 v43, v5
	v_mov_b32_e32 v41, v7
	s_waitcnt lgkmcnt(0)
	v_pk_mul_f32 v[6:7], v[34:35], v[32:33] op_sel:[0,1]
	v_pk_add_f32 v[4:5], v[42:43], 0 op_sel_hi:[1,0]
	v_pk_fma_f32 v[8:9], v[34:35], v[32:33], v[6:7] op_sel:[0,0,1] op_sel_hi:[1,1,0] neg_lo:[0,0,1] neg_hi:[0,0,1]
	v_pk_fma_f32 v[6:7], v[34:35], v[32:33], v[6:7] op_sel:[0,0,1] op_sel_hi:[1,0,0]
	v_pk_add_f32 v[4:5], v[4:5], v[40:41]
	v_mov_b32_e32 v9, v7
	v_pk_mul_f32 v[6:7], v[36:37], v[38:39] op_sel:[0,1]
	v_pk_add_f32 v[4:5], v[4:5], v[8:9]
	v_pk_fma_f32 v[8:9], v[36:37], v[38:39], v[6:7] op_sel:[0,0,1] op_sel_hi:[1,1,0] neg_lo:[0,0,1] neg_hi:[0,0,1]
	v_pk_fma_f32 v[6:7], v[36:37], v[38:39], v[6:7] op_sel:[0,0,1] op_sel_hi:[1,0,0]
	s_mov_b32 s13, s12
	v_mov_b32_e32 v9, v7
	v_add_lshl_u32 v23, v10, v18, 3
	v_pk_add_f32 v[4:5], v[4:5], v[8:9]
	v_cmp_gt_u32_e64 s[2:3], 32, v22
	v_pk_mov_b32 v[30:31], s[12:13], s[12:13] op_sel:[0,1]
	v_lshlrev_b32_e32 v24, 3, v18
	s_barrier
	ds_write_b64 v23, v[4:5]
	s_waitcnt lgkmcnt(0)
	s_barrier
	s_and_saveexec_b64 s[12:13], s[2:3]
	s_cbranch_execz .LBB32_60
; %bb.59:
	ds_read2_b64 v[4:7], v24 offset1:7
	ds_read2_b64 v[30:33], v24 offset0:1 offset1:2
	ds_read2_b64 v[34:37], v24 offset0:3 offset1:4
	s_waitcnt lgkmcnt(1)
	v_add_f32_e32 v4, v30, v4
	v_add_f32_e32 v5, v31, v5
	;; [unrolled: 1-line block ×4, first 2 shown]
	ds_read2_b64 v[30:33], v24 offset0:5 offset1:6
	s_waitcnt lgkmcnt(1)
	v_add_f32_e32 v4, v4, v34
	v_add_f32_e32 v5, v5, v35
	;; [unrolled: 1-line block ×4, first 2 shown]
	s_waitcnt lgkmcnt(0)
	v_add_f32_e32 v4, v4, v30
	v_add_f32_e32 v5, v5, v31
	;; [unrolled: 1-line block ×4, first 2 shown]
	v_pk_add_f32 v[30:31], v[4:5], v[6:7]
.LBB32_60:
	s_or_b64 exec, exec, s[12:13]
	s_lshl_b64 s[12:13], s[22:23], 8
	v_mov_b32_e32 v4, s13
	v_add_co_u32_e32 v6, vcc, s12, v2
	v_addc_co_u32_e32 v7, vcc, v3, v4, vcc
	v_add_co_u32_e32 v4, vcc, 0x100, v6
	v_addc_co_u32_e32 v5, vcc, 0, v7, vcc
	s_and_b64 vcc, exec, s[30:31]
	s_barrier
	s_cbranch_vccz .LBB32_76
; %bb.61:
	v_or_b32_e32 v2, 32, v0
	v_lshlrev_b32_e32 v3, 3, v2
	v_sub_co_u32_e32 v3, vcc, v4, v3
	s_ashr_i32 s19, s18, 31
	v_subbrev_co_u32_e32 v8, vcc, 0, v5, vcc
	s_lshl_b64 s[34:35], s[18:19], 3
	v_mov_b32_e32 v9, s35
	v_add_co_u32_e32 v3, vcc, s34, v3
	v_addc_co_u32_e32 v8, vcc, v8, v9, vcc
	v_add_co_u32_e32 v9, vcc, -8, v3
	v_addc_co_u32_e32 v3, vcc, -1, v8, vcc
	v_cmp_gt_i32_e64 s[12:13], s18, v2
	s_sub_i32 s19, s18, 32
	v_mov_b32_e32 v8, 0
	v_cndmask_b32_e64 v3, v3, v5, s[12:13]
	v_cndmask_b32_e64 v2, v9, v4, s[12:13]
	v_cmp_gt_i32_e32 vcc, s19, v10
	v_mov_b32_e32 v9, v8
	s_and_saveexec_b64 s[36:37], vcc
	s_cbranch_execz .LBB32_63
; %bb.62:
	flat_load_dwordx2 v[8:9], v[2:3]
.LBB32_63:
	s_or_b64 exec, exec, s[36:37]
	v_add_lshl_u32 v32, v1, v0, 3
	s_waitcnt vmcnt(0) lgkmcnt(0)
	ds_write_b64 v32, v[8:9]
	v_add_u32_e32 v8, 8, v10
	v_cmp_le_i32_e32 vcc, s19, v8
	s_and_saveexec_b64 s[36:37], vcc
	s_xor_b64 s[36:37], exec, s[36:37]
	s_cbranch_execz .LBB32_65
; %bb.64:
	v_mul_u32_u24_e32 v8, 33, v8
	v_add_lshl_u32 v33, v8, v0, 3
	v_mov_b32_e32 v8, 0
	v_mov_b32_e32 v9, v8
	ds_write_b64 v33, v[8:9]
.LBB32_65:
	s_andn2_saveexec_b64 s[36:37], s[36:37]
	s_cbranch_execz .LBB32_67
; %bb.66:
	s_lshl_b64 s[40:41], s[22:23], 6
	v_mov_b32_e32 v9, s41
	v_add_co_u32_e32 v8, vcc, s40, v2
	v_addc_co_u32_e32 v9, vcc, v3, v9, vcc
	flat_load_dwordx2 v[8:9], v[8:9]
	s_waitcnt vmcnt(0) lgkmcnt(0)
	ds_write_b64 v32, v[8:9] offset:2112
.LBB32_67:
	s_or_b64 exec, exec, s[36:37]
	v_add_u32_e32 v8, 16, v10
	v_cmp_le_i32_e32 vcc, s19, v8
	s_and_saveexec_b64 s[36:37], vcc
	s_xor_b64 s[36:37], exec, s[36:37]
	s_cbranch_execz .LBB32_69
; %bb.68:
	v_mov_b32_e32 v8, 0
	v_mov_b32_e32 v9, v8
	ds_write_b64 v32, v[8:9] offset:4224
.LBB32_69:
	s_andn2_saveexec_b64 s[36:37], s[36:37]
	s_cbranch_execz .LBB32_71
; %bb.70:
	s_lshl_b64 s[40:41], s[22:23], 7
	v_mov_b32_e32 v9, s41
	v_add_co_u32_e32 v8, vcc, s40, v2
	v_addc_co_u32_e32 v9, vcc, v3, v9, vcc
	flat_load_dwordx2 v[8:9], v[8:9]
	s_waitcnt vmcnt(0) lgkmcnt(0)
	ds_write_b64 v32, v[8:9] offset:4224
.LBB32_71:
	s_or_b64 exec, exec, s[36:37]
	v_add_u32_e32 v8, 24, v10
	v_cmp_le_i32_e32 vcc, s19, v8
	s_and_saveexec_b64 s[36:37], vcc
	s_xor_b64 s[36:37], exec, s[36:37]
	s_cbranch_execz .LBB32_73
; %bb.72:
	v_mov_b32_e32 v8, 0
	v_mov_b32_e32 v9, v8
	ds_write_b64 v32, v[8:9] offset:6336
                                        ; implicit-def: $vgpr32
.LBB32_73:
	s_andn2_saveexec_b64 s[36:37], s[36:37]
	s_cbranch_execz .LBB32_75
; %bb.74:
	v_mov_b32_e32 v8, 0xc0
	v_mad_u64_u32 v[8:9], s[40:41], s22, v8, v[2:3]
	v_add_u32_e32 v9, s39, v9
	flat_load_dwordx2 v[8:9], v[8:9]
	s_waitcnt vmcnt(0) lgkmcnt(0)
	ds_write_b64 v32, v[8:9] offset:6336
.LBB32_75:
	s_or_b64 exec, exec, s[36:37]
	v_add_co_u32_e32 v2, vcc, v2, v11
	v_addc_co_u32_e32 v3, vcc, 0, v3, vcc
	v_mov_b32_e32 v8, s35
	v_subrev_co_u32_e32 v2, vcc, s34, v2
	v_subb_co_u32_e32 v3, vcc, v3, v8, vcc
	v_add_co_u32_e32 v2, vcc, 0x108, v2
	v_addc_co_u32_e32 v3, vcc, 0, v3, vcc
	v_cndmask_b32_e64 v3, v3, v5, s[12:13]
	v_cndmask_b32_e64 v2, v2, v4, s[12:13]
	s_branch .LBB32_78
.LBB32_76:
                                        ; implicit-def: $vgpr2_vgpr3
	s_cbranch_execz .LBB32_78
; %bb.77:
	flat_load_dwordx2 v[2:3], v[6:7] offset:256
	s_lshl_b64 s[12:13], s[22:23], 6
	v_add_lshl_u32 v32, v1, v0, 3
	v_mov_b32_e32 v33, s13
	v_add_co_u32_e32 v8, vcc, s12, v6
	v_addc_co_u32_e32 v9, vcc, v7, v33, vcc
	s_waitcnt vmcnt(0) lgkmcnt(0)
	ds_write_b64 v32, v[2:3]
	flat_load_dwordx2 v[2:3], v[8:9] offset:256
	v_add_co_u32_e32 v8, vcc, s12, v8
	v_addc_co_u32_e32 v9, vcc, v9, v33, vcc
	s_waitcnt vmcnt(0) lgkmcnt(0)
	ds_write_b64 v32, v[2:3] offset:2112
	flat_load_dwordx2 v[2:3], v[8:9] offset:256
	v_mov_b32_e32 v8, 0xc0
	v_mad_u64_u32 v[6:7], s[12:13], s22, v8, v[6:7]
	v_add_u32_e32 v7, s39, v7
	s_waitcnt vmcnt(0) lgkmcnt(0)
	ds_write_b64 v32, v[2:3] offset:4224
	flat_load_dwordx2 v[2:3], v[6:7] offset:256
	s_waitcnt vmcnt(0) lgkmcnt(0)
	ds_write_b64 v32, v[2:3] offset:6336
	v_pk_mov_b32 v[2:3], v[4:5], v[4:5] op_sel:[0,1]
.LBB32_78:
	s_waitcnt lgkmcnt(0)
	s_barrier
	s_and_saveexec_b64 s[12:13], s[4:5]
	s_xor_b64 s[4:5], exec, s[12:13]
	s_cbranch_execnz .LBB32_105
; %bb.79:
	s_andn2_saveexec_b64 s[4:5], s[4:5]
	s_cbranch_execnz .LBB32_108
.LBB32_80:
	s_or_b64 exec, exec, s[4:5]
	s_and_saveexec_b64 s[4:5], s[14:15]
	s_xor_b64 s[4:5], exec, s[4:5]
	s_cbranch_execnz .LBB32_109
.LBB32_81:
	s_andn2_saveexec_b64 s[4:5], s[4:5]
	s_cbranch_execnz .LBB32_110
.LBB32_82:
	s_or_b64 exec, exec, s[4:5]
	s_and_saveexec_b64 s[4:5], s[8:9]
	s_xor_b64 s[4:5], exec, s[4:5]
	s_cbranch_execnz .LBB32_113
.LBB32_83:
	s_andn2_saveexec_b64 s[4:5], s[4:5]
	s_cbranch_execnz .LBB32_116
.LBB32_84:
	s_or_b64 exec, exec, s[4:5]
	s_and_saveexec_b64 s[4:5], s[10:11]
	s_xor_b64 s[4:5], exec, s[4:5]
	s_cbranch_execnz .LBB32_117
.LBB32_85:
	s_or_saveexec_b64 s[4:5], s[4:5]
	v_add_u32_e32 v25, 0x2380, v27
	s_xor_b64 exec, exec, s[4:5]
	s_cbranch_execz .LBB32_87
.LBB32_86:
	ds_read_b64 v[4:5], v19 offset:528
	s_waitcnt lgkmcnt(0)
	v_xor_b32_e32 v5, 0x80000000, v5
	ds_write_b64 v16, v[4:5] offset:24
.LBB32_87:
	s_or_b64 exec, exec, s[4:5]
	s_waitcnt lgkmcnt(0)
	s_barrier
	ds_read_b64 v[8:9], v20
	ds_read_b128 v[4:7], v25 offset:256
	ds_read2_b64 v[32:35], v19 offset1:33
	ds_read_b64 v[16:17], v19 offset:528
	ds_read_b128 v[36:39], v25 offset:272
	v_cmp_eq_u32_e64 s[4:5], 1, v10
	s_waitcnt lgkmcnt(3)
	v_pk_mul_f32 v[26:27], v[4:5], v[8:9] op_sel:[0,1]
	v_pk_fma_f32 v[40:41], v[4:5], v[8:9], v[26:27] op_sel:[0,0,1] op_sel_hi:[1,1,0] neg_lo:[0,0,1] neg_hi:[0,0,1]
	v_pk_fma_f32 v[4:5], v[4:5], v[8:9], v[26:27] op_sel:[0,0,1] op_sel_hi:[1,0,0]
	s_waitcnt lgkmcnt(2)
	v_pk_mul_f32 v[8:9], v[6:7], v[32:33] op_sel:[0,1]
	v_pk_fma_f32 v[26:27], v[6:7], v[32:33], v[8:9] op_sel:[0,0,1] op_sel_hi:[1,1,0] neg_lo:[0,0,1] neg_hi:[0,0,1]
	v_pk_fma_f32 v[6:7], v[6:7], v[32:33], v[8:9] op_sel:[0,0,1] op_sel_hi:[1,0,0]
	v_mov_b32_e32 v41, v5
	v_mov_b32_e32 v27, v7
	s_waitcnt lgkmcnt(0)
	v_pk_mul_f32 v[6:7], v[36:37], v[34:35] op_sel:[0,1]
	v_pk_add_f32 v[4:5], v[40:41], 0 op_sel_hi:[1,0]
	v_pk_fma_f32 v[8:9], v[36:37], v[34:35], v[6:7] op_sel:[0,0,1] op_sel_hi:[1,1,0] neg_lo:[0,0,1] neg_hi:[0,0,1]
	v_pk_fma_f32 v[6:7], v[36:37], v[34:35], v[6:7] op_sel:[0,0,1] op_sel_hi:[1,0,0]
	v_pk_add_f32 v[4:5], v[4:5], v[26:27]
	v_mov_b32_e32 v9, v7
	v_pk_mul_f32 v[6:7], v[38:39], v[16:17] op_sel:[0,1]
	v_pk_add_f32 v[4:5], v[4:5], v[8:9]
	v_pk_fma_f32 v[8:9], v[38:39], v[16:17], v[6:7] op_sel:[0,0,1] op_sel_hi:[1,1,0] neg_lo:[0,0,1] neg_hi:[0,0,1]
	v_pk_fma_f32 v[6:7], v[38:39], v[16:17], v[6:7] op_sel:[0,0,1] op_sel_hi:[1,0,0]
	v_mov_b32_e32 v9, v7
	v_pk_add_f32 v[4:5], v[4:5], v[8:9]
	s_barrier
	ds_write_b64 v23, v[4:5]
	s_waitcnt lgkmcnt(0)
	s_barrier
	s_and_saveexec_b64 s[8:9], s[4:5]
	s_cbranch_execz .LBB32_89
; %bb.88:
	ds_read2_b64 v[4:7], v24 offset1:7
	ds_read2_b64 v[30:33], v24 offset0:1 offset1:2
	ds_read2_b64 v[34:37], v24 offset0:3 offset1:4
	s_waitcnt lgkmcnt(1)
	v_add_f32_e32 v4, v30, v4
	v_add_f32_e32 v5, v31, v5
	;; [unrolled: 1-line block ×4, first 2 shown]
	ds_read2_b64 v[30:33], v24 offset0:5 offset1:6
	s_waitcnt lgkmcnt(1)
	v_add_f32_e32 v4, v4, v34
	v_add_f32_e32 v5, v5, v35
	;; [unrolled: 1-line block ×4, first 2 shown]
	s_waitcnt lgkmcnt(0)
	v_add_f32_e32 v4, v4, v30
	v_add_f32_e32 v5, v5, v31
	v_pk_add_f32 v[4:5], v[4:5], v[32:33]
	v_pk_add_f32 v[30:31], v[4:5], v[6:7]
.LBB32_89:
	s_or_b64 exec, exec, s[8:9]
	v_add_co_u32_e32 v2, vcc, 0xffffff00, v2
	v_addc_co_u32_e32 v3, vcc, -1, v3, vcc
	s_and_b64 vcc, exec, s[30:31]
	s_barrier
	s_cbranch_vccz .LBB32_120
; %bb.90:
	v_sub_co_u32_e32 v4, vcc, v2, v11
	s_ashr_i32 s19, s18, 31
	v_subbrev_co_u32_e32 v5, vcc, 0, v3, vcc
	s_lshl_b64 s[10:11], s[18:19], 3
	v_mov_b32_e32 v6, s11
	v_add_co_u32_e32 v4, vcc, s10, v4
	v_addc_co_u32_e32 v5, vcc, v5, v6, vcc
	v_add_co_u32_e32 v4, vcc, -8, v4
	v_addc_co_u32_e32 v5, vcc, -1, v5, vcc
	v_cmp_gt_i32_e32 vcc, s18, v0
	s_sub_i32 s14, s18, 32
	v_mov_b32_e32 v6, 0
	v_cndmask_b32_e32 v5, v5, v3, vcc
	v_cndmask_b32_e32 v4, v4, v2, vcc
	v_cmp_gt_i32_e64 s[8:9], s14, v10
	v_mov_b32_e32 v7, v6
	s_and_saveexec_b64 s[12:13], s[8:9]
	s_cbranch_execz .LBB32_92
; %bb.91:
	flat_load_dwordx2 v[6:7], v[4:5]
.LBB32_92:
	s_or_b64 exec, exec, s[12:13]
	v_add_lshl_u32 v8, v1, v0, 3
	s_waitcnt vmcnt(0) lgkmcnt(0)
	ds_write_b64 v8, v[6:7]
	v_add_u32_e32 v6, 8, v10
	v_cmp_le_i32_e64 s[8:9], s14, v6
	s_and_saveexec_b64 s[12:13], s[8:9]
	s_xor_b64 s[8:9], exec, s[12:13]
	s_cbranch_execz .LBB32_94
; %bb.93:
	v_mul_u32_u24_e32 v7, 33, v6
	v_mov_b32_e32 v16, 0
	v_add_lshl_u32 v7, v7, v0, 3
	v_mov_b32_e32 v17, v16
	ds_write_b64 v7, v[16:17]
.LBB32_94:
	s_andn2_saveexec_b64 s[12:13], s[8:9]
	s_cbranch_execz .LBB32_96
; %bb.95:
	s_lshl_b64 s[8:9], s[22:23], 6
	v_mov_b32_e32 v7, s9
	v_add_co_u32_e64 v16, s[8:9], s8, v4
	v_addc_co_u32_e64 v17, s[8:9], v5, v7, s[8:9]
	flat_load_dwordx2 v[16:17], v[16:17]
	s_waitcnt vmcnt(0) lgkmcnt(0)
	ds_write_b64 v8, v[16:17] offset:2112
.LBB32_96:
	s_or_b64 exec, exec, s[12:13]
	v_add_u32_e32 v7, 16, v10
	v_cmp_le_i32_e64 s[8:9], s14, v7
	s_and_saveexec_b64 s[12:13], s[8:9]
	s_xor_b64 s[8:9], exec, s[12:13]
	s_cbranch_execz .LBB32_98
; %bb.97:
	v_mov_b32_e32 v16, 0
	v_mov_b32_e32 v17, v16
	ds_write_b64 v8, v[16:17] offset:4224
.LBB32_98:
	s_andn2_saveexec_b64 s[12:13], s[8:9]
	s_cbranch_execz .LBB32_100
; %bb.99:
	s_lshl_b64 s[8:9], s[22:23], 7
	v_mov_b32_e32 v9, s9
	v_add_co_u32_e64 v16, s[8:9], s8, v4
	v_addc_co_u32_e64 v17, s[8:9], v5, v9, s[8:9]
	flat_load_dwordx2 v[16:17], v[16:17]
	s_waitcnt vmcnt(0) lgkmcnt(0)
	ds_write_b64 v8, v[16:17] offset:4224
.LBB32_100:
	s_or_b64 exec, exec, s[12:13]
	v_add_u32_e32 v9, 24, v10
	v_cmp_le_i32_e64 s[8:9], s14, v9
	s_and_saveexec_b64 s[12:13], s[8:9]
	s_xor_b64 s[8:9], exec, s[12:13]
	s_cbranch_execz .LBB32_102
; %bb.101:
	v_mov_b32_e32 v16, 0
	v_mov_b32_e32 v17, v16
	ds_write_b64 v8, v[16:17] offset:6336
                                        ; implicit-def: $vgpr8
.LBB32_102:
	s_andn2_saveexec_b64 s[8:9], s[8:9]
	s_cbranch_execz .LBB32_104
; %bb.103:
	v_mov_b32_e32 v16, 0xc0
	v_mad_u64_u32 v[16:17], s[12:13], s22, v16, v[4:5]
	v_add_u32_e32 v17, s39, v17
	flat_load_dwordx2 v[16:17], v[16:17]
	s_waitcnt vmcnt(0) lgkmcnt(0)
	ds_write_b64 v8, v[16:17] offset:6336
.LBB32_104:
	s_or_b64 exec, exec, s[8:9]
	v_add_co_u32_e64 v4, s[8:9], v4, v11
	v_addc_co_u32_e64 v5, s[8:9], 0, v5, s[8:9]
	v_mov_b32_e32 v8, s11
	v_subrev_co_u32_e64 v4, s[8:9], s10, v4
	v_subb_co_u32_e64 v5, s[8:9], v5, v8, s[8:9]
	v_add_co_u32_e64 v4, s[8:9], 8, v4
	v_addc_co_u32_e64 v5, s[8:9], 0, v5, s[8:9]
	v_cndmask_b32_e32 v17, v5, v3, vcc
	v_cndmask_b32_e32 v16, v4, v2, vcc
	s_branch .LBB32_122
.LBB32_105:
	v_cmp_eq_u32_e32 vcc, v21, v0
	s_and_saveexec_b64 s[12:13], vcc
	s_cbranch_execz .LBB32_107
; %bb.106:
	v_mul_u32_u24_e32 v4, 34, v0
	v_lshlrev_b32_e32 v4, 3, v4
	v_mov_b32_e32 v5, 0
	ds_write_b32 v4, v5 offset:4
.LBB32_107:
	s_or_b64 exec, exec, s[12:13]
	s_andn2_saveexec_b64 s[4:5], s[4:5]
	s_cbranch_execz .LBB32_80
.LBB32_108:
	ds_read_b64 v[4:5], v20
	s_waitcnt lgkmcnt(0)
	v_xor_b32_e32 v5, 0x80000000, v5
	ds_write_b64 v16, v[4:5]
	s_or_b64 exec, exec, s[4:5]
	s_and_saveexec_b64 s[4:5], s[14:15]
	s_xor_b64 s[4:5], exec, s[4:5]
	s_cbranch_execz .LBB32_81
.LBB32_109:
	ds_read_b64 v[4:5], v19
                                        ; implicit-def: $vgpr17
	s_waitcnt lgkmcnt(0)
	v_xor_b32_e32 v5, 0x80000000, v5
	ds_write_b64 v16, v[4:5] offset:8
	s_andn2_saveexec_b64 s[4:5], s[4:5]
	s_cbranch_execz .LBB32_82
.LBB32_110:
	v_cmp_eq_u32_e32 vcc, v17, v0
	s_and_saveexec_b64 s[12:13], vcc
	s_cbranch_execz .LBB32_112
; %bb.111:
	v_mul_u32_u24_e32 v4, 34, v0
	v_lshlrev_b32_e32 v4, 3, v4
	v_mov_b32_e32 v5, 0
	ds_write_b32 v4, v5 offset:4
.LBB32_112:
	s_or_b64 exec, exec, s[12:13]
	s_or_b64 exec, exec, s[4:5]
	s_and_saveexec_b64 s[4:5], s[8:9]
	s_xor_b64 s[4:5], exec, s[4:5]
	s_cbranch_execz .LBB32_83
.LBB32_113:
	v_cmp_eq_u32_e32 vcc, v25, v0
	s_and_saveexec_b64 s[8:9], vcc
	s_cbranch_execz .LBB32_115
; %bb.114:
	v_mul_u32_u24_e32 v4, 34, v0
	v_lshlrev_b32_e32 v4, 3, v4
	v_mov_b32_e32 v5, 0
	ds_write_b32 v4, v5 offset:4
.LBB32_115:
	s_or_b64 exec, exec, s[8:9]
	s_andn2_saveexec_b64 s[4:5], s[4:5]
	s_cbranch_execz .LBB32_84
.LBB32_116:
	ds_read_b64 v[4:5], v19 offset:264
	s_waitcnt lgkmcnt(0)
	v_xor_b32_e32 v5, 0x80000000, v5
	ds_write_b64 v16, v[4:5] offset:16
	s_or_b64 exec, exec, s[4:5]
	s_and_saveexec_b64 s[4:5], s[10:11]
	s_xor_b64 s[4:5], exec, s[4:5]
	s_cbranch_execz .LBB32_85
.LBB32_117:
	v_cmp_eq_u32_e32 vcc, v26, v0
	s_and_saveexec_b64 s[8:9], vcc
	s_cbranch_execz .LBB32_119
; %bb.118:
	v_mul_u32_u24_e32 v4, 34, v0
	v_lshlrev_b32_e32 v4, 3, v4
	v_mov_b32_e32 v5, 0
	ds_write_b32 v4, v5 offset:4
.LBB32_119:
	s_or_b64 exec, exec, s[8:9]
                                        ; implicit-def: $vgpr16
	s_or_saveexec_b64 s[4:5], s[4:5]
	v_add_u32_e32 v25, 0x2380, v27
	s_xor_b64 exec, exec, s[4:5]
	s_cbranch_execnz .LBB32_86
	s_branch .LBB32_87
.LBB32_120:
                                        ; implicit-def: $vgpr16_vgpr17
                                        ; implicit-def: $vgpr6
                                        ; implicit-def: $vgpr7
                                        ; implicit-def: $vgpr9
	s_cbranch_execz .LBB32_122
; %bb.121:
	flat_load_dwordx2 v[4:5], v[2:3]
	s_lshl_b64 s[8:9], s[22:23], 6
	v_add_lshl_u32 v8, v1, v0, 3
	v_mov_b32_e32 v6, s9
	v_add_co_u32_e32 v0, vcc, s8, v2
	v_addc_co_u32_e32 v1, vcc, v3, v6, vcc
	v_add_u32_e32 v7, 16, v10
	v_add_u32_e32 v9, 24, v10
	v_pk_mov_b32 v[16:17], v[2:3], v[2:3] op_sel:[0,1]
	s_waitcnt vmcnt(0) lgkmcnt(0)
	ds_write_b64 v8, v[4:5]
	flat_load_dwordx2 v[4:5], v[0:1]
	v_add_co_u32_e32 v0, vcc, s8, v0
	v_addc_co_u32_e32 v1, vcc, v1, v6, vcc
	v_add_u32_e32 v6, 8, v10
	s_waitcnt vmcnt(0) lgkmcnt(0)
	ds_write_b64 v8, v[4:5] offset:2112
	flat_load_dwordx2 v[0:1], v[0:1]
	v_mov_b32_e32 v4, 0xc0
	v_mad_u64_u32 v[4:5], s[8:9], s22, v4, v[2:3]
	v_add_u32_e32 v5, s39, v5
	s_waitcnt vmcnt(0) lgkmcnt(0)
	ds_write_b64 v8, v[0:1] offset:4224
	flat_load_dwordx2 v[0:1], v[4:5]
	s_waitcnt vmcnt(0) lgkmcnt(0)
	ds_write_b64 v8, v[0:1] offset:6336
.LBB32_122:
	s_waitcnt lgkmcnt(0)
	s_barrier
	ds_read_b64 v[26:27], v23
	v_add_lshl_u32 v0, v7, v18, 3
	ds_read_b64 v[32:33], v0
	v_lshlrev_b32_e32 v4, 3, v10
	v_add_lshl_u32 v5, v6, v18, 3
	v_lshlrev_b32_e32 v6, 3, v6
	v_lshlrev_b32_e32 v7, 3, v7
	v_add_lshl_u32 v18, v9, v18, 3
	v_lshlrev_b32_e32 v40, 3, v9
	ds_read2_b64 v[0:3], v19 offset1:33
	ds_read_b64 v[20:21], v20
	ds_read_b128 v[8:11], v25 offset:256
	ds_read_b64 v[34:35], v6 offset:9088
	ds_read_b64 v[36:37], v5
	ds_read_b64 v[38:39], v4 offset:9088
	ds_read_b64 v[40:41], v40 offset:9088
	ds_read_b64 v[42:43], v18
	ds_read_b64 v[44:45], v7 offset:9088
	ds_read_b64 v[18:19], v19 offset:528
	ds_read_b128 v[4:7], v25 offset:272
	s_waitcnt lgkmcnt(5)
	v_pk_mul_f32 v[46:47], v[26:27], v[38:39] op_sel:[1,0]
	v_pk_mul_f32 v[48:49], v[36:37], v[34:35] op_sel:[1,0]
	v_pk_fma_f32 v[54:55], v[26:27], v[38:39], v[46:47] op_sel:[0,0,1] op_sel_hi:[1,1,0]
	v_pk_fma_f32 v[26:27], v[26:27], v[38:39], v[46:47] op_sel:[0,0,1] op_sel_hi:[0,1,0] neg_lo:[0,0,1] neg_hi:[0,0,1]
	s_waitcnt lgkmcnt(2)
	v_pk_mul_f32 v[50:51], v[32:33], v[44:45] op_sel:[1,0]
	v_mov_b32_e32 v55, v27
	v_pk_fma_f32 v[38:39], v[36:37], v[34:35], v[48:49] op_sel:[0,0,1] op_sel_hi:[1,1,0]
	v_pk_fma_f32 v[34:35], v[36:37], v[34:35], v[48:49] op_sel:[0,0,1] op_sel_hi:[0,1,0] neg_lo:[0,0,1] neg_hi:[0,0,1]
	v_pk_add_f32 v[26:27], v[54:55], 0 op_sel_hi:[1,0]
	v_mov_b32_e32 v39, v35
	v_pk_fma_f32 v[34:35], v[32:33], v[44:45], v[50:51] op_sel:[0,0,1] op_sel_hi:[1,1,0]
	v_pk_fma_f32 v[32:33], v[32:33], v[44:45], v[50:51] op_sel:[0,0,1] op_sel_hi:[0,1,0] neg_lo:[0,0,1] neg_hi:[0,0,1]
	v_pk_mul_f32 v[52:53], v[42:43], v[40:41] op_sel:[1,0]
	v_pk_add_f32 v[26:27], v[26:27], v[38:39]
	v_mov_b32_e32 v35, v33
	v_pk_add_f32 v[26:27], v[26:27], v[34:35]
	v_pk_fma_f32 v[32:33], v[42:43], v[40:41], v[52:53] op_sel:[0,0,1] op_sel_hi:[1,1,0]
	v_pk_fma_f32 v[34:35], v[42:43], v[40:41], v[52:53] op_sel:[0,0,1] op_sel_hi:[0,1,0] neg_lo:[0,0,1] neg_hi:[0,0,1]
	v_mov_b32_e32 v33, v35
	v_pk_add_f32 v[26:27], v[26:27], v[32:33]
	s_waitcnt lgkmcnt(0)
	s_barrier
	ds_write_b64 v23, v[26:27]
	s_waitcnt lgkmcnt(0)
	s_barrier
	s_and_saveexec_b64 s[8:9], s[4:5]
	s_cbranch_execz .LBB32_124
; %bb.123:
	ds_read2_b64 v[32:35], v24 offset1:1
	ds_read2_b64 v[36:39], v24 offset0:2 offset1:3
	ds_read2_b64 v[40:43], v24 offset0:6 offset1:7
	s_waitcnt lgkmcnt(2)
	v_pk_add_f32 v[26:27], v[30:31], v[32:33]
	ds_read2_b64 v[30:33], v24 offset0:4 offset1:5
	v_pk_add_f32 v[26:27], v[26:27], v[34:35]
	s_waitcnt lgkmcnt(2)
	v_pk_add_f32 v[26:27], v[26:27], v[36:37]
	v_pk_add_f32 v[26:27], v[26:27], v[38:39]
	s_waitcnt lgkmcnt(0)
	v_pk_add_f32 v[26:27], v[26:27], v[30:31]
	v_pk_add_f32 v[26:27], v[26:27], v[32:33]
	;; [unrolled: 1-line block ×4, first 2 shown]
.LBB32_124:
	s_or_b64 exec, exec, s[8:9]
	v_pk_mul_f32 v[26:27], v[8:9], v[20:21] op_sel:[0,1]
	v_pk_fma_f32 v[32:33], v[8:9], v[20:21], v[26:27] op_sel:[0,0,1] op_sel_hi:[1,1,0] neg_lo:[0,0,1] neg_hi:[0,0,1]
	v_pk_fma_f32 v[8:9], v[8:9], v[20:21], v[26:27] op_sel:[0,0,1] op_sel_hi:[1,0,0]
	v_pk_mul_f32 v[20:21], v[10:11], v[0:1] op_sel:[0,1]
	v_mov_b32_e32 v33, v9
	v_pk_fma_f32 v[26:27], v[10:11], v[0:1], v[20:21] op_sel:[0,0,1] op_sel_hi:[1,1,0] neg_lo:[0,0,1] neg_hi:[0,0,1]
	v_pk_fma_f32 v[0:1], v[10:11], v[0:1], v[20:21] op_sel:[0,0,1] op_sel_hi:[1,0,0]
	v_pk_add_f32 v[8:9], v[32:33], 0 op_sel_hi:[1,0]
	v_mov_b32_e32 v27, v1
	v_pk_add_f32 v[0:1], v[8:9], v[26:27]
	v_pk_mul_f32 v[8:9], v[4:5], v[2:3] op_sel:[0,1]
	v_pk_fma_f32 v[10:11], v[4:5], v[2:3], v[8:9] op_sel:[0,0,1] op_sel_hi:[1,1,0] neg_lo:[0,0,1] neg_hi:[0,0,1]
	v_pk_fma_f32 v[2:3], v[4:5], v[2:3], v[8:9] op_sel:[0,0,1] op_sel_hi:[1,0,0]
	v_mov_b32_e32 v11, v3
	v_pk_mul_f32 v[2:3], v[6:7], v[18:19] op_sel:[0,1]
	v_pk_fma_f32 v[4:5], v[6:7], v[18:19], v[2:3] op_sel:[0,0,1] op_sel_hi:[1,1,0] neg_lo:[0,0,1] neg_hi:[0,0,1]
	v_pk_fma_f32 v[2:3], v[6:7], v[18:19], v[2:3] op_sel:[0,0,1] op_sel_hi:[1,0,0]
	v_pk_add_f32 v[0:1], v[0:1], v[10:11]
	v_mov_b32_e32 v5, v3
	v_pk_add_f32 v[0:1], v[0:1], v[4:5]
	s_barrier
	ds_write_b64 v23, v[0:1]
	s_waitcnt lgkmcnt(0)
	s_barrier
	s_and_saveexec_b64 s[4:5], s[2:3]
	s_cbranch_execz .LBB32_126
; %bb.125:
	ds_read2_b64 v[0:3], v24 offset1:1
	ds_read2_b64 v[4:7], v24 offset0:2 offset1:3
	ds_read2_b64 v[8:11], v24 offset0:4 offset1:5
	s_waitcnt lgkmcnt(2)
	v_pk_add_f32 v[0:1], v[30:31], v[0:1]
	v_pk_add_f32 v[18:19], v[0:1], v[2:3]
	ds_read2_b64 v[0:3], v24 offset0:6 offset1:7
	s_waitcnt lgkmcnt(2)
	v_pk_add_f32 v[4:5], v[18:19], v[4:5]
	v_pk_add_f32 v[4:5], v[4:5], v[6:7]
	s_waitcnt lgkmcnt(1)
	v_pk_add_f32 v[4:5], v[4:5], v[8:9]
	v_pk_add_f32 v[4:5], v[4:5], v[10:11]
	;; [unrolled: 3-line block ×3, first 2 shown]
.LBB32_126:
	s_or_b64 exec, exec, s[4:5]
	s_mul_hi_u32 s2, s33, s26
	s_mul_i32 s38, s38, s26
	s_add_i32 s2, s2, s38
	s_mul_i32 s4, s33, s26
	s_mul_i32 s2, s2, s7
	s_mul_hi_u32 s3, s4, s7
	s_add_i32 s3, s3, s2
	s_mul_i32 s2, s4, s7
	s_lshl_b64 s[2:3], s[2:3], 3
	s_add_u32 s4, s28, s2
	s_addc_u32 s5, s29, s3
	s_mul_hi_i32 s3, s33, s6
	s_mul_i32 s2, s33, s6
	s_lshl_b64 s[2:3], s[2:3], 3
	s_add_u32 s19, s4, s2
	s_addc_u32 s26, s5, s3
	s_add_i32 s2, s6, 1
	s_cmp_ge_u32 s2, s7
	v_lshlrev_b32_e32 v32, 3, v65
	s_barrier
	s_cbranch_scc1 .LBB32_184
; %bb.127:
	s_mul_i32 s2, s24, s17
	s_mul_hi_u32 s3, s24, s16
	s_add_i32 s2, s3, s2
	s_mul_i32 s3, s25, s16
	s_add_i32 s3, s2, s3
	s_mul_i32 s2, s24, s16
	s_lshl_b64 s[2:3], s[2:3], 3
	v_mov_b32_e32 v0, s3
	v_subrev_co_u32_e32 v123, vcc, s2, v14
	v_and_b32_e32 v1, 48, v65
	v_subb_co_u32_e32 v124, vcc, v15, v0, vcc
	v_and_b32_e32 v0, 15, v65
	v_lshlrev_b32_e32 v2, 3, v1
	s_movk_i32 s4, 0x218
	v_lshrrev_b32_e32 v4, 4, v22
	v_mad_u32_u24 v125, v0, s4, v2
	v_or_b32_e32 v2, 0x78, v32
	v_lshlrev_b32_e32 v5, 5, v109
	v_mad_u32_u24 v126, v0, s4, v2
	v_lshlrev_b32_e32 v2, 5, v4
	v_add_u32_e32 v3, 0x100, v5
	v_mad_u32_u24 v127, v0, s4, v2
	v_or_b32_e32 v128, v1, v0
	v_mad_u64_u32 v[0:1], s[4:5], s22, v3, 0
	v_mov_b32_e32 v2, v1
	v_mad_u64_u32 v[2:3], s[4:5], s23, v3, v[2:3]
	v_mov_b32_e32 v1, v2
	v_sub_co_u32_e32 v0, vcc, v0, v12
	v_subb_co_u32_e32 v1, vcc, v1, v13, vcc
	v_add_co_u32_e32 v34, vcc, v16, v0
	v_add_u32_e32 v3, 0x110, v5
	v_addc_co_u32_e32 v33, vcc, v17, v1, vcc
	v_mad_u64_u32 v[0:1], s[4:5], s22, v3, 0
	v_mov_b32_e32 v2, v1
	v_mad_u64_u32 v[2:3], s[4:5], s23, v3, v[2:3]
	v_mov_b32_e32 v1, v2
	v_sub_co_u32_e32 v0, vcc, v0, v12
	v_subb_co_u32_e32 v1, vcc, v1, v13, vcc
	v_add_co_u32_e32 v36, vcc, v16, v0
	v_add_u32_e32 v3, 0x108, v5
	v_addc_co_u32_e32 v35, vcc, v17, v1, vcc
	;; [unrolled: 9-line block ×12, first 2 shown]
	v_mad_u64_u32 v[0:1], s[4:5], s22, v3, 0
	v_mov_b32_e32 v2, v1
	v_mad_u64_u32 v[2:3], s[4:5], s23, v3, v[2:3]
	v_mov_b32_e32 v1, v2
	v_sub_co_u32_e32 v6, vcc, v0, v12
	v_add_u32_e32 v3, 0x290, v5
	v_subb_co_u32_e32 v7, vcc, v1, v13, vcc
	v_mad_u64_u32 v[0:1], s[4:5], s22, v3, 0
	v_mov_b32_e32 v2, v1
	v_mad_u64_u32 v[2:3], s[4:5], s23, v3, v[2:3]
	v_mov_b32_e32 v1, v2
	v_sub_co_u32_e32 v8, vcc, v0, v12
	v_add_u32_e32 v3, 0x288, v5
	v_subb_co_u32_e32 v9, vcc, v1, v13, vcc
	;; [unrolled: 7-line block ×3, first 2 shown]
	v_mad_u64_u32 v[0:1], s[4:5], s22, v3, 0
	v_mov_b32_e32 v2, v1
	v_add_co_u32_e32 v58, vcc, v16, v6
	v_mad_u64_u32 v[2:3], s[4:5], s23, v3, v[2:3]
	v_addc_co_u32_e32 v57, vcc, v17, v7, vcc
	v_mov_b32_e32 v1, v2
	v_sub_co_u32_e32 v0, vcc, v0, v12
	v_subb_co_u32_e32 v1, vcc, v1, v13, vcc
	v_add_co_u32_e32 v60, vcc, v16, v8
	v_addc_co_u32_e32 v59, vcc, v17, v9, vcc
	v_add_co_u32_e32 v62, vcc, v16, v10
	v_addc_co_u32_e32 v61, vcc, v17, v11, vcc
	v_add_co_u32_e32 v64, vcc, v16, v0
	s_movk_i32 s4, 0x860
	v_mul_i32_i24_e32 v0, 0xffffffe8, v4
	v_lshlrev_b32_e32 v131, 2, v109
	v_cmp_gt_u32_e64 s[2:3], 64, v22
	v_addc_co_u32_e32 v63, vcc, v17, v1, vcc
	s_add_i32 s25, s7, -2
	v_add_u32_e32 v129, 0x2180, v5
	s_add_i32 s24, s24, 64
	s_lshl_b64 s[10:11], s[22:23], 9
	s_mov_b32 s12, 0
	v_add_u32_e32 v130, v127, v0
	v_add_u32_e32 v132, 0x2180, v32
	;; [unrolled: 1-line block ×3, first 2 shown]
	v_or_b32_e32 v134, 1, v131
	v_or_b32_e32 v135, 2, v131
	;; [unrolled: 1-line block ×3, first 2 shown]
	v_mad_u32_u24 v137, v109, s4, v32
	v_add_u32_e32 v138, 16, v131
	v_add_u32_e32 v139, 17, v131
	;; [unrolled: 1-line block ×12, first 2 shown]
	v_mov_b32_e32 v66, 0
	s_branch .LBB32_129
.LBB32_128:                             ;   in Loop: Header=BB32_129 Depth=1
	s_or_b64 exec, exec, s[4:5]
	v_mul_f32_e32 v0, v69, v77
	v_fma_f32 v0, v68, v76, -v0
	v_mul_f32_e32 v2, v71, v79
	v_add_f32_e32 v0, v30, v0
	v_fma_f32 v2, v70, v78, -v2
	v_add_f32_e32 v0, v0, v2
	v_mul_f32_e32 v2, v73, v81
	v_fma_f32 v2, v72, v80, -v2
	v_mul_f32_e32 v1, v68, v77
	v_add_f32_e32 v0, v0, v2
	v_mul_f32_e32 v2, v75, v83
	v_mul_f32_e32 v3, v70, v79
	v_fma_f32 v2, v74, v82, -v2
	v_fmac_f32_e32 v1, v69, v76
	v_mul_f32_e32 v4, v72, v81
	v_add_f32_e32 v0, v0, v2
	v_add_f32_e32 v1, v31, v1
	v_fmac_f32_e32 v3, v71, v78
	v_mul_f32_e32 v2, v85, v93
	v_mul_f32_e32 v5, v74, v83
	v_add_f32_e32 v1, v1, v3
	v_fmac_f32_e32 v4, v73, v80
	v_fma_f32 v2, v84, v92, -v2
	v_add_f32_e32 v1, v1, v4
	v_fmac_f32_e32 v5, v75, v82
	v_mul_f32_e32 v6, v84, v93
	v_add_f32_e32 v0, v0, v2
	v_mul_f32_e32 v2, v87, v95
	v_add_f32_e32 v1, v1, v5
	v_fma_f32 v2, v86, v94, -v2
	v_mul_f32_e32 v7, v86, v95
	v_fmac_f32_e32 v6, v85, v92
	v_add_f32_e32 v0, v0, v2
	v_mul_f32_e32 v2, v89, v97
	v_mul_f32_e32 v3, v88, v97
	v_add_f32_e32 v1, v1, v6
	v_fmac_f32_e32 v7, v87, v94
	v_fma_f32 v2, v88, v96, -v2
	v_mul_f32_e32 v4, v91, v99
	v_mul_f32_e32 v5, v90, v99
	v_add_f32_e32 v1, v1, v7
	v_fmac_f32_e32 v3, v89, v96
	v_fma_f32 v4, v90, v98, -v4
	v_pk_add_f32 v[0:1], v[0:1], v[2:3]
	v_fmac_f32_e32 v5, v91, v98
	v_pk_mul_f32 v[2:3], v[100:101], v[110:111] op_sel:[1,0]
	v_pk_add_f32 v[0:1], v[0:1], v[4:5]
	v_pk_fma_f32 v[4:5], v[100:101], v[110:111], v[2:3] op_sel:[0,0,1] op_sel_hi:[1,1,0] neg_lo:[0,0,1] neg_hi:[0,0,1]
	v_pk_fma_f32 v[2:3], v[100:101], v[110:111], v[2:3] op_sel:[0,0,1] op_sel_hi:[0,1,0]
	v_mov_b32_e32 v5, v3
	v_pk_mul_f32 v[2:3], v[102:103], v[8:9] op_sel:[1,0]
	v_pk_add_f32 v[0:1], v[0:1], v[4:5]
	v_pk_fma_f32 v[4:5], v[102:103], v[8:9], v[2:3] op_sel:[0,0,1] op_sel_hi:[1,1,0] neg_lo:[0,0,1] neg_hi:[0,0,1]
	v_pk_fma_f32 v[2:3], v[102:103], v[8:9], v[2:3] op_sel:[0,0,1] op_sel_hi:[0,1,0]
	v_mov_b32_e32 v5, v3
	;; [unrolled: 5-line block ×3, first 2 shown]
	v_pk_mul_f32 v[2:3], v[108:109], v[112:113] op_sel_hi:[0,1]
	v_pk_add_f32 v[0:1], v[0:1], v[4:5]
	v_pk_fma_f32 v[4:5], v[106:107], v[112:113], v[2:3] op_sel:[0,0,1] op_sel_hi:[1,1,0] neg_lo:[0,0,1] neg_hi:[0,0,1]
	v_pk_fma_f32 v[2:3], v[106:107], v[112:113], v[2:3] op_sel:[0,0,1] op_sel_hi:[0,1,0]
	v_mov_b32_e32 v5, v3
	v_pk_mul_f32 v[2:3], v[114:115], v[16:17] op_sel:[1,0]
	v_pk_add_f32 v[0:1], v[0:1], v[4:5]
	v_pk_fma_f32 v[4:5], v[114:115], v[16:17], v[2:3] op_sel:[0,0,1] op_sel_hi:[1,1,0] neg_lo:[0,0,1] neg_hi:[0,0,1]
	v_pk_fma_f32 v[2:3], v[114:115], v[16:17], v[2:3] op_sel:[0,0,1] op_sel_hi:[0,1,0]
	v_mov_b32_e32 v5, v3
	v_pk_mul_f32 v[2:3], v[116:117], v[18:19] op_sel:[1,0]
	v_pk_fma_f32 v[6:7], v[116:117], v[18:19], v[2:3] op_sel:[0,0,1] op_sel_hi:[1,1,0] neg_lo:[0,0,1] neg_hi:[0,0,1]
	v_pk_fma_f32 v[2:3], v[116:117], v[18:19], v[2:3] op_sel:[0,0,1] op_sel_hi:[0,1,0]
	v_mov_b32_e32 v7, v3
	v_pk_mul_f32 v[2:3], v[118:119], v[12:13] op_sel:[1,0]
	v_pk_fma_f32 v[8:9], v[118:119], v[12:13], v[2:3] op_sel:[0,0,1] op_sel_hi:[1,1,0] neg_lo:[0,0,1] neg_hi:[0,0,1]
	v_pk_fma_f32 v[2:3], v[118:119], v[12:13], v[2:3] op_sel:[0,0,1] op_sel_hi:[0,1,0]
	v_mov_b32_e32 v9, v3
	v_pk_mul_f32 v[2:3], v[122:123], v[14:15] op_sel_hi:[0,1]
	v_pk_add_f32 v[0:1], v[0:1], v[4:5]
	v_pk_fma_f32 v[10:11], v[120:121], v[14:15], v[2:3] op_sel:[0,0,1] op_sel_hi:[1,1,0] neg_lo:[0,0,1] neg_hi:[0,0,1]
	v_pk_fma_f32 v[2:3], v[120:121], v[14:15], v[2:3] op_sel:[0,0,1] op_sel_hi:[0,1,0]
	v_pk_add_f32 v[0:1], v[0:1], v[6:7]
	v_mov_b32_e32 v11, v3
	v_pk_add_f32 v[0:1], v[0:1], v[8:9]
	v_pk_add_f32 v[30:31], v[0:1], v[10:11]
	v_mov_b32_e32 v0, s11
	v_add_co_u32_e32 v34, vcc, s10, v34
	v_addc_co_u32_e32 v33, vcc, v33, v0, vcc
	v_add_co_u32_e32 v36, vcc, s10, v36
	v_addc_co_u32_e32 v35, vcc, v35, v0, vcc
	;; [unrolled: 2-line block ×15, first 2 shown]
	s_add_i32 s4, s6, 1
	s_add_i32 s24, s24, 64
	;; [unrolled: 1-line block ×3, first 2 shown]
	v_add_co_u32_e32 v64, vcc, s10, v64
	v_addc_co_u32_e32 v63, vcc, v63, v0, vcc
	s_cmp_ge_u32 s5, s7
	s_mov_b32 s6, s4
	s_barrier
	s_cbranch_scc1 .LBB32_184
.LBB32_129:                             ; =>This Inner Loop Header: Depth=1
	s_cmp_eq_u32 s25, s6
	s_cselect_b32 s28, s27, 0
	s_and_saveexec_b64 s[4:5], s[0:1]
	s_cbranch_execz .LBB32_134
; %bb.130:                              ;   in Loop: Header=BB32_129 Depth=1
	s_cmp_lg_u32 s28, 0
	s_cselect_b64 s[8:9], -1, 0
	v_cmp_le_i32_e32 vcc, s28, v65
	s_and_b64 s[8:9], s[8:9], vcc
	s_and_saveexec_b64 s[14:15], s[8:9]
	s_xor_b64 s[8:9], exec, s[14:15]
	s_cbranch_execz .LBB32_132
; %bb.131:                              ;   in Loop: Header=BB32_129 Depth=1
	v_mov_b32_e32 v67, v66
	ds_write_b64 v132, v[66:67]
.LBB32_132:                             ;   in Loop: Header=BB32_129 Depth=1
	s_andn2_saveexec_b64 s[8:9], s[8:9]
	s_cbranch_execz .LBB32_134
; %bb.133:                              ;   in Loop: Header=BB32_129 Depth=1
	s_ashr_i32 s8, s24, 31
	s_mul_i32 s9, s24, s17
	s_mul_hi_u32 s13, s24, s16
	s_add_i32 s9, s13, s9
	s_mul_i32 s8, s8, s16
	s_add_i32 s9, s9, s8
	s_mul_i32 s8, s24, s16
	s_lshl_b64 s[8:9], s[8:9], 3
	v_mov_b32_e32 v1, s9
	v_add_co_u32_e32 v0, vcc, s8, v123
	v_addc_co_u32_e32 v1, vcc, v124, v1, vcc
	flat_load_dwordx2 v[0:1], v[0:1]
	s_waitcnt vmcnt(0) lgkmcnt(0)
	ds_write_b64 v132, v[0:1]
.LBB32_134:                             ;   in Loop: Header=BB32_129 Depth=1
	s_or_b64 exec, exec, s[4:5]
	s_cmp_eq_u32 s28, 0
	v_add_co_u32_e32 v0, vcc, v34, v32
	s_cselect_b64 s[14:15], -1, 0
	s_cmp_lg_u32 s28, 0
	v_addc_co_u32_e32 v1, vcc, 0, v33, vcc
	s_cselect_b64 s[8:9], -1, 0
	s_and_b64 vcc, exec, s[8:9]
	s_waitcnt lgkmcnt(0)
	s_barrier
	s_cbranch_vccz .LBB32_142
; %bb.135:                              ;   in Loop: Header=BB32_129 Depth=1
	s_mov_b32 s13, s12
	v_cmp_gt_i32_e32 vcc, s28, v131
	v_pk_mov_b32 v[68:69], s[12:13], s[12:13] op_sel:[0,1]
	s_and_saveexec_b64 s[4:5], vcc
	s_cbranch_execz .LBB32_137
; %bb.136:                              ;   in Loop: Header=BB32_129 Depth=1
	flat_load_dwordx2 v[68:69], v[0:1]
.LBB32_137:                             ;   in Loop: Header=BB32_129 Depth=1
	s_or_b64 exec, exec, s[4:5]
	v_cmp_gt_i32_e32 vcc, s28, v134
	v_pk_mov_b32 v[70:71], s[12:13], s[12:13] op_sel:[0,1]
	s_and_saveexec_b64 s[4:5], vcc
	s_cbranch_execz .LBB32_139
; %bb.138:                              ;   in Loop: Header=BB32_129 Depth=1
	v_add_co_u32_e32 v2, vcc, v38, v32
	v_addc_co_u32_e32 v3, vcc, 0, v37, vcc
	flat_load_dwordx2 v[70:71], v[2:3]
.LBB32_139:                             ;   in Loop: Header=BB32_129 Depth=1
	s_or_b64 exec, exec, s[4:5]
	s_mov_b32 s13, s12
	v_cmp_gt_i32_e32 vcc, s28, v135
	v_pk_mov_b32 v[72:73], s[12:13], s[12:13] op_sel:[0,1]
	s_and_saveexec_b64 s[4:5], vcc
	s_cbranch_execz .LBB32_141
; %bb.140:                              ;   in Loop: Header=BB32_129 Depth=1
	v_add_co_u32_e32 v2, vcc, v36, v32
	v_addc_co_u32_e32 v3, vcc, 0, v35, vcc
	flat_load_dwordx2 v[72:73], v[2:3]
.LBB32_141:                             ;   in Loop: Header=BB32_129 Depth=1
	s_or_b64 exec, exec, s[4:5]
	v_cmp_gt_i32_e64 s[4:5], s28, v136
	s_mov_b32 s13, 0
	s_branch .LBB32_144
.LBB32_142:                             ;   in Loop: Header=BB32_129 Depth=1
	s_mov_b64 s[4:5], 0
                                        ; implicit-def: $sgpr13
                                        ; implicit-def: $vgpr72_vgpr73
                                        ; implicit-def: $vgpr70_vgpr71
                                        ; implicit-def: $vgpr68_vgpr69
	s_cbranch_execz .LBB32_144
; %bb.143:                              ;   in Loop: Header=BB32_129 Depth=1
	s_waitcnt vmcnt(0) lgkmcnt(0)
	flat_load_dwordx2 v[68:69], v[0:1]
	v_add_co_u32_e32 v0, vcc, v38, v32
	v_addc_co_u32_e32 v1, vcc, 0, v37, vcc
	flat_load_dwordx2 v[70:71], v[0:1]
	v_add_co_u32_e32 v0, vcc, v36, v32
	v_addc_co_u32_e32 v1, vcc, 0, v35, vcc
	flat_load_dwordx2 v[72:73], v[0:1]
	s_or_b64 s[4:5], s[4:5], exec
                                        ; implicit-def: $sgpr13
.LBB32_144:                             ;   in Loop: Header=BB32_129 Depth=1
	v_mov_b32_e32 v74, s13
	v_mov_b32_e32 v75, s13
	s_and_saveexec_b64 s[22:23], s[4:5]
	s_cbranch_execz .LBB32_146
; %bb.145:                              ;   in Loop: Header=BB32_129 Depth=1
	v_add_co_u32_e32 v0, vcc, v40, v32
	v_addc_co_u32_e32 v1, vcc, 0, v39, vcc
	flat_load_dwordx2 v[74:75], v[0:1]
.LBB32_146:                             ;   in Loop: Header=BB32_129 Depth=1
	s_or_b64 exec, exec, s[22:23]
	ds_read_b64 v[0:1], v133
	ds_read_b64 v[76:77], v129
	v_cndmask_b32_e64 v8, 0, 1, s[8:9]
	v_cmp_ne_u32_e64 s[4:5], 1, v8
	s_andn2_b64 vcc, exec, s[8:9]
	s_waitcnt vmcnt(0) lgkmcnt(0)
	v_mul_f32_e32 v2, v69, v1
	v_mul_f32_e32 v3, v69, v0
	v_fmac_f32_e32 v2, v68, v0
	v_fma_f32 v3, v68, v1, -v3
	v_mul_f32_e32 v4, v71, v1
	ds_write_b64 v137, v[2:3]
	v_mul_f32_e32 v2, v71, v0
	v_fmac_f32_e32 v4, v70, v0
	v_fma_f32 v5, v70, v1, -v2
	v_mul_f32_e32 v2, v73, v1
	v_mul_f32_e32 v3, v73, v0
	ds_read_b64 v[78:79], v129 offset:8
	ds_write_b64 v137, v[4:5] offset:536
	v_fmac_f32_e32 v2, v72, v0
	v_fma_f32 v3, v72, v1, -v3
	ds_read_b64 v[80:81], v129 offset:16
	ds_write_b64 v137, v[2:3] offset:1072
	v_mul_f32_e32 v2, v75, v1
	v_fmac_f32_e32 v2, v74, v0
	v_mul_f32_e32 v0, v75, v0
	v_fma_f32 v3, v74, v1, -v0
	ds_read_b64 v[82:83], v129 offset:24
	ds_write_b64 v137, v[2:3] offset:1608
	s_waitcnt lgkmcnt(0)
	s_barrier
	ds_read2_b64 v[4:7], v127 offset1:1
	ds_read2_b64 v[0:3], v127 offset0:2 offset1:3
	v_add_co_u32_e64 v8, s[8:9], v42, v32
	v_addc_co_u32_e64 v9, s[8:9], 0, v41, s[8:9]
	s_waitcnt lgkmcnt(0)
	s_barrier
	s_cbranch_vccnz .LBB32_154
; %bb.147:                              ;   in Loop: Header=BB32_129 Depth=1
	s_mov_b32 s13, s12
	v_cmp_gt_i32_e32 vcc, s28, v138
	v_pk_mov_b32 v[84:85], s[12:13], s[12:13] op_sel:[0,1]
	s_and_saveexec_b64 s[8:9], vcc
	s_cbranch_execz .LBB32_149
; %bb.148:                              ;   in Loop: Header=BB32_129 Depth=1
	flat_load_dwordx2 v[84:85], v[8:9]
.LBB32_149:                             ;   in Loop: Header=BB32_129 Depth=1
	s_or_b64 exec, exec, s[8:9]
	v_cmp_gt_i32_e32 vcc, s28, v139
	v_pk_mov_b32 v[86:87], s[12:13], s[12:13] op_sel:[0,1]
	s_and_saveexec_b64 s[8:9], vcc
	s_cbranch_execz .LBB32_151
; %bb.150:                              ;   in Loop: Header=BB32_129 Depth=1
	v_add_co_u32_e32 v10, vcc, v46, v32
	v_addc_co_u32_e32 v11, vcc, 0, v45, vcc
	flat_load_dwordx2 v[86:87], v[10:11]
.LBB32_151:                             ;   in Loop: Header=BB32_129 Depth=1
	s_or_b64 exec, exec, s[8:9]
	s_mov_b32 s13, s12
	v_cmp_gt_i32_e32 vcc, s28, v140
	v_pk_mov_b32 v[88:89], s[12:13], s[12:13] op_sel:[0,1]
	s_and_saveexec_b64 s[8:9], vcc
	s_cbranch_execz .LBB32_153
; %bb.152:                              ;   in Loop: Header=BB32_129 Depth=1
	v_add_co_u32_e32 v10, vcc, v44, v32
	v_addc_co_u32_e32 v11, vcc, 0, v43, vcc
	flat_load_dwordx2 v[88:89], v[10:11]
.LBB32_153:                             ;   in Loop: Header=BB32_129 Depth=1
	s_or_b64 exec, exec, s[8:9]
	v_cmp_gt_i32_e64 s[8:9], s28, v141
	s_mov_b32 s13, 0
	s_branch .LBB32_156
.LBB32_154:                             ;   in Loop: Header=BB32_129 Depth=1
	s_mov_b64 s[8:9], 0
                                        ; implicit-def: $sgpr13
                                        ; implicit-def: $vgpr88_vgpr89
                                        ; implicit-def: $vgpr86_vgpr87
                                        ; implicit-def: $vgpr84_vgpr85
	s_cbranch_execz .LBB32_156
; %bb.155:                              ;   in Loop: Header=BB32_129 Depth=1
	s_waitcnt vmcnt(0) lgkmcnt(0)
	flat_load_dwordx2 v[84:85], v[8:9]
	v_add_co_u32_e32 v8, vcc, v46, v32
	v_addc_co_u32_e32 v9, vcc, 0, v45, vcc
	flat_load_dwordx2 v[86:87], v[8:9]
	v_add_co_u32_e32 v8, vcc, v44, v32
	v_addc_co_u32_e32 v9, vcc, 0, v43, vcc
	flat_load_dwordx2 v[88:89], v[8:9]
	s_or_b64 s[8:9], s[8:9], exec
                                        ; implicit-def: $sgpr13
.LBB32_156:                             ;   in Loop: Header=BB32_129 Depth=1
	v_mov_b32_e32 v90, s13
	v_mov_b32_e32 v91, s13
	s_and_saveexec_b64 s[22:23], s[8:9]
	s_cbranch_execz .LBB32_158
; %bb.157:                              ;   in Loop: Header=BB32_129 Depth=1
	v_add_co_u32_e32 v8, vcc, v48, v32
	v_addc_co_u32_e32 v9, vcc, 0, v47, vcc
	flat_load_dwordx2 v[90:91], v[8:9]
.LBB32_158:                             ;   in Loop: Header=BB32_129 Depth=1
	s_or_b64 exec, exec, s[22:23]
	ds_read_b64 v[8:9], v133
	ds_read_b64 v[92:93], v129 offset:128
	s_and_b64 vcc, exec, s[4:5]
	s_waitcnt vmcnt(0) lgkmcnt(0)
	v_mul_f32_e32 v10, v85, v9
	v_mul_f32_e32 v11, v85, v8
	v_fmac_f32_e32 v10, v84, v8
	v_fma_f32 v11, v84, v9, -v11
	v_mul_f32_e32 v12, v87, v9
	ds_write_b64 v137, v[10:11]
	v_mul_f32_e32 v10, v87, v8
	v_fmac_f32_e32 v12, v86, v8
	v_fma_f32 v13, v86, v9, -v10
	v_mul_f32_e32 v10, v89, v9
	v_mul_f32_e32 v11, v89, v8
	ds_read_b64 v[94:95], v129 offset:136
	ds_write_b64 v137, v[12:13] offset:536
	v_fmac_f32_e32 v10, v88, v8
	v_fma_f32 v11, v88, v9, -v11
	ds_read_b64 v[96:97], v129 offset:144
	ds_write_b64 v137, v[10:11] offset:1072
	v_mul_f32_e32 v10, v91, v9
	v_fmac_f32_e32 v10, v90, v8
	v_mul_f32_e32 v8, v91, v8
	v_fma_f32 v11, v90, v9, -v8
	ds_read_b64 v[98:99], v129 offset:152
	ds_write_b64 v137, v[10:11] offset:1608
	s_waitcnt lgkmcnt(0)
	s_barrier
	ds_read2_b64 v[16:19], v127 offset1:1
	ds_read2_b64 v[12:15], v127 offset0:2 offset1:3
	v_add_co_u32_e64 v8, s[8:9], v50, v32
	v_addc_co_u32_e64 v9, s[8:9], 0, v49, s[8:9]
	s_waitcnt lgkmcnt(0)
	s_barrier
	s_cbranch_vccnz .LBB32_166
; %bb.159:                              ;   in Loop: Header=BB32_129 Depth=1
	s_mov_b32 s13, s12
	v_cmp_gt_i32_e32 vcc, s28, v142
	v_pk_mov_b32 v[100:101], s[12:13], s[12:13] op_sel:[0,1]
	s_and_saveexec_b64 s[8:9], vcc
	s_cbranch_execz .LBB32_161
; %bb.160:                              ;   in Loop: Header=BB32_129 Depth=1
	flat_load_dwordx2 v[100:101], v[8:9]
.LBB32_161:                             ;   in Loop: Header=BB32_129 Depth=1
	s_or_b64 exec, exec, s[8:9]
	v_cmp_gt_i32_e32 vcc, s28, v143
	v_pk_mov_b32 v[102:103], s[12:13], s[12:13] op_sel:[0,1]
	s_and_saveexec_b64 s[8:9], vcc
	s_cbranch_execz .LBB32_163
; %bb.162:                              ;   in Loop: Header=BB32_129 Depth=1
	v_add_co_u32_e32 v10, vcc, v54, v32
	v_addc_co_u32_e32 v11, vcc, 0, v53, vcc
	flat_load_dwordx2 v[102:103], v[10:11]
.LBB32_163:                             ;   in Loop: Header=BB32_129 Depth=1
	s_or_b64 exec, exec, s[8:9]
	s_mov_b32 s13, s12
	v_cmp_gt_i32_e32 vcc, s28, v144
	v_pk_mov_b32 v[104:105], s[12:13], s[12:13] op_sel:[0,1]
	s_and_saveexec_b64 s[8:9], vcc
	s_cbranch_execz .LBB32_165
; %bb.164:                              ;   in Loop: Header=BB32_129 Depth=1
	v_add_co_u32_e32 v10, vcc, v52, v32
	v_addc_co_u32_e32 v11, vcc, 0, v51, vcc
	flat_load_dwordx2 v[104:105], v[10:11]
.LBB32_165:                             ;   in Loop: Header=BB32_129 Depth=1
	s_or_b64 exec, exec, s[8:9]
	v_cmp_gt_i32_e64 s[8:9], s28, v145
	s_mov_b32 s13, 0
	s_branch .LBB32_168
.LBB32_166:                             ;   in Loop: Header=BB32_129 Depth=1
	s_mov_b64 s[8:9], 0
                                        ; implicit-def: $sgpr13
                                        ; implicit-def: $vgpr104_vgpr105
                                        ; implicit-def: $vgpr102_vgpr103
                                        ; implicit-def: $vgpr100_vgpr101
	s_cbranch_execz .LBB32_168
; %bb.167:                              ;   in Loop: Header=BB32_129 Depth=1
	s_waitcnt vmcnt(0) lgkmcnt(0)
	flat_load_dwordx2 v[100:101], v[8:9]
	v_add_co_u32_e32 v8, vcc, v54, v32
	v_addc_co_u32_e32 v9, vcc, 0, v53, vcc
	flat_load_dwordx2 v[102:103], v[8:9]
	v_add_co_u32_e32 v8, vcc, v52, v32
	v_addc_co_u32_e32 v9, vcc, 0, v51, vcc
	flat_load_dwordx2 v[104:105], v[8:9]
	s_or_b64 s[8:9], s[8:9], exec
                                        ; implicit-def: $sgpr13
.LBB32_168:                             ;   in Loop: Header=BB32_129 Depth=1
	v_mov_b32_e32 v106, s13
	v_mov_b32_e32 v108, s13
	s_and_saveexec_b64 s[22:23], s[8:9]
	s_cbranch_execz .LBB32_170
; %bb.169:                              ;   in Loop: Header=BB32_129 Depth=1
	v_add_co_u32_e32 v8, vcc, v56, v32
	v_addc_co_u32_e32 v9, vcc, 0, v55, vcc
	flat_load_dwordx2 v[106:107], v[8:9]
	s_waitcnt vmcnt(0) lgkmcnt(0)
	v_mov_b32_e32 v108, v107
.LBB32_170:                             ;   in Loop: Header=BB32_129 Depth=1
	s_or_b64 exec, exec, s[22:23]
	ds_read_b64 v[8:9], v133
	ds_read_b64 v[110:111], v129 offset:256
	s_and_b64 vcc, exec, s[4:5]
	v_add_co_u32_e64 v120, s[4:5], v58, v32
	s_waitcnt vmcnt(0) lgkmcnt(0)
	v_mul_f32_e32 v10, v101, v9
	v_mul_f32_e32 v11, v101, v8
	;; [unrolled: 1-line block ×4, first 2 shown]
	v_fmac_f32_e32 v10, v100, v8
	v_fma_f32 v11, v100, v9, -v11
	v_fmac_f32_e32 v20, v102, v8
	v_fma_f32 v21, v102, v9, -v21
	ds_write2_b64 v137, v[10:11], v[20:21] offset1:67
	v_mul_f32_e32 v10, v105, v9
	v_mul_f32_e32 v20, v108, v9
	v_fmac_f32_e32 v10, v104, v8
	v_mul_f32_e32 v11, v105, v8
	v_fmac_f32_e32 v20, v106, v8
	v_mul_f32_e32 v8, v108, v8
	v_fma_f32 v11, v104, v9, -v11
	v_fma_f32 v21, v106, v9, -v8
	ds_write2_b64 v137, v[10:11], v[20:21] offset0:134 offset1:201
	ds_read2_b64 v[8:11], v129 offset0:33 offset1:34
	ds_read_b64 v[112:113], v129 offset:280
	s_waitcnt lgkmcnt(0)
	s_barrier
	ds_read2_b64 v[24:27], v127 offset1:1
	ds_read2_b64 v[20:23], v127 offset0:2 offset1:3
	v_addc_co_u32_e64 v121, s[4:5], 0, v57, s[4:5]
	s_waitcnt lgkmcnt(0)
	s_barrier
	s_cbranch_vccnz .LBB32_178
; %bb.171:                              ;   in Loop: Header=BB32_129 Depth=1
	s_mov_b32 s13, s12
	v_cmp_gt_i32_e32 vcc, s28, v146
	v_pk_mov_b32 v[114:115], s[12:13], s[12:13] op_sel:[0,1]
	s_and_saveexec_b64 s[4:5], vcc
	s_cbranch_execz .LBB32_173
; %bb.172:                              ;   in Loop: Header=BB32_129 Depth=1
	flat_load_dwordx2 v[114:115], v[120:121]
.LBB32_173:                             ;   in Loop: Header=BB32_129 Depth=1
	s_or_b64 exec, exec, s[4:5]
	v_cmp_gt_i32_e32 vcc, s28, v147
	v_pk_mov_b32 v[116:117], s[12:13], s[12:13] op_sel:[0,1]
	s_and_saveexec_b64 s[4:5], vcc
	s_cbranch_execz .LBB32_175
; %bb.174:                              ;   in Loop: Header=BB32_129 Depth=1
	v_add_co_u32_e32 v116, vcc, v62, v32
	v_addc_co_u32_e32 v117, vcc, 0, v61, vcc
	flat_load_dwordx2 v[116:117], v[116:117]
.LBB32_175:                             ;   in Loop: Header=BB32_129 Depth=1
	s_or_b64 exec, exec, s[4:5]
	s_mov_b32 s13, s12
	v_cmp_gt_i32_e32 vcc, s28, v148
	v_pk_mov_b32 v[118:119], s[12:13], s[12:13] op_sel:[0,1]
	s_and_saveexec_b64 s[4:5], vcc
	s_cbranch_execz .LBB32_177
; %bb.176:                              ;   in Loop: Header=BB32_129 Depth=1
	v_add_co_u32_e32 v118, vcc, v60, v32
	v_addc_co_u32_e32 v119, vcc, 0, v59, vcc
	flat_load_dwordx2 v[118:119], v[118:119]
.LBB32_177:                             ;   in Loop: Header=BB32_129 Depth=1
	s_or_b64 exec, exec, s[4:5]
	v_cmp_gt_i32_e64 s[4:5], s28, v149
	s_mov_b32 s13, 0
	s_branch .LBB32_180
.LBB32_178:                             ;   in Loop: Header=BB32_129 Depth=1
	s_mov_b64 s[4:5], 0
                                        ; implicit-def: $sgpr13
                                        ; implicit-def: $vgpr118_vgpr119
                                        ; implicit-def: $vgpr116_vgpr117
                                        ; implicit-def: $vgpr114_vgpr115
	s_cbranch_execz .LBB32_180
; %bb.179:                              ;   in Loop: Header=BB32_129 Depth=1
	s_waitcnt vmcnt(0) lgkmcnt(0)
	v_add_co_u32_e32 v116, vcc, v62, v32
	v_addc_co_u32_e32 v117, vcc, 0, v61, vcc
	v_add_co_u32_e32 v118, vcc, v60, v32
	v_addc_co_u32_e32 v119, vcc, 0, v59, vcc
	flat_load_dwordx2 v[114:115], v[120:121]
	s_or_b64 s[4:5], s[4:5], exec
	flat_load_dwordx2 v[116:117], v[116:117]
                                        ; implicit-def: $sgpr13
	s_nop 0
	flat_load_dwordx2 v[118:119], v[118:119]
.LBB32_180:                             ;   in Loop: Header=BB32_129 Depth=1
	v_mov_b32_e32 v120, s13
	v_mov_b32_e32 v122, s13
	s_and_saveexec_b64 s[8:9], s[4:5]
	s_cbranch_execz .LBB32_182
; %bb.181:                              ;   in Loop: Header=BB32_129 Depth=1
	v_add_co_u32_e32 v120, vcc, v64, v32
	v_addc_co_u32_e32 v121, vcc, 0, v63, vcc
	flat_load_dwordx2 v[120:121], v[120:121]
	s_waitcnt vmcnt(0) lgkmcnt(0)
	v_mov_b32_e32 v122, v121
.LBB32_182:                             ;   in Loop: Header=BB32_129 Depth=1
	s_or_b64 exec, exec, s[8:9]
	v_pk_add_f32 v[24:25], v[24:25], 0 op_sel_hi:[1,0]
	v_pk_add_f32 v[24:25], v[24:25], v[26:27]
	v_pk_add_f32 v[20:21], v[24:25], v[20:21]
	;; [unrolled: 1-line block ×3, first 2 shown]
	ds_read_b64 v[20:21], v133
	v_pk_add_f32 v[16:17], v[16:17], 0 op_sel_hi:[1,0]
	v_pk_add_f32 v[16:17], v[16:17], v[18:19]
	v_pk_add_f32 v[12:13], v[16:17], v[12:13]
	;; [unrolled: 1-line block ×3, first 2 shown]
	s_waitcnt vmcnt(0) lgkmcnt(0)
	v_mul_f32_e32 v12, v115, v21
	v_mul_f32_e32 v13, v115, v20
	;; [unrolled: 1-line block ×4, first 2 shown]
	v_fmac_f32_e32 v12, v114, v20
	v_fma_f32 v13, v114, v21, -v13
	v_fmac_f32_e32 v14, v116, v20
	v_fma_f32 v15, v116, v21, -v15
	ds_write2_b64 v137, v[12:13], v[14:15] offset1:67
	v_mul_f32_e32 v12, v119, v21
	v_mul_f32_e32 v13, v119, v20
	;; [unrolled: 1-line block ×4, first 2 shown]
	v_fmac_f32_e32 v12, v118, v20
	v_fma_f32 v13, v118, v21, -v13
	v_fmac_f32_e32 v14, v120, v20
	v_fma_f32 v15, v120, v21, -v15
	ds_write2_b64 v137, v[12:13], v[14:15] offset0:134 offset1:201
	ds_read_b128 v[16:19], v129 offset:384
	ds_read_b128 v[12:15], v129 offset:400
	s_waitcnt lgkmcnt(0)
	s_barrier
	ds_read2_b64 v[20:23], v127 offset1:1
	v_pk_add_f32 v[4:5], v[4:5], 0 op_sel_hi:[1,0]
	v_pk_add_f32 v[150:151], v[4:5], v[6:7]
	ds_read2_b64 v[4:7], v127 offset0:2 offset1:3
	v_pk_add_f32 v[0:1], v[150:151], v[0:1]
	v_pk_add_f32 v[0:1], v[0:1], v[2:3]
	s_waitcnt lgkmcnt(1)
	v_pk_add_f32 v[2:3], v[20:21], 0 op_sel_hi:[1,0]
	v_cmp_gt_i32_e32 vcc, s28, v65
	v_pk_add_f32 v[2:3], v[2:3], v[22:23]
	s_or_b64 s[4:5], s[14:15], vcc
	s_waitcnt lgkmcnt(0)
	v_pk_add_f32 v[2:3], v[2:3], v[4:5]
	s_and_b64 s[8:9], s[2:3], s[4:5]
	v_pk_add_f32 v[2:3], v[2:3], v[6:7]
	s_barrier
	ds_write2_b64 v130, v[0:1], v[26:27] offset1:16
	ds_write2_b64 v130, v[24:25], v[2:3] offset0:32 offset1:48
	s_waitcnt lgkmcnt(0)
	s_barrier
	s_and_saveexec_b64 s[4:5], s[8:9]
	s_cbranch_execz .LBB32_128
; %bb.183:                              ;   in Loop: Header=BB32_129 Depth=1
	ds_read_b64 v[20:21], v125
	ds_read2_b64 v[0:3], v125 offset0:1 offset1:2
	ds_read2_b64 v[4:7], v125 offset0:3 offset1:4
	v_mov_b32_e32 v25, s26
	s_waitcnt lgkmcnt(1)
	v_add_f32_e32 v0, v0, v20
	v_add_f32_e32 v1, v1, v21
	v_add_f32_e32 v20, v0, v2
	v_add_f32_e32 v21, v1, v3
	ds_read2_b64 v[0:3], v125 offset0:5 offset1:6
	s_waitcnt lgkmcnt(1)
	v_add_f32_e32 v4, v20, v4
	v_add_f32_e32 v5, v21, v5
	;; [unrolled: 1-line block ×3, first 2 shown]
	v_add_u32_e32 v4, s24, v128
	v_add_f32_e32 v21, v5, v7
	v_ashrrev_i32_e32 v5, 31, v4
	v_lshlrev_b64 v[22:23], 3, v[4:5]
	ds_read2_b64 v[4:7], v125 offset0:7 offset1:8
	v_add_co_u32_e32 v24, vcc, s19, v22
	v_addc_co_u32_e32 v25, vcc, v25, v23, vcc
	s_waitcnt lgkmcnt(1)
	v_pk_add_f32 v[0:1], v[20:21], v[0:1]
	ds_read2_b64 v[20:23], v125 offset0:9 offset1:10
	v_pk_add_f32 v[0:1], v[0:1], v[2:3]
	s_waitcnt lgkmcnt(1)
	v_pk_add_f32 v[0:1], v[0:1], v[4:5]
	v_pk_add_f32 v[4:5], v[0:1], v[6:7]
	ds_read2_b64 v[0:3], v125 offset0:11 offset1:12
	s_waitcnt lgkmcnt(1)
	v_pk_add_f32 v[20:21], v[4:5], v[20:21]
	ds_read2_b64 v[4:7], v125 offset0:13 offset1:14
	v_pk_add_f32 v[20:21], v[20:21], v[22:23]
	ds_read_b64 v[22:23], v126
	s_waitcnt lgkmcnt(2)
	v_pk_add_f32 v[0:1], v[20:21], v[0:1]
	v_pk_add_f32 v[0:1], v[0:1], v[2:3]
	s_waitcnt lgkmcnt(1)
	v_pk_add_f32 v[0:1], v[0:1], v[4:5]
	v_pk_add_f32 v[0:1], v[0:1], v[6:7]
	s_waitcnt lgkmcnt(0)
	v_pk_add_f32 v[0:1], v[0:1], v[22:23]
	global_store_dwordx2 v[24:25], v[0:1], off
	s_branch .LBB32_128
.LBB32_184:
	s_movk_i32 s2, 0x218
	v_cmp_gt_i32_e32 vcc, s18, v65
	v_mad_u32_u24 v0, v109, s2, v32
	s_or_b64 s[2:3], s[20:21], vcc
	s_and_b64 s[0:1], s[0:1], s[2:3]
	ds_write_b64 v0, v[30:31]
	s_waitcnt lgkmcnt(0)
	s_barrier
	s_and_saveexec_b64 s[2:3], s[0:1]
	s_cbranch_execz .LBB32_186
; %bb.185:
	ds_read2_b64 v[0:3], v32 offset1:67
	ds_read2_b64 v[4:7], v32 offset0:134 offset1:201
	v_lshlrev_b64 v[8:9], 3, v[28:29]
	v_mov_b32_e32 v10, s26
	v_add_co_u32_e32 v8, vcc, s19, v8
	s_waitcnt lgkmcnt(1)
	v_pk_add_f32 v[0:1], v[2:3], v[0:1]
	s_waitcnt lgkmcnt(0)
	v_pk_add_f32 v[0:1], v[0:1], v[4:5]
	v_addc_co_u32_e32 v9, vcc, v10, v9, vcc
	v_pk_add_f32 v[0:1], v[0:1], v[6:7]
	global_store_dwordx2 v[8:9], v[0:1], off
.LBB32_186:
	s_endpgm
	.section	.rodata,"a",@progbits
	.p2align	6, 0x0
	.amdhsa_kernel _ZL26rocblas_hemvn_kernel_upperILb1ELi64ELi4ELi33ELi32ELi16ElPK19rocblas_complex_numIfEPKS3_PS1_EviT6_lT7_lT5_lS8_lS9_lS7_lT8_i
		.amdhsa_group_segment_fixed_size 9600
		.amdhsa_private_segment_fixed_size 0
		.amdhsa_kernarg_size 376
		.amdhsa_user_sgpr_count 6
		.amdhsa_user_sgpr_private_segment_buffer 1
		.amdhsa_user_sgpr_dispatch_ptr 0
		.amdhsa_user_sgpr_queue_ptr 0
		.amdhsa_user_sgpr_kernarg_segment_ptr 1
		.amdhsa_user_sgpr_dispatch_id 0
		.amdhsa_user_sgpr_flat_scratch_init 0
		.amdhsa_user_sgpr_kernarg_preload_length 0
		.amdhsa_user_sgpr_kernarg_preload_offset 0
		.amdhsa_user_sgpr_private_segment_size 0
		.amdhsa_uses_dynamic_stack 0
		.amdhsa_system_sgpr_private_segment_wavefront_offset 0
		.amdhsa_system_sgpr_workgroup_id_x 1
		.amdhsa_system_sgpr_workgroup_id_y 0
		.amdhsa_system_sgpr_workgroup_id_z 1
		.amdhsa_system_sgpr_workgroup_info 0
		.amdhsa_system_vgpr_workitem_id 1
		.amdhsa_next_free_vgpr 152
		.amdhsa_next_free_sgpr 42
		.amdhsa_accum_offset 152
		.amdhsa_reserve_vcc 1
		.amdhsa_reserve_flat_scratch 0
		.amdhsa_float_round_mode_32 0
		.amdhsa_float_round_mode_16_64 0
		.amdhsa_float_denorm_mode_32 3
		.amdhsa_float_denorm_mode_16_64 3
		.amdhsa_dx10_clamp 1
		.amdhsa_ieee_mode 1
		.amdhsa_fp16_overflow 0
		.amdhsa_tg_split 0
		.amdhsa_exception_fp_ieee_invalid_op 0
		.amdhsa_exception_fp_denorm_src 0
		.amdhsa_exception_fp_ieee_div_zero 0
		.amdhsa_exception_fp_ieee_overflow 0
		.amdhsa_exception_fp_ieee_underflow 0
		.amdhsa_exception_fp_ieee_inexact 0
		.amdhsa_exception_int_div_zero 0
	.end_amdhsa_kernel
	.section	.text._ZL26rocblas_hemvn_kernel_upperILb1ELi64ELi4ELi33ELi32ELi16ElPK19rocblas_complex_numIfEPKS3_PS1_EviT6_lT7_lT5_lS8_lS9_lS7_lT8_i,"axG",@progbits,_ZL26rocblas_hemvn_kernel_upperILb1ELi64ELi4ELi33ELi32ELi16ElPK19rocblas_complex_numIfEPKS3_PS1_EviT6_lT7_lT5_lS8_lS9_lS7_lT8_i,comdat
.Lfunc_end32:
	.size	_ZL26rocblas_hemvn_kernel_upperILb1ELi64ELi4ELi33ELi32ELi16ElPK19rocblas_complex_numIfEPKS3_PS1_EviT6_lT7_lT5_lS8_lS9_lS7_lT8_i, .Lfunc_end32-_ZL26rocblas_hemvn_kernel_upperILb1ELi64ELi4ELi33ELi32ELi16ElPK19rocblas_complex_numIfEPKS3_PS1_EviT6_lT7_lT5_lS8_lS9_lS7_lT8_i
                                        ; -- End function
	.section	.AMDGPU.csdata,"",@progbits
; Kernel info:
; codeLenInByte = 9324
; NumSgprs: 46
; NumVgprs: 152
; NumAgprs: 0
; TotalNumVgprs: 152
; ScratchSize: 0
; MemoryBound: 1
; FloatMode: 240
; IeeeMode: 1
; LDSByteSize: 9600 bytes/workgroup (compile time only)
; SGPRBlocks: 5
; VGPRBlocks: 18
; NumSGPRsForWavesPerEU: 46
; NumVGPRsForWavesPerEU: 152
; AccumOffset: 152
; Occupancy: 3
; WaveLimiterHint : 1
; COMPUTE_PGM_RSRC2:SCRATCH_EN: 0
; COMPUTE_PGM_RSRC2:USER_SGPR: 6
; COMPUTE_PGM_RSRC2:TRAP_HANDLER: 0
; COMPUTE_PGM_RSRC2:TGID_X_EN: 1
; COMPUTE_PGM_RSRC2:TGID_Y_EN: 0
; COMPUTE_PGM_RSRC2:TGID_Z_EN: 1
; COMPUTE_PGM_RSRC2:TIDIG_COMP_CNT: 1
; COMPUTE_PGM_RSRC3_GFX90A:ACCUM_OFFSET: 37
; COMPUTE_PGM_RSRC3_GFX90A:TG_SPLIT: 0
	.section	.text._ZL36rocblas_hemvn_kernel_upper_block_sumILi64ElPK19rocblas_complex_numIfEPKPS1_S1_EviT1_lS7_lT2_lT0_lPT3_i,"axG",@progbits,_ZL36rocblas_hemvn_kernel_upper_block_sumILi64ElPK19rocblas_complex_numIfEPKPS1_S1_EviT1_lS7_lT2_lT0_lPT3_i,comdat
	.globl	_ZL36rocblas_hemvn_kernel_upper_block_sumILi64ElPK19rocblas_complex_numIfEPKPS1_S1_EviT1_lS7_lT2_lT0_lPT3_i ; -- Begin function _ZL36rocblas_hemvn_kernel_upper_block_sumILi64ElPK19rocblas_complex_numIfEPKPS1_S1_EviT1_lS7_lT2_lT0_lPT3_i
	.p2align	8
	.type	_ZL36rocblas_hemvn_kernel_upper_block_sumILi64ElPK19rocblas_complex_numIfEPKPS1_S1_EviT1_lS7_lT2_lT0_lPT3_i,@function
_ZL36rocblas_hemvn_kernel_upper_block_sumILi64ElPK19rocblas_complex_numIfEPKPS1_S1_EviT1_lS7_lT2_lT0_lPT3_i: ; @_ZL36rocblas_hemvn_kernel_upper_block_sumILi64ElPK19rocblas_complex_numIfEPKPS1_S1_EviT1_lS7_lT2_lT0_lPT3_i
; %bb.0:
	s_load_dwordx8 s[16:23], s[4:5], 0x8
	s_mov_b32 s13, 0
	s_waitcnt lgkmcnt(0)
	s_mul_i32 s0, s7, s19
	s_mul_hi_u32 s1, s7, s18
	s_add_i32 s1, s1, s0
	s_mul_i32 s0, s7, s18
	s_lshl_b64 s[0:1], s[0:1], 3
	s_add_u32 s0, s16, s0
	s_mul_i32 s2, s7, s23
	s_mul_hi_u32 s3, s7, s22
	s_addc_u32 s1, s17, s1
	s_add_i32 s3, s3, s2
	s_mul_i32 s2, s7, s22
	s_load_dwordx2 s[8:9], s[0:1], 0x0
	s_lshl_b64 s[0:1], s[2:3], 3
	s_add_u32 s0, s20, s0
	s_addc_u32 s1, s21, s1
	s_load_dwordx2 s[10:11], s[0:1], 0x0
	s_waitcnt lgkmcnt(0)
	s_or_b32 s0, s8, s9
	s_bitset0_b32 s0, 31
	s_cmp_eq_u32 s0, 0
	s_cselect_b64 s[16:17], -1, 0
	v_cmp_eq_f32_e64 s[0:1], s10, 1.0
	v_cmp_eq_f32_e64 s[2:3], s11, 0
	s_and_b64 s[0:1], s[0:1], s[2:3]
	s_and_b64 s[0:1], s[16:17], s[0:1]
	s_and_b64 vcc, exec, s[0:1]
	s_cbranch_vccnz .LBB33_17
; %bb.1:
	s_load_dwordx2 s[18:19], s[4:5], 0x28
	s_load_dword s14, s[4:5], 0x0
	s_load_dwordx4 s[0:3], s[4:5], 0x30
	s_mov_b32 s12, s7
	s_lshl_b64 s[20:21], s[12:13], 3
	s_waitcnt lgkmcnt(0)
	s_add_u32 s18, s18, s20
	s_addc_u32 s19, s19, s21
	s_load_dwordx2 s[20:21], s[18:19], 0x0
	s_lshl_b64 s[0:1], s[0:1], 3
	v_lshl_or_b32 v0, s6, 6, v0
	s_mov_b64 s[18:19], -1
	s_waitcnt lgkmcnt(0)
	s_add_u32 s7, s20, s0
	s_addc_u32 s13, s21, s1
	s_andn2_b64 vcc, exec, s[16:17]
	v_cmp_gt_i32_e64 s[0:1], s14, v0
	s_cbranch_vccnz .LBB33_7
; %bb.2:
	s_and_saveexec_b64 s[16:17], s[0:1]
	s_cbranch_execz .LBB33_6
; %bb.3:
	v_ashrrev_i32_e32 v1, 31, v0
	v_cmp_neq_f32_e64 s[0:1], s10, 0
	v_cmp_neq_f32_e64 s[18:19], s11, 0
	v_mul_lo_u32 v4, v0, s3
	v_mul_lo_u32 v1, v1, s2
	v_mad_u64_u32 v[2:3], s[20:21], v0, s2, 0
	v_add3_u32 v3, v3, v4, v1
	s_or_b64 s[0:1], s[0:1], s[18:19]
	s_andn2_b64 vcc, exec, s[0:1]
	v_mov_b32_e32 v4, 0
	v_lshlrev_b64 v[2:3], 3, v[2:3]
	v_mov_b32_e32 v5, 0
	s_cbranch_vccnz .LBB33_5
; %bb.4:
	v_mov_b32_e32 v1, s13
	v_add_co_u32_e32 v4, vcc, s7, v2
	v_addc_co_u32_e32 v5, vcc, v1, v3, vcc
	global_load_dwordx2 v[6:7], v[4:5], off
	s_waitcnt vmcnt(0)
	v_pk_mul_f32 v[8:9], v[6:7], s[10:11] op_sel:[1,0]
	v_pk_fma_f32 v[4:5], v[6:7], s[10:11], v[8:9] op_sel:[0,0,1] op_sel_hi:[1,1,0] neg_lo:[0,0,1] neg_hi:[0,0,1]
	v_pk_fma_f32 v[6:7], v[6:7], s[10:11], v[8:9] op_sel:[0,0,1] op_sel_hi:[0,1,0]
	v_mov_b32_e32 v5, v7
.LBB33_5:
	v_mov_b32_e32 v1, s13
	v_add_co_u32_e32 v2, vcc, s7, v2
	v_addc_co_u32_e32 v3, vcc, v1, v3, vcc
	global_store_dwordx2 v[2:3], v[4:5], off
.LBB33_6:
	s_or_b64 exec, exec, s[16:17]
	s_mov_b64 s[18:19], 0
.LBB33_7:
	s_andn2_b64 vcc, exec, s[18:19]
	s_cbranch_vccnz .LBB33_17
; %bb.8:
	v_cmp_gt_i32_e32 vcc, s14, v0
	s_and_saveexec_b64 s[0:1], vcc
	s_cbranch_execz .LBB33_17
; %bb.9:
	v_mov_b32_e32 v3, 0
	v_ashrrev_i32_e32 v1, 31, v0
	s_cmp_lt_i32 s6, 0
	v_mov_b32_e32 v2, v3
	s_cbranch_scc1 .LBB33_12
; %bb.10:
	s_load_dwordx2 s[0:1], s[4:5], 0x48
	s_load_dword s16, s[4:5], 0x58
	s_ashr_i32 s15, s14, 31
	s_mul_hi_u32 s4, s14, s12
	s_mul_i32 s5, s15, s12
	s_add_i32 s4, s4, s5
	s_mul_i32 s12, s14, s12
	s_waitcnt lgkmcnt(0)
	s_mul_i32 s4, s4, s16
	s_mul_hi_u32 s5, s12, s16
	s_add_i32 s5, s5, s4
	s_mul_i32 s4, s12, s16
	s_lshl_b64 s[4:5], s[4:5], 3
	s_add_u32 s0, s0, s4
	s_addc_u32 s1, s1, s5
	v_lshlrev_b64 v[2:3], 3, v[0:1]
	v_mov_b32_e32 v5, s1
	v_add_co_u32_e32 v4, vcc, s0, v2
	s_lshl_b64 s[0:1], s[14:15], 3
	v_mov_b32_e32 v2, 0
	v_addc_co_u32_e32 v5, vcc, v5, v3, vcc
	s_add_i32 s4, s6, 1
	v_mov_b32_e32 v6, s1
	v_mov_b32_e32 v3, v2
.LBB33_11:                              ; =>This Inner Loop Header: Depth=1
	global_load_dwordx2 v[8:9], v[4:5], off
	s_add_i32 s4, s4, -1
	v_add_co_u32_e32 v4, vcc, s0, v4
	v_addc_co_u32_e32 v5, vcc, v5, v6, vcc
	s_cmp_eq_u32 s4, 0
	s_waitcnt vmcnt(0)
	v_pk_add_f32 v[2:3], v[2:3], v[8:9]
	s_cbranch_scc0 .LBB33_11
.LBB33_12:
	v_cmp_neq_f32_e64 s[0:1], s10, 0
	v_cmp_neq_f32_e64 s[4:5], s11, 0
	s_or_b64 s[0:1], s[0:1], s[4:5]
	v_pk_mul_f32 v[8:9], v[2:3], s[8:9] op_sel:[1,0]
	s_andn2_b64 vcc, exec, s[0:1]
	v_pk_fma_f32 v[4:5], v[2:3], s[8:9], v[8:9] op_sel:[0,0,1] op_sel_hi:[0,1,0]
	v_mul_lo_u32 v1, v1, s2
	v_mul_lo_u32 v10, v0, s3
	s_cbranch_vccz .LBB33_14
; %bb.13:
	v_pk_mul_f32 v[12:13], v[2:3], s[8:9] op_sel_hi:[0,1]
	v_mad_u64_u32 v[6:7], s[0:1], v0, s2, 0
	v_add3_u32 v7, v7, v10, v1
	v_sub_f32_e32 v4, v12, v9
	s_cbranch_execz .LBB33_15
	s_branch .LBB33_16
.LBB33_14:
                                        ; implicit-def: $vgpr6_vgpr7
.LBB33_15:
	v_mad_u64_u32 v[6:7], s[0:1], v0, s2, 0
	v_add3_u32 v7, v7, v10, v1
	v_lshlrev_b64 v[0:1], 3, v[6:7]
	v_mov_b32_e32 v4, s13
	v_add_co_u32_e32 v0, vcc, s7, v0
	v_addc_co_u32_e32 v1, vcc, v4, v1, vcc
	global_load_dwordx2 v[0:1], v[0:1], off
	v_pk_fma_f32 v[2:3], v[2:3], s[8:9], v[8:9] op_sel:[0,0,1] op_sel_hi:[1,1,0] neg_lo:[0,0,1] neg_hi:[0,0,1]
	v_mov_b32_e32 v3, v5
	s_waitcnt vmcnt(0)
	v_pk_mul_f32 v[8:9], v[0:1], s[10:11] op_sel:[1,0]
	v_pk_fma_f32 v[10:11], v[0:1], s[10:11], v[8:9] op_sel:[0,0,1] op_sel_hi:[1,1,0] neg_lo:[0,0,1] neg_hi:[0,0,1]
	v_pk_fma_f32 v[0:1], v[0:1], s[10:11], v[8:9] op_sel:[0,0,1] op_sel_hi:[0,1,0]
	v_mov_b32_e32 v11, v1
	v_pk_add_f32 v[4:5], v[2:3], v[10:11]
.LBB33_16:
	v_lshlrev_b64 v[0:1], 3, v[6:7]
	v_mov_b32_e32 v2, s13
	v_add_co_u32_e32 v0, vcc, s7, v0
	v_addc_co_u32_e32 v1, vcc, v2, v1, vcc
	global_store_dwordx2 v[0:1], v[4:5], off
.LBB33_17:
	s_endpgm
	.section	.rodata,"a",@progbits
	.p2align	6, 0x0
	.amdhsa_kernel _ZL36rocblas_hemvn_kernel_upper_block_sumILi64ElPK19rocblas_complex_numIfEPKPS1_S1_EviT1_lS7_lT2_lT0_lPT3_i
		.amdhsa_group_segment_fixed_size 0
		.amdhsa_private_segment_fixed_size 0
		.amdhsa_kernarg_size 344
		.amdhsa_user_sgpr_count 6
		.amdhsa_user_sgpr_private_segment_buffer 1
		.amdhsa_user_sgpr_dispatch_ptr 0
		.amdhsa_user_sgpr_queue_ptr 0
		.amdhsa_user_sgpr_kernarg_segment_ptr 1
		.amdhsa_user_sgpr_dispatch_id 0
		.amdhsa_user_sgpr_flat_scratch_init 0
		.amdhsa_user_sgpr_kernarg_preload_length 0
		.amdhsa_user_sgpr_kernarg_preload_offset 0
		.amdhsa_user_sgpr_private_segment_size 0
		.amdhsa_uses_dynamic_stack 0
		.amdhsa_system_sgpr_private_segment_wavefront_offset 0
		.amdhsa_system_sgpr_workgroup_id_x 1
		.amdhsa_system_sgpr_workgroup_id_y 0
		.amdhsa_system_sgpr_workgroup_id_z 1
		.amdhsa_system_sgpr_workgroup_info 0
		.amdhsa_system_vgpr_workitem_id 0
		.amdhsa_next_free_vgpr 14
		.amdhsa_next_free_sgpr 24
		.amdhsa_accum_offset 16
		.amdhsa_reserve_vcc 1
		.amdhsa_reserve_flat_scratch 0
		.amdhsa_float_round_mode_32 0
		.amdhsa_float_round_mode_16_64 0
		.amdhsa_float_denorm_mode_32 3
		.amdhsa_float_denorm_mode_16_64 3
		.amdhsa_dx10_clamp 1
		.amdhsa_ieee_mode 1
		.amdhsa_fp16_overflow 0
		.amdhsa_tg_split 0
		.amdhsa_exception_fp_ieee_invalid_op 0
		.amdhsa_exception_fp_denorm_src 0
		.amdhsa_exception_fp_ieee_div_zero 0
		.amdhsa_exception_fp_ieee_overflow 0
		.amdhsa_exception_fp_ieee_underflow 0
		.amdhsa_exception_fp_ieee_inexact 0
		.amdhsa_exception_int_div_zero 0
	.end_amdhsa_kernel
	.section	.text._ZL36rocblas_hemvn_kernel_upper_block_sumILi64ElPK19rocblas_complex_numIfEPKPS1_S1_EviT1_lS7_lT2_lT0_lPT3_i,"axG",@progbits,_ZL36rocblas_hemvn_kernel_upper_block_sumILi64ElPK19rocblas_complex_numIfEPKPS1_S1_EviT1_lS7_lT2_lT0_lPT3_i,comdat
.Lfunc_end33:
	.size	_ZL36rocblas_hemvn_kernel_upper_block_sumILi64ElPK19rocblas_complex_numIfEPKPS1_S1_EviT1_lS7_lT2_lT0_lPT3_i, .Lfunc_end33-_ZL36rocblas_hemvn_kernel_upper_block_sumILi64ElPK19rocblas_complex_numIfEPKPS1_S1_EviT1_lS7_lT2_lT0_lPT3_i
                                        ; -- End function
	.section	.AMDGPU.csdata,"",@progbits
; Kernel info:
; codeLenInByte = 816
; NumSgprs: 28
; NumVgprs: 14
; NumAgprs: 0
; TotalNumVgprs: 14
; ScratchSize: 0
; MemoryBound: 0
; FloatMode: 240
; IeeeMode: 1
; LDSByteSize: 0 bytes/workgroup (compile time only)
; SGPRBlocks: 3
; VGPRBlocks: 1
; NumSGPRsForWavesPerEU: 28
; NumVGPRsForWavesPerEU: 14
; AccumOffset: 16
; Occupancy: 8
; WaveLimiterHint : 1
; COMPUTE_PGM_RSRC2:SCRATCH_EN: 0
; COMPUTE_PGM_RSRC2:USER_SGPR: 6
; COMPUTE_PGM_RSRC2:TRAP_HANDLER: 0
; COMPUTE_PGM_RSRC2:TGID_X_EN: 1
; COMPUTE_PGM_RSRC2:TGID_Y_EN: 0
; COMPUTE_PGM_RSRC2:TGID_Z_EN: 1
; COMPUTE_PGM_RSRC2:TIDIG_COMP_CNT: 0
; COMPUTE_PGM_RSRC3_GFX90A:ACCUM_OFFSET: 3
; COMPUTE_PGM_RSRC3_GFX90A:TG_SPLIT: 0
	.section	.text._ZL26rocblas_hemvn_kernel_upperILb1ELi64ELi4ELi33ELi32ELi16EiPK19rocblas_complex_numIfEPKS3_PS1_EviT6_lT7_lT5_lS8_lS9_lS7_lT8_i,"axG",@progbits,_ZL26rocblas_hemvn_kernel_upperILb1ELi64ELi4ELi33ELi32ELi16EiPK19rocblas_complex_numIfEPKS3_PS1_EviT6_lT7_lT5_lS8_lS9_lS7_lT8_i,comdat
	.globl	_ZL26rocblas_hemvn_kernel_upperILb1ELi64ELi4ELi33ELi32ELi16EiPK19rocblas_complex_numIfEPKS3_PS1_EviT6_lT7_lT5_lS8_lS9_lS7_lT8_i ; -- Begin function _ZL26rocblas_hemvn_kernel_upperILb1ELi64ELi4ELi33ELi32ELi16EiPK19rocblas_complex_numIfEPKS3_PS1_EviT6_lT7_lT5_lS8_lS9_lS7_lT8_i
	.p2align	8
	.type	_ZL26rocblas_hemvn_kernel_upperILb1ELi64ELi4ELi33ELi32ELi16EiPK19rocblas_complex_numIfEPKS3_PS1_EviT6_lT7_lT5_lS8_lS9_lS7_lT8_i,@function
_ZL26rocblas_hemvn_kernel_upperILb1ELi64ELi4ELi33ELi32ELi16EiPK19rocblas_complex_numIfEPKS3_PS1_EviT6_lT7_lT5_lS8_lS9_lS7_lT8_i: ; @_ZL26rocblas_hemvn_kernel_upperILb1ELi64ELi4ELi33ELi32ELi16EiPK19rocblas_complex_numIfEPKS3_PS1_EviT6_lT7_lT5_lS8_lS9_lS7_lT8_i
; %bb.0:
	s_load_dwordx2 s[0:1], s[4:5], 0x84
	s_add_u32 s16, s4, 0x78
	s_addc_u32 s17, s5, 0
	s_waitcnt lgkmcnt(0)
	s_lshr_b32 s2, s0, 16
	s_and_b32 s0, s0, 0xffff
	s_and_b32 s1, s1, 0xffff
	s_mul_i32 s0, s2, s0
	s_mul_i32 s0, s0, s1
	s_cmpk_lg_i32 s0, 0x100
	s_cbranch_scc1 .LBB34_186
; %bb.1:
	s_load_dwordx8 s[8:15], s[4:5], 0x8
	s_mov_b32 s24, s7
	s_mov_b32 s25, 0
	s_waitcnt lgkmcnt(0)
	s_mul_i32 s0, s7, s11
	s_mul_hi_u32 s1, s7, s10
	s_add_i32 s1, s1, s0
	s_mul_i32 s0, s7, s10
	s_lshl_b64 s[0:1], s[0:1], 3
	s_add_u32 s8, s8, s0
	s_addc_u32 s9, s9, s1
	s_load_dwordx2 s[10:11], s[8:9], 0x0
	s_load_dwordx2 s[26:27], s[4:5], 0x68
	s_load_dwordx4 s[0:3], s[4:5], 0x58
	s_waitcnt lgkmcnt(0)
	s_or_b32 s7, s10, s11
	s_bitset0_b32 s7, 31
	s_cmp_lg_u32 s7, 0
	s_cselect_b64 s[8:9], -1, 0
	s_and_b64 vcc, exec, s[8:9]
	s_cbranch_vccnz .LBB34_4
; %bb.2:
	s_mul_i32 s3, s24, s3
	s_mul_hi_u32 s7, s24, s2
	s_add_i32 s3, s7, s3
	s_mul_i32 s2, s24, s2
	s_lshl_b64 s[2:3], s[2:3], 3
	s_add_u32 s0, s0, s2
	s_addc_u32 s1, s1, s3
	s_load_dwordx2 s[0:1], s[0:1], 0x0
	s_mov_b64 s[10:11], 0
	s_waitcnt lgkmcnt(0)
	v_cmp_eq_f32_e64 s[2:3], s0, 1.0
	v_cmp_eq_f32_e64 s[0:1], s1, 0
	s_and_b64 s[0:1], s[2:3], s[0:1]
	s_andn2_b64 vcc, exec, s[0:1]
	s_mov_b64 s[0:1], 0
                                        ; implicit-def: $sgpr2_sgpr3
	s_cbranch_vccz .LBB34_5
; %bb.3:
	s_mov_b64 s[0:1], -1
	s_mov_b64 s[2:3], 0
	s_branch .LBB34_5
.LBB34_4:
	s_mov_b64 s[10:11], -1
	s_mov_b64 s[0:1], 0
                                        ; implicit-def: $sgpr2_sgpr3
.LBB34_5:
	s_and_b64 vcc, exec, s[10:11]
	s_cbranch_vccz .LBB34_7
; %bb.6:
	s_lshl_b64 s[0:1], s[24:25], 3
	s_add_u32 s0, s12, s0
	s_addc_u32 s1, s13, s1
	s_load_dwordx2 s[0:1], s[0:1], 0x0
	s_lshl_b64 s[2:3], s[14:15], 3
	s_waitcnt lgkmcnt(0)
	s_add_u32 s2, s0, s2
	s_addc_u32 s3, s1, s3
	s_mov_b64 s[0:1], -1
.LBB34_7:
	s_andn2_b64 vcc, exec, s[0:1]
	s_cbranch_vccnz .LBB34_186
; %bb.8:
	v_cndmask_b32_e64 v1, 0, 1, s[8:9]
	v_cmp_ne_u32_e64 s[0:1], 1, v1
	s_andn2_b64 vcc, exec, s[8:9]
	s_mov_b64 s[8:9], 0
	s_cbranch_vccnz .LBB34_10
; %bb.9:
	s_load_dwordx4 s[8:11], s[4:5], 0x38
	s_lshl_b64 s[12:13], s[24:25], 3
	s_waitcnt lgkmcnt(0)
	s_add_u32 s8, s8, s12
	s_addc_u32 s9, s9, s13
	s_load_dwordx2 s[8:9], s[8:9], 0x0
	s_lshl_b64 s[10:11], s[10:11], 3
	s_waitcnt lgkmcnt(0)
	s_add_u32 s8, s8, s10
	s_addc_u32 s9, s9, s11
.LBB34_10:
	s_and_b64 vcc, exec, s[0:1]
	s_cbranch_vccnz .LBB34_186
; %bb.11:
	s_load_dword s7, s[16:17], 0x0
	s_load_dword s40, s[4:5], 0x0
	;; [unrolled: 1-line block ×3, first 2 shown]
	v_and_b32_e32 v30, 0x3ff, v0
	s_lshl_b32 s20, s6, 6
	v_add_u32_e32 v28, s20, v30
	s_waitcnt lgkmcnt(0)
	s_ashr_i32 s41, s40, 31
	s_lshr_b32 s1, s41, 26
	v_bfe_u32 v71, v0, 10, 10
	s_add_i32 s1, s40, s1
	v_mul_lo_u32 v0, v28, s25
	s_andn2_b32 s1, s1, 63
	v_ashrrev_i32_e32 v1, 31, v0
	s_add_i32 s0, s7, -1
	s_sub_i32 s33, s40, s1
	v_lshlrev_b64 v[0:1], 3, v[0:1]
	s_cmp_eq_u32 s6, s0
	v_mov_b32_e32 v2, s9
	v_add_co_u32_e32 v14, vcc, s8, v0
	s_cselect_b32 s16, s33, 0
	v_addc_co_u32_e32 v15, vcc, v2, v1, vcc
	v_cmp_eq_u32_e64 s[0:1], 0, v71
	s_and_saveexec_b64 s[8:9], s[0:1]
	s_cbranch_execz .LBB34_16
; %bb.12:
	s_cmp_lg_u32 s16, 0
	s_cselect_b64 s[10:11], -1, 0
	v_cmp_le_i32_e32 vcc, s16, v30
	v_mov_b32_e32 v0, 0x2380
	s_and_b64 s[10:11], s[10:11], vcc
	v_lshl_add_u32 v0, v30, 3, v0
	s_and_saveexec_b64 s[12:13], s[10:11]
	s_xor_b64 s[10:11], exec, s[12:13]
	s_cbranch_execz .LBB34_14
; %bb.13:
	v_mov_b32_e32 v2, 0
	v_mov_b32_e32 v3, v2
	ds_write_b64 v0, v[2:3]
                                        ; implicit-def: $vgpr0
.LBB34_14:
	s_andn2_saveexec_b64 s[10:11], s[10:11]
	s_cbranch_execz .LBB34_16
; %bb.15:
	flat_load_dwordx2 v[2:3], v[14:15]
	s_waitcnt vmcnt(0) lgkmcnt(0)
	ds_write_b64 v0, v[2:3]
.LBB34_16:
	s_or_b64 exec, exec, s[8:9]
	s_load_dword s22, s[4:5], 0x28
	s_ashr_i32 s21, s20, 31
	v_lshl_add_u32 v22, v71, 6, v30
	s_lshl_b64 s[4:5], s[20:21], 3
	v_and_b32_e32 v0, 31, v30
	v_lshrrev_b32_e32 v1, 5, v22
	s_add_u32 s4, s2, s4
	s_addc_u32 s5, s3, s5
	s_waitcnt lgkmcnt(0)
	v_mad_u64_u32 v[2:3], s[2:3], v1, s22, v[0:1]
	s_mul_i32 s2, s20, s22
	s_ashr_i32 s3, s2, 31
	s_lshl_b64 s[2:3], s[2:3], 3
	s_add_u32 s2, s2, s4
	v_ashrrev_i32_e32 v3, 31, v2
	s_addc_u32 s3, s3, s5
	v_lshlrev_b64 v[12:13], 3, v[2:3]
	s_cmp_eq_u32 s16, 0
	v_mov_b32_e32 v2, s3
	v_add_co_u32_e32 v4, vcc, s2, v12
	s_cselect_b64 s[18:19], -1, 0
	s_cmp_lg_u32 s16, 0
	v_addc_co_u32_e32 v5, vcc, v2, v13, vcc
	s_cselect_b64 s[34:35], -1, 0
	s_and_b64 vcc, exec, s[34:35]
	v_cmp_gt_i32_e64 s[2:3], s16, v0
	v_lshlrev_b32_e32 v10, 3, v0
	s_cbranch_vccz .LBB34_32
; %bb.17:
	v_sub_co_u32_e32 v2, vcc, v4, v10
	s_ashr_i32 s17, s16, 31
	v_subbrev_co_u32_e32 v3, vcc, 0, v5, vcc
	s_lshl_b64 s[4:5], s[16:17], 3
	v_mov_b32_e32 v6, s5
	v_add_co_u32_e32 v2, vcc, s4, v2
	v_addc_co_u32_e32 v3, vcc, v3, v6, vcc
	v_add_co_u32_e32 v2, vcc, -8, v2
	v_addc_co_u32_e32 v3, vcc, -1, v3, vcc
	v_mov_b32_e32 v6, 0
	v_cndmask_b32_e64 v3, v3, v5, s[2:3]
	v_cndmask_b32_e64 v2, v2, v4, s[2:3]
	v_cmp_gt_i32_e32 vcc, s16, v1
	v_mov_b32_e32 v7, v6
	s_and_saveexec_b64 s[8:9], vcc
	s_cbranch_execz .LBB34_19
; %bb.18:
	flat_load_dwordx2 v[6:7], v[2:3]
.LBB34_19:
	s_or_b64 exec, exec, s[8:9]
	v_mul_u32_u24_e32 v8, 33, v1
	v_add_lshl_u32 v8, v8, v0, 3
	s_waitcnt vmcnt(0) lgkmcnt(0)
	ds_write_b64 v8, v[6:7]
	v_add_u32_e32 v6, 8, v1
	v_cmp_le_i32_e32 vcc, s16, v6
	s_and_saveexec_b64 s[8:9], vcc
	s_xor_b64 s[8:9], exec, s[8:9]
	s_cbranch_execz .LBB34_21
; %bb.20:
	v_mul_u32_u24_e32 v6, 33, v6
	v_add_lshl_u32 v9, v6, v0, 3
	v_mov_b32_e32 v6, 0
	v_mov_b32_e32 v7, v6
	ds_write_b64 v9, v[6:7]
.LBB34_21:
	s_andn2_saveexec_b64 s[8:9], s[8:9]
	s_cbranch_execz .LBB34_23
; %bb.22:
	s_lshl_b32 s10, s22, 3
	s_ashr_i32 s11, s10, 31
	s_lshl_b64 s[10:11], s[10:11], 3
	v_mov_b32_e32 v7, s11
	v_add_co_u32_e32 v6, vcc, s10, v2
	v_addc_co_u32_e32 v7, vcc, v3, v7, vcc
	flat_load_dwordx2 v[6:7], v[6:7]
	s_waitcnt vmcnt(0) lgkmcnt(0)
	ds_write_b64 v8, v[6:7] offset:2112
.LBB34_23:
	s_or_b64 exec, exec, s[8:9]
	v_add_u32_e32 v6, 16, v1
	v_cmp_le_i32_e32 vcc, s16, v6
	s_and_saveexec_b64 s[8:9], vcc
	s_xor_b64 s[8:9], exec, s[8:9]
	s_cbranch_execz .LBB34_25
; %bb.24:
	v_mov_b32_e32 v6, 0
	v_mov_b32_e32 v7, v6
	ds_write_b64 v8, v[6:7] offset:4224
.LBB34_25:
	s_andn2_saveexec_b64 s[8:9], s[8:9]
	s_cbranch_execz .LBB34_27
; %bb.26:
	s_lshl_b32 s10, s22, 4
	s_ashr_i32 s11, s10, 31
	s_lshl_b64 s[10:11], s[10:11], 3
	v_mov_b32_e32 v7, s11
	v_add_co_u32_e32 v6, vcc, s10, v2
	v_addc_co_u32_e32 v7, vcc, v3, v7, vcc
	flat_load_dwordx2 v[6:7], v[6:7]
	s_waitcnt vmcnt(0) lgkmcnt(0)
	ds_write_b64 v8, v[6:7] offset:4224
.LBB34_27:
	s_or_b64 exec, exec, s[8:9]
	v_add_u32_e32 v6, 24, v1
	v_cmp_le_i32_e32 vcc, s16, v6
	s_and_saveexec_b64 s[8:9], vcc
	s_xor_b64 s[8:9], exec, s[8:9]
	s_cbranch_execz .LBB34_29
; %bb.28:
	v_mov_b32_e32 v6, 0
	v_mov_b32_e32 v7, v6
	ds_write_b64 v8, v[6:7] offset:6336
                                        ; implicit-def: $vgpr8
.LBB34_29:
	s_andn2_saveexec_b64 s[8:9], s[8:9]
	s_cbranch_execz .LBB34_31
; %bb.30:
	s_mul_i32 s10, s22, 24
	s_ashr_i32 s11, s10, 31
	s_lshl_b64 s[10:11], s[10:11], 3
	v_mov_b32_e32 v7, s11
	v_add_co_u32_e32 v6, vcc, s10, v2
	v_addc_co_u32_e32 v7, vcc, v3, v7, vcc
	flat_load_dwordx2 v[6:7], v[6:7]
	s_waitcnt vmcnt(0) lgkmcnt(0)
	ds_write_b64 v8, v[6:7] offset:6336
.LBB34_31:
	s_or_b64 exec, exec, s[8:9]
	v_add_co_u32_e32 v2, vcc, v2, v10
	v_addc_co_u32_e32 v3, vcc, 0, v3, vcc
	v_mov_b32_e32 v6, s5
	v_subrev_co_u32_e32 v2, vcc, s4, v2
	v_subb_co_u32_e32 v3, vcc, v3, v6, vcc
	v_add_co_u32_e32 v2, vcc, 8, v2
	v_addc_co_u32_e32 v3, vcc, 0, v3, vcc
	v_cndmask_b32_e64 v3, v3, v5, s[2:3]
	v_cndmask_b32_e64 v2, v2, v4, s[2:3]
	v_mul_u32_u24_e32 v11, 33, v1
	s_branch .LBB34_34
.LBB34_32:
                                        ; implicit-def: $vgpr2_vgpr3
	v_mul_u32_u24_e32 v11, 33, v1
	s_cbranch_execz .LBB34_34
; %bb.33:
	flat_load_dwordx2 v[2:3], v[4:5]
	s_lshl_b32 s2, s22, 3
	s_ashr_i32 s3, s2, 31
	s_lshl_b64 s[2:3], s[2:3], 3
	v_add_lshl_u32 v8, v11, v0, 3
	v_mov_b32_e32 v7, s3
	v_add_co_u32_e32 v6, vcc, s2, v4
	v_addc_co_u32_e32 v7, vcc, v5, v7, vcc
	s_ashr_i32 s23, s22, 31
	s_lshl_b64 s[2:3], s[22:23], 6
	v_mov_b32_e32 v9, s3
	s_waitcnt vmcnt(0) lgkmcnt(0)
	ds_write_b64 v8, v[2:3]
	flat_load_dwordx2 v[2:3], v[6:7]
	v_add_co_u32_e32 v6, vcc, s2, v6
	v_addc_co_u32_e32 v7, vcc, v7, v9, vcc
	s_waitcnt vmcnt(0) lgkmcnt(0)
	ds_write_b64 v8, v[2:3] offset:2112
	flat_load_dwordx2 v[2:3], v[6:7]
	v_add_co_u32_e32 v6, vcc, s2, v6
	v_addc_co_u32_e32 v7, vcc, v7, v9, vcc
	s_waitcnt vmcnt(0) lgkmcnt(0)
	ds_write_b64 v8, v[2:3] offset:4224
	flat_load_dwordx2 v[2:3], v[6:7]
	s_waitcnt vmcnt(0) lgkmcnt(0)
	ds_write_b64 v8, v[2:3] offset:6336
	v_pk_mov_b32 v[2:3], v[4:5], v[4:5] op_sel:[0,1]
.LBB34_34:
	v_lshlrev_b32_e32 v21, 2, v1
	v_cmp_le_u32_e64 s[4:5], v21, v0
	s_waitcnt lgkmcnt(0)
	s_barrier
	s_and_saveexec_b64 s[2:3], s[4:5]
	s_xor_b64 s[2:3], exec, s[2:3]
	s_cbranch_execz .LBB34_38
; %bb.35:
	v_cmp_eq_u32_e32 vcc, v21, v0
	s_and_saveexec_b64 s[8:9], vcc
	s_cbranch_execz .LBB34_37
; %bb.36:
	v_mul_u32_u24_e32 v4, 34, v0
	v_lshlrev_b32_e32 v4, 3, v4
	v_mov_b32_e32 v5, 0
	ds_write_b32 v4, v5 offset:4
.LBB34_37:
	s_or_b64 exec, exec, s[8:9]
.LBB34_38:
	s_or_saveexec_b64 s[2:3], s[2:3]
	v_mul_u32_u24_e32 v18, 33, v0
	v_add_lshl_u32 v16, v21, v18, 3
	s_xor_b64 exec, exec, s[2:3]
	s_cbranch_execz .LBB34_40
; %bb.39:
	v_mul_u32_u24_e32 v4, 0x84, v1
	v_add_lshl_u32 v4, v4, v0, 3
	ds_read_b64 v[4:5], v4
	s_waitcnt lgkmcnt(0)
	v_xor_b32_e32 v5, 0x80000000, v5
	ds_write_b64 v16, v[4:5]
.LBB34_40:
	s_or_b64 exec, exec, s[2:3]
	v_or_b32_e32 v17, 1, v21
	v_cmp_ge_u32_e64 s[14:15], v21, v0
	v_mul_u32_u24_e32 v4, 33, v17
	s_and_saveexec_b64 s[2:3], s[14:15]
	s_xor_b64 s[2:3], exec, s[2:3]
	s_cbranch_execz .LBB34_42
; %bb.41:
	v_add_lshl_u32 v5, v4, v0, 3
	ds_read_b64 v[6:7], v5
	s_waitcnt lgkmcnt(0)
	v_xor_b32_e32 v7, 0x80000000, v7
	ds_write_b64 v16, v[6:7] offset:8
.LBB34_42:
	s_andn2_saveexec_b64 s[2:3], s[2:3]
	s_cbranch_execz .LBB34_46
; %bb.43:
	v_cmp_eq_u32_e32 vcc, v17, v0
	s_and_saveexec_b64 s[8:9], vcc
	s_cbranch_execz .LBB34_45
; %bb.44:
	v_mul_u32_u24_e32 v5, 34, v0
	v_lshlrev_b32_e32 v5, 3, v5
	v_mov_b32_e32 v6, 0
	ds_write_b32 v5, v6 offset:4
.LBB34_45:
	s_or_b64 exec, exec, s[8:9]
.LBB34_46:
	s_or_b64 exec, exec, s[2:3]
	v_or_b32_e32 v25, 2, v21
	v_cmp_le_u32_e64 s[8:9], v25, v0
	s_and_saveexec_b64 s[2:3], s[8:9]
	s_xor_b64 s[2:3], exec, s[2:3]
	s_cbranch_execz .LBB34_50
; %bb.47:
	v_cmp_eq_u32_e32 vcc, v25, v0
	s_and_saveexec_b64 s[10:11], vcc
	s_cbranch_execz .LBB34_49
; %bb.48:
	v_mul_u32_u24_e32 v5, 34, v0
	v_lshlrev_b32_e32 v5, 3, v5
	v_mov_b32_e32 v6, 0
	ds_write_b32 v5, v6 offset:4
.LBB34_49:
	s_or_b64 exec, exec, s[10:11]
.LBB34_50:
	s_andn2_saveexec_b64 s[2:3], s[2:3]
	s_cbranch_execz .LBB34_52
; %bb.51:
	v_mul_u32_u24_e32 v5, 33, v25
	v_add_lshl_u32 v5, v5, v0, 3
	ds_read_b64 v[6:7], v5
	s_waitcnt lgkmcnt(0)
	v_xor_b32_e32 v7, 0x80000000, v7
	ds_write_b64 v16, v[6:7] offset:16
.LBB34_52:
	s_or_b64 exec, exec, s[2:3]
	v_or_b32_e32 v26, 3, v21
	v_cmp_le_u32_e64 s[10:11], v26, v0
	s_and_saveexec_b64 s[2:3], s[10:11]
	s_xor_b64 s[2:3], exec, s[2:3]
	s_cbranch_execz .LBB34_56
; %bb.53:
	v_cmp_eq_u32_e32 vcc, v26, v0
	s_and_saveexec_b64 s[12:13], vcc
	s_cbranch_execz .LBB34_55
; %bb.54:
	v_mul_u32_u24_e32 v5, 34, v0
	v_lshlrev_b32_e32 v5, 3, v5
	v_mov_b32_e32 v6, 0
	ds_write_b32 v5, v6 offset:4
.LBB34_55:
	s_or_b64 exec, exec, s[12:13]
.LBB34_56:
	s_andn2_saveexec_b64 s[2:3], s[2:3]
	s_cbranch_execz .LBB34_58
; %bb.57:
	v_mul_u32_u24_e32 v5, 33, v26
	v_add_lshl_u32 v5, v5, v0, 3
	ds_read_b64 v[6:7], v5
	s_waitcnt lgkmcnt(0)
	v_xor_b32_e32 v7, 0x80000000, v7
	ds_write_b64 v16, v[6:7] offset:24
.LBB34_58:
	s_or_b64 exec, exec, s[2:3]
	v_mul_u32_u24_e32 v5, 0x84, v1
	v_lshlrev_b32_e32 v27, 3, v21
	s_waitcnt lgkmcnt(0)
	s_barrier
	v_add_lshl_u32 v20, v5, v0, 3
	v_add_lshl_u32 v19, v4, v0, 3
	ds_read_b128 v[4:7], v27 offset:9088
	ds_read_b64 v[8:9], v20
	ds_read2_b64 v[32:35], v19 offset1:33
	ds_read_b64 v[40:41], v19 offset:528
	ds_read_b128 v[36:39], v27 offset:9104
	s_mov_b32 s12, 0
	s_waitcnt lgkmcnt(3)
	v_pk_mul_f32 v[42:43], v[4:5], v[8:9] op_sel:[0,1]
	v_pk_fma_f32 v[44:45], v[4:5], v[8:9], v[42:43] op_sel:[0,0,1] op_sel_hi:[1,1,0] neg_lo:[0,0,1] neg_hi:[0,0,1]
	v_pk_fma_f32 v[4:5], v[4:5], v[8:9], v[42:43] op_sel:[0,0,1] op_sel_hi:[1,0,0]
	s_waitcnt lgkmcnt(2)
	v_pk_mul_f32 v[8:9], v[6:7], v[32:33] op_sel:[0,1]
	v_pk_fma_f32 v[42:43], v[6:7], v[32:33], v[8:9] op_sel:[0,0,1] op_sel_hi:[1,1,0] neg_lo:[0,0,1] neg_hi:[0,0,1]
	v_pk_fma_f32 v[6:7], v[6:7], v[32:33], v[8:9] op_sel:[0,0,1] op_sel_hi:[1,0,0]
	v_mov_b32_e32 v45, v5
	v_mov_b32_e32 v43, v7
	s_waitcnt lgkmcnt(0)
	v_pk_mul_f32 v[6:7], v[36:37], v[34:35] op_sel:[0,1]
	v_pk_add_f32 v[4:5], v[44:45], 0 op_sel_hi:[1,0]
	v_pk_fma_f32 v[8:9], v[36:37], v[34:35], v[6:7] op_sel:[0,0,1] op_sel_hi:[1,1,0] neg_lo:[0,0,1] neg_hi:[0,0,1]
	v_pk_fma_f32 v[6:7], v[36:37], v[34:35], v[6:7] op_sel:[0,0,1] op_sel_hi:[1,0,0]
	v_pk_add_f32 v[4:5], v[4:5], v[42:43]
	v_mov_b32_e32 v9, v7
	v_pk_mul_f32 v[6:7], v[38:39], v[40:41] op_sel:[0,1]
	v_pk_add_f32 v[4:5], v[4:5], v[8:9]
	v_pk_fma_f32 v[8:9], v[38:39], v[40:41], v[6:7] op_sel:[0,0,1] op_sel_hi:[1,1,0] neg_lo:[0,0,1] neg_hi:[0,0,1]
	v_pk_fma_f32 v[6:7], v[38:39], v[40:41], v[6:7] op_sel:[0,0,1] op_sel_hi:[1,0,0]
	s_mov_b32 s13, s12
	v_mov_b32_e32 v9, v7
	v_add_lshl_u32 v23, v1, v18, 3
	v_pk_add_f32 v[4:5], v[4:5], v[8:9]
	v_cmp_gt_u32_e64 s[2:3], 32, v22
	v_pk_mov_b32 v[32:33], s[12:13], s[12:13] op_sel:[0,1]
	v_lshlrev_b32_e32 v24, 3, v18
	s_barrier
	ds_write_b64 v23, v[4:5]
	s_waitcnt lgkmcnt(0)
	s_barrier
	s_and_saveexec_b64 s[12:13], s[2:3]
	s_cbranch_execz .LBB34_60
; %bb.59:
	ds_read2_b64 v[4:7], v24 offset1:7
	ds_read2_b64 v[32:35], v24 offset0:1 offset1:2
	ds_read2_b64 v[36:39], v24 offset0:3 offset1:4
	s_waitcnt lgkmcnt(1)
	v_add_f32_e32 v4, v32, v4
	v_add_f32_e32 v5, v33, v5
	;; [unrolled: 1-line block ×4, first 2 shown]
	ds_read2_b64 v[32:35], v24 offset0:5 offset1:6
	s_waitcnt lgkmcnt(1)
	v_add_f32_e32 v4, v4, v36
	v_add_f32_e32 v5, v5, v37
	;; [unrolled: 1-line block ×4, first 2 shown]
	s_waitcnt lgkmcnt(0)
	v_add_f32_e32 v4, v4, v32
	v_add_f32_e32 v5, v5, v33
	;; [unrolled: 1-line block ×4, first 2 shown]
	v_pk_add_f32 v[32:33], v[4:5], v[6:7]
.LBB34_60:
	s_or_b64 exec, exec, s[12:13]
	s_lshl_b32 s28, s22, 5
	s_ashr_i32 s29, s28, 31
	s_lshl_b64 s[30:31], s[28:29], 3
	v_mov_b32_e32 v4, s31
	v_add_co_u32_e32 v6, vcc, s30, v2
	v_addc_co_u32_e32 v7, vcc, v3, v4, vcc
	v_add_co_u32_e32 v4, vcc, 0x100, v6
	v_addc_co_u32_e32 v5, vcc, 0, v7, vcc
	s_and_b64 vcc, exec, s[34:35]
	s_barrier
	s_cbranch_vccz .LBB34_76
; %bb.61:
	v_or_b32_e32 v2, 32, v0
	v_lshlrev_b32_e32 v3, 3, v2
	v_sub_co_u32_e32 v3, vcc, v4, v3
	s_ashr_i32 s17, s16, 31
	v_subbrev_co_u32_e32 v8, vcc, 0, v5, vcc
	s_lshl_b64 s[36:37], s[16:17], 3
	v_mov_b32_e32 v9, s37
	v_add_co_u32_e32 v3, vcc, s36, v3
	v_addc_co_u32_e32 v8, vcc, v8, v9, vcc
	v_add_co_u32_e32 v9, vcc, -8, v3
	v_addc_co_u32_e32 v3, vcc, -1, v8, vcc
	v_cmp_gt_i32_e64 s[12:13], s16, v2
	s_sub_i32 s17, s16, 32
	v_mov_b32_e32 v8, 0
	v_cndmask_b32_e64 v3, v3, v5, s[12:13]
	v_cndmask_b32_e64 v2, v9, v4, s[12:13]
	v_cmp_gt_i32_e32 vcc, s17, v1
	v_mov_b32_e32 v9, v8
	s_and_saveexec_b64 s[38:39], vcc
	s_cbranch_execz .LBB34_63
; %bb.62:
	flat_load_dwordx2 v[8:9], v[2:3]
.LBB34_63:
	s_or_b64 exec, exec, s[38:39]
	v_add_lshl_u32 v29, v11, v0, 3
	s_waitcnt vmcnt(0) lgkmcnt(0)
	ds_write_b64 v29, v[8:9]
	v_add_u32_e32 v8, 8, v1
	v_cmp_le_i32_e32 vcc, s17, v8
	s_and_saveexec_b64 s[38:39], vcc
	s_xor_b64 s[38:39], exec, s[38:39]
	s_cbranch_execz .LBB34_65
; %bb.64:
	v_mul_u32_u24_e32 v8, 33, v8
	v_add_lshl_u32 v31, v8, v0, 3
	v_mov_b32_e32 v8, 0
	v_mov_b32_e32 v9, v8
	ds_write_b64 v31, v[8:9]
.LBB34_65:
	s_andn2_saveexec_b64 s[38:39], s[38:39]
	s_cbranch_execz .LBB34_67
; %bb.66:
	s_lshl_b32 s42, s22, 3
	s_ashr_i32 s43, s42, 31
	s_lshl_b64 s[42:43], s[42:43], 3
	v_mov_b32_e32 v9, s43
	v_add_co_u32_e32 v8, vcc, s42, v2
	v_addc_co_u32_e32 v9, vcc, v3, v9, vcc
	flat_load_dwordx2 v[8:9], v[8:9]
	s_waitcnt vmcnt(0) lgkmcnt(0)
	ds_write_b64 v29, v[8:9] offset:2112
.LBB34_67:
	s_or_b64 exec, exec, s[38:39]
	v_add_u32_e32 v8, 16, v1
	v_cmp_le_i32_e32 vcc, s17, v8
	s_and_saveexec_b64 s[38:39], vcc
	s_xor_b64 s[38:39], exec, s[38:39]
	s_cbranch_execz .LBB34_69
; %bb.68:
	v_mul_u32_u24_e32 v8, 33, v8
	v_add_lshl_u32 v31, v8, v0, 3
	v_mov_b32_e32 v8, 0
	v_mov_b32_e32 v9, v8
	ds_write_b64 v31, v[8:9]
.LBB34_69:
	s_andn2_saveexec_b64 s[38:39], s[38:39]
	s_cbranch_execz .LBB34_71
; %bb.70:
	s_lshl_b32 s42, s22, 4
	s_ashr_i32 s43, s42, 31
	s_lshl_b64 s[42:43], s[42:43], 3
	v_mov_b32_e32 v9, s43
	v_add_co_u32_e32 v8, vcc, s42, v2
	v_addc_co_u32_e32 v9, vcc, v3, v9, vcc
	flat_load_dwordx2 v[8:9], v[8:9]
	s_waitcnt vmcnt(0) lgkmcnt(0)
	ds_write_b64 v29, v[8:9] offset:4224
.LBB34_71:
	s_or_b64 exec, exec, s[38:39]
	v_add_u32_e32 v8, 24, v1
	v_cmp_le_i32_e32 vcc, s17, v8
	s_and_saveexec_b64 s[38:39], vcc
	s_xor_b64 s[38:39], exec, s[38:39]
	s_cbranch_execz .LBB34_73
; %bb.72:
	v_mov_b32_e32 v8, 0
	v_mov_b32_e32 v9, v8
	ds_write_b64 v29, v[8:9] offset:6336
                                        ; implicit-def: $vgpr29
.LBB34_73:
	s_andn2_saveexec_b64 s[38:39], s[38:39]
	s_cbranch_execz .LBB34_75
; %bb.74:
	s_mul_i32 s42, s22, 24
	s_ashr_i32 s43, s42, 31
	s_lshl_b64 s[42:43], s[42:43], 3
	v_mov_b32_e32 v9, s43
	v_add_co_u32_e32 v8, vcc, s42, v2
	v_addc_co_u32_e32 v9, vcc, v3, v9, vcc
	flat_load_dwordx2 v[8:9], v[8:9]
	s_waitcnt vmcnt(0) lgkmcnt(0)
	ds_write_b64 v29, v[8:9] offset:6336
.LBB34_75:
	s_or_b64 exec, exec, s[38:39]
	v_add_co_u32_e32 v2, vcc, v2, v10
	v_addc_co_u32_e32 v3, vcc, 0, v3, vcc
	v_mov_b32_e32 v8, s37
	v_subrev_co_u32_e32 v2, vcc, s36, v2
	v_subb_co_u32_e32 v3, vcc, v3, v8, vcc
	v_add_co_u32_e32 v2, vcc, 0x108, v2
	v_addc_co_u32_e32 v3, vcc, 0, v3, vcc
	v_cndmask_b32_e64 v3, v3, v5, s[12:13]
	v_cndmask_b32_e64 v2, v2, v4, s[12:13]
	s_branch .LBB34_78
.LBB34_76:
                                        ; implicit-def: $vgpr2_vgpr3
	s_cbranch_execz .LBB34_78
; %bb.77:
	flat_load_dwordx2 v[2:3], v[6:7] offset:256
	s_lshl_b32 s12, s22, 3
	s_ashr_i32 s13, s12, 31
	s_lshl_b64 s[12:13], s[12:13], 3
	v_add_lshl_u32 v8, v11, v0, 3
	v_mov_b32_e32 v9, s13
	v_add_co_u32_e32 v6, vcc, s12, v6
	v_addc_co_u32_e32 v7, vcc, v7, v9, vcc
	s_ashr_i32 s23, s22, 31
	s_lshl_b64 s[12:13], s[22:23], 6
	v_mov_b32_e32 v9, s13
	s_waitcnt vmcnt(0) lgkmcnt(0)
	ds_write_b64 v8, v[2:3]
	flat_load_dwordx2 v[2:3], v[6:7] offset:256
	v_add_co_u32_e32 v6, vcc, s12, v6
	v_addc_co_u32_e32 v7, vcc, v7, v9, vcc
	s_waitcnt vmcnt(0) lgkmcnt(0)
	ds_write_b64 v8, v[2:3] offset:2112
	flat_load_dwordx2 v[2:3], v[6:7] offset:256
	v_add_co_u32_e32 v6, vcc, s12, v6
	v_addc_co_u32_e32 v7, vcc, v7, v9, vcc
	s_waitcnt vmcnt(0) lgkmcnt(0)
	ds_write_b64 v8, v[2:3] offset:4224
	flat_load_dwordx2 v[2:3], v[6:7] offset:256
	s_waitcnt vmcnt(0) lgkmcnt(0)
	ds_write_b64 v8, v[2:3] offset:6336
	v_pk_mov_b32 v[2:3], v[4:5], v[4:5] op_sel:[0,1]
.LBB34_78:
	s_waitcnt lgkmcnt(0)
	s_barrier
	s_and_saveexec_b64 s[12:13], s[4:5]
	s_xor_b64 s[4:5], exec, s[12:13]
	s_cbranch_execnz .LBB34_105
; %bb.79:
	s_andn2_saveexec_b64 s[4:5], s[4:5]
	s_cbranch_execnz .LBB34_108
.LBB34_80:
	s_or_b64 exec, exec, s[4:5]
	s_and_saveexec_b64 s[4:5], s[14:15]
	s_xor_b64 s[4:5], exec, s[4:5]
	s_cbranch_execnz .LBB34_109
.LBB34_81:
	s_andn2_saveexec_b64 s[4:5], s[4:5]
	s_cbranch_execnz .LBB34_110
.LBB34_82:
	s_or_b64 exec, exec, s[4:5]
	s_and_saveexec_b64 s[4:5], s[8:9]
	s_xor_b64 s[4:5], exec, s[4:5]
	s_cbranch_execnz .LBB34_113
.LBB34_83:
	s_andn2_saveexec_b64 s[4:5], s[4:5]
	s_cbranch_execnz .LBB34_116
.LBB34_84:
	s_or_b64 exec, exec, s[4:5]
	s_and_saveexec_b64 s[4:5], s[10:11]
	s_xor_b64 s[4:5], exec, s[4:5]
	s_cbranch_execnz .LBB34_117
.LBB34_85:
	s_or_saveexec_b64 s[4:5], s[4:5]
	v_add_u32_e32 v25, 0x2380, v27
	s_xor_b64 exec, exec, s[4:5]
	s_cbranch_execz .LBB34_87
.LBB34_86:
	ds_read_b64 v[4:5], v19 offset:528
	s_waitcnt lgkmcnt(0)
	v_xor_b32_e32 v5, 0x80000000, v5
	ds_write_b64 v16, v[4:5] offset:24
.LBB34_87:
	s_or_b64 exec, exec, s[4:5]
	s_waitcnt lgkmcnt(0)
	s_barrier
	ds_read_b64 v[8:9], v20
	ds_read_b128 v[4:7], v25 offset:256
	ds_read2_b64 v[34:37], v19 offset1:33
	ds_read_b64 v[16:17], v19 offset:528
	ds_read_b128 v[38:41], v25 offset:272
	v_cmp_eq_u32_e64 s[4:5], 1, v1
	s_waitcnt lgkmcnt(3)
	v_pk_mul_f32 v[26:27], v[4:5], v[8:9] op_sel:[0,1]
	v_pk_fma_f32 v[42:43], v[4:5], v[8:9], v[26:27] op_sel:[0,0,1] op_sel_hi:[1,1,0] neg_lo:[0,0,1] neg_hi:[0,0,1]
	v_pk_fma_f32 v[4:5], v[4:5], v[8:9], v[26:27] op_sel:[0,0,1] op_sel_hi:[1,0,0]
	s_waitcnt lgkmcnt(2)
	v_pk_mul_f32 v[8:9], v[6:7], v[34:35] op_sel:[0,1]
	v_pk_fma_f32 v[26:27], v[6:7], v[34:35], v[8:9] op_sel:[0,0,1] op_sel_hi:[1,1,0] neg_lo:[0,0,1] neg_hi:[0,0,1]
	v_pk_fma_f32 v[6:7], v[6:7], v[34:35], v[8:9] op_sel:[0,0,1] op_sel_hi:[1,0,0]
	v_mov_b32_e32 v43, v5
	v_mov_b32_e32 v27, v7
	s_waitcnt lgkmcnt(0)
	v_pk_mul_f32 v[6:7], v[38:39], v[36:37] op_sel:[0,1]
	v_pk_add_f32 v[4:5], v[42:43], 0 op_sel_hi:[1,0]
	v_pk_fma_f32 v[8:9], v[38:39], v[36:37], v[6:7] op_sel:[0,0,1] op_sel_hi:[1,1,0] neg_lo:[0,0,1] neg_hi:[0,0,1]
	v_pk_fma_f32 v[6:7], v[38:39], v[36:37], v[6:7] op_sel:[0,0,1] op_sel_hi:[1,0,0]
	v_pk_add_f32 v[4:5], v[4:5], v[26:27]
	v_mov_b32_e32 v9, v7
	v_pk_mul_f32 v[6:7], v[40:41], v[16:17] op_sel:[0,1]
	v_pk_add_f32 v[4:5], v[4:5], v[8:9]
	v_pk_fma_f32 v[8:9], v[40:41], v[16:17], v[6:7] op_sel:[0,0,1] op_sel_hi:[1,1,0] neg_lo:[0,0,1] neg_hi:[0,0,1]
	v_pk_fma_f32 v[6:7], v[40:41], v[16:17], v[6:7] op_sel:[0,0,1] op_sel_hi:[1,0,0]
	v_mov_b32_e32 v9, v7
	v_pk_add_f32 v[4:5], v[4:5], v[8:9]
	s_barrier
	ds_write_b64 v23, v[4:5]
	s_waitcnt lgkmcnt(0)
	s_barrier
	s_and_saveexec_b64 s[8:9], s[4:5]
	s_cbranch_execz .LBB34_89
; %bb.88:
	ds_read2_b64 v[4:7], v24 offset1:7
	ds_read2_b64 v[32:35], v24 offset0:1 offset1:2
	ds_read2_b64 v[36:39], v24 offset0:3 offset1:4
	s_waitcnt lgkmcnt(1)
	v_add_f32_e32 v4, v32, v4
	v_add_f32_e32 v5, v33, v5
	;; [unrolled: 1-line block ×4, first 2 shown]
	ds_read2_b64 v[32:35], v24 offset0:5 offset1:6
	s_waitcnt lgkmcnt(1)
	v_add_f32_e32 v4, v4, v36
	v_add_f32_e32 v5, v5, v37
	;; [unrolled: 1-line block ×4, first 2 shown]
	s_waitcnt lgkmcnt(0)
	v_add_f32_e32 v4, v4, v32
	v_add_f32_e32 v5, v5, v33
	v_pk_add_f32 v[4:5], v[4:5], v[34:35]
	v_pk_add_f32 v[32:33], v[4:5], v[6:7]
.LBB34_89:
	s_or_b64 exec, exec, s[8:9]
	v_add_co_u32_e32 v2, vcc, 0xffffff00, v2
	v_addc_co_u32_e32 v3, vcc, -1, v3, vcc
	s_and_b64 vcc, exec, s[34:35]
	s_barrier
	s_cbranch_vccz .LBB34_120
; %bb.90:
	v_sub_co_u32_e32 v4, vcc, v2, v10
	s_ashr_i32 s17, s16, 31
	v_subbrev_co_u32_e32 v5, vcc, 0, v3, vcc
	s_lshl_b64 s[10:11], s[16:17], 3
	v_mov_b32_e32 v6, s11
	v_add_co_u32_e32 v4, vcc, s10, v4
	v_addc_co_u32_e32 v5, vcc, v5, v6, vcc
	v_add_co_u32_e32 v4, vcc, -8, v4
	v_addc_co_u32_e32 v5, vcc, -1, v5, vcc
	v_cmp_gt_i32_e32 vcc, s16, v0
	s_sub_i32 s14, s16, 32
	v_mov_b32_e32 v6, 0
	v_cndmask_b32_e32 v5, v5, v3, vcc
	v_cndmask_b32_e32 v4, v4, v2, vcc
	v_cmp_gt_i32_e64 s[8:9], s14, v1
	v_mov_b32_e32 v7, v6
	s_and_saveexec_b64 s[12:13], s[8:9]
	s_cbranch_execz .LBB34_92
; %bb.91:
	flat_load_dwordx2 v[6:7], v[4:5]
.LBB34_92:
	s_or_b64 exec, exec, s[12:13]
	v_add_lshl_u32 v8, v11, v0, 3
	s_waitcnt vmcnt(0) lgkmcnt(0)
	ds_write_b64 v8, v[6:7]
	v_add_u32_e32 v6, 8, v1
	v_cmp_le_i32_e64 s[8:9], s14, v6
	s_and_saveexec_b64 s[12:13], s[8:9]
	s_xor_b64 s[8:9], exec, s[12:13]
	s_cbranch_execz .LBB34_94
; %bb.93:
	v_mul_u32_u24_e32 v7, 33, v6
	v_mov_b32_e32 v16, 0
	v_add_lshl_u32 v7, v7, v0, 3
	v_mov_b32_e32 v17, v16
	ds_write_b64 v7, v[16:17]
.LBB34_94:
	s_andn2_saveexec_b64 s[12:13], s[8:9]
	s_cbranch_execz .LBB34_96
; %bb.95:
	s_lshl_b32 s8, s22, 3
	s_ashr_i32 s9, s8, 31
	s_lshl_b64 s[8:9], s[8:9], 3
	v_mov_b32_e32 v7, s9
	v_add_co_u32_e64 v16, s[8:9], s8, v4
	v_addc_co_u32_e64 v17, s[8:9], v5, v7, s[8:9]
	flat_load_dwordx2 v[16:17], v[16:17]
	s_waitcnt vmcnt(0) lgkmcnt(0)
	ds_write_b64 v8, v[16:17] offset:2112
.LBB34_96:
	s_or_b64 exec, exec, s[12:13]
	v_add_u32_e32 v7, 16, v1
	v_cmp_le_i32_e64 s[8:9], s14, v7
	s_and_saveexec_b64 s[12:13], s[8:9]
	s_xor_b64 s[8:9], exec, s[12:13]
	s_cbranch_execz .LBB34_98
; %bb.97:
	v_mov_b32_e32 v16, 0
	v_mov_b32_e32 v17, v16
	ds_write_b64 v8, v[16:17] offset:4224
.LBB34_98:
	s_andn2_saveexec_b64 s[12:13], s[8:9]
	s_cbranch_execz .LBB34_100
; %bb.99:
	s_lshl_b32 s8, s22, 4
	s_ashr_i32 s9, s8, 31
	s_lshl_b64 s[8:9], s[8:9], 3
	v_mov_b32_e32 v9, s9
	v_add_co_u32_e64 v16, s[8:9], s8, v4
	v_addc_co_u32_e64 v17, s[8:9], v5, v9, s[8:9]
	flat_load_dwordx2 v[16:17], v[16:17]
	s_waitcnt vmcnt(0) lgkmcnt(0)
	ds_write_b64 v8, v[16:17] offset:4224
.LBB34_100:
	s_or_b64 exec, exec, s[12:13]
	v_add_u32_e32 v9, 24, v1
	v_cmp_le_i32_e64 s[8:9], s14, v9
	s_and_saveexec_b64 s[12:13], s[8:9]
	s_xor_b64 s[8:9], exec, s[12:13]
	s_cbranch_execz .LBB34_102
; %bb.101:
	v_mov_b32_e32 v16, 0
	v_mov_b32_e32 v17, v16
	ds_write_b64 v8, v[16:17] offset:6336
                                        ; implicit-def: $vgpr8
.LBB34_102:
	s_andn2_saveexec_b64 s[12:13], s[8:9]
	s_cbranch_execz .LBB34_104
; %bb.103:
	s_mul_i32 s8, s22, 24
	s_ashr_i32 s9, s8, 31
	s_lshl_b64 s[8:9], s[8:9], 3
	v_mov_b32_e32 v17, s9
	v_add_co_u32_e64 v16, s[8:9], s8, v4
	v_addc_co_u32_e64 v17, s[8:9], v5, v17, s[8:9]
	flat_load_dwordx2 v[16:17], v[16:17]
	s_waitcnt vmcnt(0) lgkmcnt(0)
	ds_write_b64 v8, v[16:17] offset:6336
.LBB34_104:
	s_or_b64 exec, exec, s[12:13]
	v_add_co_u32_e64 v4, s[8:9], v4, v10
	v_addc_co_u32_e64 v5, s[8:9], 0, v5, s[8:9]
	v_mov_b32_e32 v8, s11
	v_subrev_co_u32_e64 v4, s[8:9], s10, v4
	v_subb_co_u32_e64 v5, s[8:9], v5, v8, s[8:9]
	v_add_co_u32_e64 v4, s[8:9], 8, v4
	v_addc_co_u32_e64 v5, s[8:9], 0, v5, s[8:9]
	v_cndmask_b32_e32 v17, v5, v3, vcc
	v_cndmask_b32_e32 v16, v4, v2, vcc
	s_branch .LBB34_122
.LBB34_105:
	v_cmp_eq_u32_e32 vcc, v21, v0
	s_and_saveexec_b64 s[12:13], vcc
	s_cbranch_execz .LBB34_107
; %bb.106:
	v_mul_u32_u24_e32 v4, 34, v0
	v_lshlrev_b32_e32 v4, 3, v4
	v_mov_b32_e32 v5, 0
	ds_write_b32 v4, v5 offset:4
.LBB34_107:
	s_or_b64 exec, exec, s[12:13]
	s_andn2_saveexec_b64 s[4:5], s[4:5]
	s_cbranch_execz .LBB34_80
.LBB34_108:
	ds_read_b64 v[4:5], v20
	s_waitcnt lgkmcnt(0)
	v_xor_b32_e32 v5, 0x80000000, v5
	ds_write_b64 v16, v[4:5]
	s_or_b64 exec, exec, s[4:5]
	s_and_saveexec_b64 s[4:5], s[14:15]
	s_xor_b64 s[4:5], exec, s[4:5]
	s_cbranch_execz .LBB34_81
.LBB34_109:
	ds_read_b64 v[4:5], v19
                                        ; implicit-def: $vgpr17
	s_waitcnt lgkmcnt(0)
	v_xor_b32_e32 v5, 0x80000000, v5
	ds_write_b64 v16, v[4:5] offset:8
	s_andn2_saveexec_b64 s[4:5], s[4:5]
	s_cbranch_execz .LBB34_82
.LBB34_110:
	v_cmp_eq_u32_e32 vcc, v17, v0
	s_and_saveexec_b64 s[12:13], vcc
	s_cbranch_execz .LBB34_112
; %bb.111:
	v_mul_u32_u24_e32 v4, 34, v0
	v_lshlrev_b32_e32 v4, 3, v4
	v_mov_b32_e32 v5, 0
	ds_write_b32 v4, v5 offset:4
.LBB34_112:
	s_or_b64 exec, exec, s[12:13]
	s_or_b64 exec, exec, s[4:5]
	s_and_saveexec_b64 s[4:5], s[8:9]
	s_xor_b64 s[4:5], exec, s[4:5]
	s_cbranch_execz .LBB34_83
.LBB34_113:
	v_cmp_eq_u32_e32 vcc, v25, v0
	s_and_saveexec_b64 s[8:9], vcc
	s_cbranch_execz .LBB34_115
; %bb.114:
	v_mul_u32_u24_e32 v4, 34, v0
	v_lshlrev_b32_e32 v4, 3, v4
	v_mov_b32_e32 v5, 0
	ds_write_b32 v4, v5 offset:4
.LBB34_115:
	s_or_b64 exec, exec, s[8:9]
	s_andn2_saveexec_b64 s[4:5], s[4:5]
	s_cbranch_execz .LBB34_84
.LBB34_116:
	ds_read_b64 v[4:5], v19 offset:264
	s_waitcnt lgkmcnt(0)
	v_xor_b32_e32 v5, 0x80000000, v5
	ds_write_b64 v16, v[4:5] offset:16
	s_or_b64 exec, exec, s[4:5]
	s_and_saveexec_b64 s[4:5], s[10:11]
	s_xor_b64 s[4:5], exec, s[4:5]
	s_cbranch_execz .LBB34_85
.LBB34_117:
	v_cmp_eq_u32_e32 vcc, v26, v0
	s_and_saveexec_b64 s[8:9], vcc
	s_cbranch_execz .LBB34_119
; %bb.118:
	v_mul_u32_u24_e32 v4, 34, v0
	v_lshlrev_b32_e32 v4, 3, v4
	v_mov_b32_e32 v5, 0
	ds_write_b32 v4, v5 offset:4
.LBB34_119:
	s_or_b64 exec, exec, s[8:9]
                                        ; implicit-def: $vgpr16
	s_or_saveexec_b64 s[4:5], s[4:5]
	v_add_u32_e32 v25, 0x2380, v27
	s_xor_b64 exec, exec, s[4:5]
	s_cbranch_execnz .LBB34_86
	s_branch .LBB34_87
.LBB34_120:
                                        ; implicit-def: $vgpr16_vgpr17
                                        ; implicit-def: $vgpr6
                                        ; implicit-def: $vgpr7
                                        ; implicit-def: $vgpr9
	s_cbranch_execz .LBB34_122
; %bb.121:
	flat_load_dwordx2 v[4:5], v[2:3]
	s_lshl_b32 s8, s22, 3
	s_ashr_i32 s9, s8, 31
	s_lshl_b64 s[8:9], s[8:9], 3
	v_add_lshl_u32 v0, v11, v0, 3
	v_mov_b32_e32 v7, s9
	v_add_co_u32_e32 v6, vcc, s8, v2
	v_addc_co_u32_e32 v7, vcc, v3, v7, vcc
	s_ashr_i32 s23, s22, 31
	s_lshl_b64 s[8:9], s[22:23], 6
	v_mov_b32_e32 v8, s9
	v_add_u32_e32 v9, 24, v1
	v_pk_mov_b32 v[16:17], v[2:3], v[2:3] op_sel:[0,1]
	s_waitcnt vmcnt(0) lgkmcnt(0)
	ds_write_b64 v0, v[4:5]
	flat_load_dwordx2 v[4:5], v[6:7]
	v_add_co_u32_e32 v6, vcc, s8, v6
	v_addc_co_u32_e32 v7, vcc, v7, v8, vcc
	s_waitcnt vmcnt(0) lgkmcnt(0)
	ds_write_b64 v0, v[4:5] offset:2112
	flat_load_dwordx2 v[4:5], v[6:7]
	v_add_co_u32_e32 v6, vcc, s8, v6
	v_addc_co_u32_e32 v7, vcc, v7, v8, vcc
	s_waitcnt vmcnt(0) lgkmcnt(0)
	ds_write_b64 v0, v[4:5] offset:4224
	flat_load_dwordx2 v[4:5], v[6:7]
	v_add_u32_e32 v6, 8, v1
	v_add_u32_e32 v7, 16, v1
	s_waitcnt vmcnt(0) lgkmcnt(0)
	ds_write_b64 v0, v[4:5] offset:6336
.LBB34_122:
	s_waitcnt lgkmcnt(0)
	s_barrier
	ds_read_b64 v[26:27], v23
	v_add_lshl_u32 v0, v7, v18, 3
	ds_read_b64 v[34:35], v0
	v_lshlrev_b32_e32 v4, 3, v1
	v_add_lshl_u32 v5, v6, v18, 3
	v_lshlrev_b32_e32 v6, 3, v6
	v_lshlrev_b32_e32 v7, 3, v7
	v_add_lshl_u32 v18, v9, v18, 3
	v_lshlrev_b32_e32 v29, 3, v9
	ds_read2_b64 v[0:3], v19 offset1:33
	ds_read_b64 v[20:21], v20
	ds_read_b128 v[8:11], v25 offset:256
	ds_read_b64 v[36:37], v6 offset:9088
	ds_read_b64 v[38:39], v5
	ds_read_b64 v[40:41], v4 offset:9088
	ds_read_b64 v[42:43], v29 offset:9088
	ds_read_b64 v[44:45], v18
	ds_read_b64 v[46:47], v7 offset:9088
	ds_read_b64 v[18:19], v19 offset:528
	ds_read_b128 v[4:7], v25 offset:272
	s_waitcnt lgkmcnt(5)
	v_pk_mul_f32 v[48:49], v[26:27], v[40:41] op_sel:[1,0]
	v_pk_mul_f32 v[50:51], v[38:39], v[36:37] op_sel:[1,0]
	v_pk_fma_f32 v[56:57], v[26:27], v[40:41], v[48:49] op_sel:[0,0,1] op_sel_hi:[1,1,0]
	v_pk_fma_f32 v[26:27], v[26:27], v[40:41], v[48:49] op_sel:[0,0,1] op_sel_hi:[0,1,0] neg_lo:[0,0,1] neg_hi:[0,0,1]
	s_waitcnt lgkmcnt(2)
	v_pk_mul_f32 v[52:53], v[34:35], v[46:47] op_sel:[1,0]
	v_mov_b32_e32 v57, v27
	v_pk_fma_f32 v[40:41], v[38:39], v[36:37], v[50:51] op_sel:[0,0,1] op_sel_hi:[1,1,0]
	v_pk_fma_f32 v[36:37], v[38:39], v[36:37], v[50:51] op_sel:[0,0,1] op_sel_hi:[0,1,0] neg_lo:[0,0,1] neg_hi:[0,0,1]
	v_pk_add_f32 v[26:27], v[56:57], 0 op_sel_hi:[1,0]
	v_mov_b32_e32 v41, v37
	v_pk_fma_f32 v[36:37], v[34:35], v[46:47], v[52:53] op_sel:[0,0,1] op_sel_hi:[1,1,0]
	v_pk_fma_f32 v[34:35], v[34:35], v[46:47], v[52:53] op_sel:[0,0,1] op_sel_hi:[0,1,0] neg_lo:[0,0,1] neg_hi:[0,0,1]
	v_pk_mul_f32 v[54:55], v[44:45], v[42:43] op_sel:[1,0]
	v_pk_add_f32 v[26:27], v[26:27], v[40:41]
	v_mov_b32_e32 v37, v35
	v_pk_add_f32 v[26:27], v[26:27], v[36:37]
	v_pk_fma_f32 v[34:35], v[44:45], v[42:43], v[54:55] op_sel:[0,0,1] op_sel_hi:[1,1,0]
	v_pk_fma_f32 v[36:37], v[44:45], v[42:43], v[54:55] op_sel:[0,0,1] op_sel_hi:[0,1,0] neg_lo:[0,0,1] neg_hi:[0,0,1]
	v_mov_b32_e32 v35, v37
	v_pk_add_f32 v[26:27], v[26:27], v[34:35]
	s_waitcnt lgkmcnt(0)
	s_barrier
	ds_write_b64 v23, v[26:27]
	s_waitcnt lgkmcnt(0)
	s_barrier
	s_and_saveexec_b64 s[8:9], s[4:5]
	s_cbranch_execz .LBB34_124
; %bb.123:
	ds_read2_b64 v[34:37], v24 offset1:1
	ds_read2_b64 v[38:41], v24 offset0:2 offset1:3
	ds_read2_b64 v[42:45], v24 offset0:6 offset1:7
	s_waitcnt lgkmcnt(2)
	v_pk_add_f32 v[26:27], v[32:33], v[34:35]
	ds_read2_b64 v[32:35], v24 offset0:4 offset1:5
	v_pk_add_f32 v[26:27], v[26:27], v[36:37]
	s_waitcnt lgkmcnt(2)
	v_pk_add_f32 v[26:27], v[26:27], v[38:39]
	v_pk_add_f32 v[26:27], v[26:27], v[40:41]
	s_waitcnt lgkmcnt(0)
	v_pk_add_f32 v[26:27], v[26:27], v[32:33]
	v_pk_add_f32 v[26:27], v[26:27], v[34:35]
	;; [unrolled: 1-line block ×4, first 2 shown]
.LBB34_124:
	s_or_b64 exec, exec, s[8:9]
	v_pk_mul_f32 v[26:27], v[8:9], v[20:21] op_sel:[0,1]
	v_pk_fma_f32 v[34:35], v[8:9], v[20:21], v[26:27] op_sel:[0,0,1] op_sel_hi:[1,1,0] neg_lo:[0,0,1] neg_hi:[0,0,1]
	v_pk_fma_f32 v[8:9], v[8:9], v[20:21], v[26:27] op_sel:[0,0,1] op_sel_hi:[1,0,0]
	v_pk_mul_f32 v[20:21], v[10:11], v[0:1] op_sel:[0,1]
	v_mov_b32_e32 v35, v9
	v_pk_fma_f32 v[26:27], v[10:11], v[0:1], v[20:21] op_sel:[0,0,1] op_sel_hi:[1,1,0] neg_lo:[0,0,1] neg_hi:[0,0,1]
	v_pk_fma_f32 v[0:1], v[10:11], v[0:1], v[20:21] op_sel:[0,0,1] op_sel_hi:[1,0,0]
	v_pk_add_f32 v[8:9], v[34:35], 0 op_sel_hi:[1,0]
	v_mov_b32_e32 v27, v1
	v_pk_add_f32 v[0:1], v[8:9], v[26:27]
	v_pk_mul_f32 v[8:9], v[4:5], v[2:3] op_sel:[0,1]
	v_pk_fma_f32 v[10:11], v[4:5], v[2:3], v[8:9] op_sel:[0,0,1] op_sel_hi:[1,1,0] neg_lo:[0,0,1] neg_hi:[0,0,1]
	v_pk_fma_f32 v[2:3], v[4:5], v[2:3], v[8:9] op_sel:[0,0,1] op_sel_hi:[1,0,0]
	v_mov_b32_e32 v11, v3
	v_pk_mul_f32 v[2:3], v[6:7], v[18:19] op_sel:[0,1]
	v_pk_fma_f32 v[4:5], v[6:7], v[18:19], v[2:3] op_sel:[0,0,1] op_sel_hi:[1,1,0] neg_lo:[0,0,1] neg_hi:[0,0,1]
	v_pk_fma_f32 v[2:3], v[6:7], v[18:19], v[2:3] op_sel:[0,0,1] op_sel_hi:[1,0,0]
	v_pk_add_f32 v[0:1], v[0:1], v[10:11]
	v_mov_b32_e32 v5, v3
	v_pk_add_f32 v[0:1], v[0:1], v[4:5]
	s_barrier
	ds_write_b64 v23, v[0:1]
	s_waitcnt lgkmcnt(0)
	s_barrier
	s_and_saveexec_b64 s[4:5], s[2:3]
	s_cbranch_execz .LBB34_126
; %bb.125:
	ds_read2_b64 v[0:3], v24 offset1:1
	ds_read2_b64 v[4:7], v24 offset0:2 offset1:3
	ds_read2_b64 v[8:11], v24 offset0:4 offset1:5
	s_waitcnt lgkmcnt(2)
	v_pk_add_f32 v[0:1], v[32:33], v[0:1]
	v_pk_add_f32 v[18:19], v[0:1], v[2:3]
	ds_read2_b64 v[0:3], v24 offset0:6 offset1:7
	s_waitcnt lgkmcnt(2)
	v_pk_add_f32 v[4:5], v[18:19], v[4:5]
	v_pk_add_f32 v[4:5], v[4:5], v[6:7]
	s_waitcnt lgkmcnt(1)
	v_pk_add_f32 v[4:5], v[4:5], v[8:9]
	v_pk_add_f32 v[4:5], v[4:5], v[10:11]
	s_waitcnt lgkmcnt(0)
	v_pk_add_f32 v[0:1], v[4:5], v[0:1]
	v_pk_add_f32 v[32:33], v[0:1], v[2:3]
.LBB34_126:
	s_or_b64 exec, exec, s[4:5]
	s_mul_hi_u32 s2, s40, s24
	s_mul_i32 s41, s41, s24
	s_add_i32 s2, s2, s41
	s_mul_i32 s4, s40, s24
	s_mul_i32 s2, s2, s7
	s_mul_hi_u32 s3, s4, s7
	s_add_i32 s3, s3, s2
	s_mul_i32 s2, s4, s7
	s_lshl_b64 s[2:3], s[2:3], 3
	s_add_u32 s4, s26, s2
	s_addc_u32 s5, s27, s3
	s_mul_hi_i32 s3, s40, s6
	s_mul_i32 s2, s40, s6
	s_lshl_b64 s[2:3], s[2:3], 3
	s_add_u32 s17, s4, s2
	s_addc_u32 s26, s5, s3
	s_add_i32 s8, s6, 1
	s_cmp_ge_u32 s8, s7
	v_lshlrev_b32_e32 v73, 3, v30
	s_barrier
	s_cbranch_scc1 .LBB34_184
; %bb.127:
	s_mul_i32 s2, s20, s25
	s_ashr_i32 s3, s2, 31
	s_lshl_b64 s[2:3], s[2:3], 3
	v_lshlrev_b32_e32 v119, 2, v71
	v_mov_b32_e32 v0, s3
	v_subrev_co_u32_e32 v133, vcc, s2, v14
	v_subb_co_u32_e32 v134, vcc, v15, v0, vcc
	v_mad_u64_u32 v[0:1], s[2:3], v119, s22, v[30:31]
	v_ashrrev_i32_e32 v1, 31, v0
	v_sub_co_u32_e32 v135, vcc, 0, v12
	s_lshl_b32 s2, s22, 4
	v_subb_co_u32_e32 v136, vcc, 0, v13, vcc
	v_lshlrev_b64 v[2:3], 3, v[0:1]
	s_lshl_b32 s34, s25, 6
	s_ashr_i32 s3, s2, 31
	s_ashr_i32 s23, s22, 31
	s_lshl_b32 s14, s22, 1
	s_mul_i32 s36, s22, 3
	s_mul_i32 s25, s25, s8
	v_mov_b32_e32 v4, s31
	v_add_co_u32_e32 v5, vcc, s30, v2
	s_add_i32 s27, s7, -2
	s_ashr_i32 s15, s14, 31
	s_ashr_i32 s37, s36, 31
	s_lshl_b64 s[4:5], s[22:23], 3
	s_lshl_b32 s10, s25, 6
	v_addc_co_u32_e32 v4, vcc, v4, v3, vcc
	s_lshl_b64 s[12:13], s[2:3], 5
	s_lshl_b64 s[8:9], s[22:23], 4
	v_add_co_u32_e32 v34, vcc, v16, v5
	s_add_u32 s11, s8, s30
	v_addc_co_u32_e32 v29, vcc, v17, v4, vcc
	s_addc_u32 s21, s9, s31
	v_mov_b32_e32 v4, s21
	v_add_co_u32_e32 v5, vcc, s11, v2
	v_addc_co_u32_e32 v4, vcc, v4, v3, vcc
	v_add_co_u32_e32 v36, vcc, v16, v5
	s_add_u32 s23, s4, s30
	v_addc_co_u32_e32 v31, vcc, v17, v4, vcc
	s_addc_u32 s35, s5, s31
	v_mov_b32_e32 v4, s35
	v_add_co_u32_e32 v5, vcc, s23, v2
	v_addc_co_u32_e32 v4, vcc, v4, v3, vcc
	s_lshl_b64 s[14:15], s[14:15], 3
	v_add_co_u32_e32 v38, vcc, v16, v5
	s_add_u32 s24, s30, s14
	v_addc_co_u32_e32 v35, vcc, v17, v4, vcc
	s_addc_u32 s25, s31, s15
	v_mov_b32_e32 v4, s25
	v_add_co_u32_e32 v5, vcc, s24, v2
	v_addc_co_u32_e32 v4, vcc, v4, v3, vcc
	s_lshl_b64 s[24:25], s[36:37], 3
	v_add_co_u32_e32 v40, vcc, v16, v5
	s_add_u32 s36, s30, s24
	v_addc_co_u32_e32 v37, vcc, v17, v4, vcc
	s_addc_u32 s37, s31, s25
	v_mov_b32_e32 v4, s37
	v_add_co_u32_e32 v5, vcc, s36, v2
	v_addc_co_u32_e32 v4, vcc, v4, v3, vcc
	s_lshl_b64 s[36:37], s[2:3], 3
	v_add_co_u32_e32 v42, vcc, v16, v5
	s_add_u32 s38, s30, s36
	v_addc_co_u32_e32 v39, vcc, v17, v4, vcc
	s_addc_u32 s39, s31, s37
	v_mov_b32_e32 v4, s39
	v_add_co_u32_e32 v5, vcc, s38, v2
	v_addc_co_u32_e32 v4, vcc, v4, v3, vcc
	v_add_co_u32_e32 v44, vcc, v16, v5
	s_add_u32 s40, s11, s36
	v_addc_co_u32_e32 v41, vcc, v17, v4, vcc
	s_addc_u32 s41, s21, s37
	v_mov_b32_e32 v4, s41
	v_add_co_u32_e32 v5, vcc, s40, v2
	v_addc_co_u32_e32 v4, vcc, v4, v3, vcc
	;; [unrolled: 7-line block ×5, first 2 shown]
	s_lshl_b64 s[36:37], s[2:3], 4
	v_add_co_u32_e32 v52, vcc, v16, v5
	s_add_u32 s3, s36, s30
	v_addc_co_u32_e32 v49, vcc, v17, v4, vcc
	s_addc_u32 s23, s37, s31
	v_mov_b32_e32 v4, s23
	v_add_co_u32_e32 v5, vcc, s3, v2
	v_addc_co_u32_e32 v4, vcc, v4, v3, vcc
	v_add_co_u32_e32 v54, vcc, v16, v5
	s_add_u32 s11, s11, s36
	v_addc_co_u32_e32 v51, vcc, v17, v4, vcc
	s_addc_u32 s21, s21, s37
	v_mov_b32_e32 v4, s21
	v_add_co_u32_e32 v5, vcc, s11, v2
	s_add_u32 s11, s3, s4
	v_addc_co_u32_e32 v4, vcc, v4, v3, vcc
	s_addc_u32 s21, s23, s5
	v_mov_b32_e32 v6, s21
	;; [unrolled: 5-line block ×4, first 2 shown]
	v_add_co_u32_e32 v11, vcc, s3, v2
	v_addc_co_u32_e32 v10, vcc, v10, v3, vcc
	v_mov_b32_e32 v2, s29
	v_add_co_u32_e32 v0, vcc, s28, v0
	v_addc_co_u32_e32 v1, vcc, v2, v1, vcc
	v_lshlrev_b64 v[0:1], 3, v[0:1]
	s_mul_i32 s11, s22, 0x180
	s_mul_hi_i32 s21, s2, 24
	v_mad_i64_i32 v[2:3], s[2:3], s2, 24, v[0:1]
	s_add_u32 s2, s11, s8
	s_addc_u32 s3, s21, s9
	v_mov_b32_e32 v12, s3
	v_add_co_u32_e32 v0, vcc, s2, v0
	v_addc_co_u32_e32 v1, vcc, v12, v1, vcc
	v_mov_b32_e32 v12, s5
	v_add_co_u32_e32 v13, vcc, s4, v2
	v_addc_co_u32_e32 v12, vcc, v3, v12, vcc
	v_mov_b32_e32 v14, s15
	v_add_co_u32_e32 v15, vcc, s14, v2
	v_addc_co_u32_e32 v14, vcc, v3, v14, vcc
	v_mov_b32_e32 v18, s25
	v_add_co_u32_e32 v19, vcc, s24, v2
	v_addc_co_u32_e32 v18, vcc, v3, v18, vcc
	v_add_co_u32_e32 v56, vcc, v16, v2
	v_addc_co_u32_e32 v53, vcc, v17, v3, vcc
	v_add_co_u32_e32 v58, vcc, v16, v5
	v_addc_co_u32_e32 v55, vcc, v17, v4, vcc
	;; [unrolled: 2-line block ×6, first 2 shown]
	v_add_co_u32_e32 v68, vcc, v16, v13
	v_and_b32_e32 v2, 48, v30
	v_addc_co_u32_e32 v65, vcc, v17, v12, vcc
	s_movk_i32 s4, 0x218
	v_and_b32_e32 v1, 15, v30
	v_lshlrev_b32_e32 v3, 3, v2
	v_add_co_u32_e32 v70, vcc, v16, v15
	v_lshrrev_b32_e32 v0, 4, v22
	v_mad_u32_u24 v137, v1, s4, v3
	v_or_b32_e32 v3, 0x78, v73
	v_addc_co_u32_e32 v67, vcc, v17, v14, vcc
	v_mad_u32_u24 v138, v1, s4, v3
	v_lshlrev_b32_e32 v3, 5, v0
	v_add_co_u32_e32 v72, vcc, v16, v19
	v_mad_u32_u24 v139, v1, s4, v3
	v_mov_b32_e32 v3, 0x2180
	s_movk_i32 s4, 0x860
	v_mul_i32_i24_e32 v0, 0xffffffe8, v0
	v_add_u32_e32 v2, s20, v2
	v_addc_co_u32_e32 v69, vcc, v17, v18, vcc
	v_cmp_gt_u32_e64 s[2:3], 64, v22
	v_lshl_add_u32 v140, v71, 5, v3
	v_add3_u32 v74, v2, v1, 64
	s_mov_b32 s14, 0
	v_add_u32_e32 v141, v139, v0
	v_add_u32_e32 v142, 0x2180, v73
	;; [unrolled: 1-line block ×3, first 2 shown]
	v_or_b32_e32 v144, 1, v119
	v_or_b32_e32 v145, 2, v119
	;; [unrolled: 1-line block ×3, first 2 shown]
	v_mad_u32_u24 v147, v71, s4, v73
	v_add_u32_e32 v148, 16, v119
	v_add_u32_e32 v149, 17, v119
	;; [unrolled: 1-line block ×12, first 2 shown]
	v_mov_b32_e32 v76, 0
	s_branch .LBB34_129
.LBB34_128:                             ;   in Loop: Header=BB34_129 Depth=1
	s_or_b64 exec, exec, s[4:5]
	v_mul_f32_e32 v0, v79, v87
	v_fma_f32 v0, v78, v86, -v0
	v_mul_f32_e32 v2, v81, v89
	v_add_f32_e32 v0, v32, v0
	v_fma_f32 v2, v80, v88, -v2
	v_add_f32_e32 v0, v0, v2
	v_mul_f32_e32 v2, v83, v91
	v_fma_f32 v2, v82, v90, -v2
	v_mul_f32_e32 v1, v78, v87
	v_add_f32_e32 v0, v0, v2
	v_mul_f32_e32 v2, v85, v93
	v_mul_f32_e32 v3, v80, v89
	v_fma_f32 v2, v84, v92, -v2
	v_fmac_f32_e32 v1, v79, v86
	v_mul_f32_e32 v4, v82, v91
	v_add_f32_e32 v0, v0, v2
	v_add_f32_e32 v1, v33, v1
	v_fmac_f32_e32 v3, v81, v88
	v_mul_f32_e32 v2, v95, v103
	v_mul_f32_e32 v5, v84, v93
	v_add_f32_e32 v1, v1, v3
	v_fmac_f32_e32 v4, v83, v90
	v_fma_f32 v2, v94, v102, -v2
	v_add_f32_e32 v1, v1, v4
	v_fmac_f32_e32 v5, v85, v92
	v_mul_f32_e32 v6, v94, v103
	v_add_f32_e32 v0, v0, v2
	v_mul_f32_e32 v2, v97, v105
	v_add_f32_e32 v1, v1, v5
	v_fma_f32 v2, v96, v104, -v2
	v_mul_f32_e32 v7, v96, v105
	v_fmac_f32_e32 v6, v95, v102
	v_add_f32_e32 v0, v0, v2
	v_mul_f32_e32 v2, v99, v107
	v_mul_f32_e32 v3, v98, v107
	v_add_f32_e32 v1, v1, v6
	v_fmac_f32_e32 v7, v97, v104
	v_fma_f32 v2, v98, v106, -v2
	v_mul_f32_e32 v4, v101, v109
	v_mul_f32_e32 v5, v100, v109
	v_add_f32_e32 v1, v1, v7
	v_fmac_f32_e32 v3, v99, v106
	v_fma_f32 v4, v100, v108, -v4
	v_pk_add_f32 v[0:1], v[0:1], v[2:3]
	v_fmac_f32_e32 v5, v101, v108
	v_pk_mul_f32 v[2:3], v[110:111], v[120:121] op_sel:[1,0]
	v_pk_add_f32 v[0:1], v[0:1], v[4:5]
	v_pk_fma_f32 v[4:5], v[110:111], v[120:121], v[2:3] op_sel:[0,0,1] op_sel_hi:[1,1,0] neg_lo:[0,0,1] neg_hi:[0,0,1]
	v_pk_fma_f32 v[2:3], v[110:111], v[120:121], v[2:3] op_sel:[0,0,1] op_sel_hi:[0,1,0]
	v_mov_b32_e32 v5, v3
	v_pk_mul_f32 v[2:3], v[112:113], v[8:9] op_sel:[1,0]
	v_pk_add_f32 v[0:1], v[0:1], v[4:5]
	v_pk_fma_f32 v[4:5], v[112:113], v[8:9], v[2:3] op_sel:[0,0,1] op_sel_hi:[1,1,0] neg_lo:[0,0,1] neg_hi:[0,0,1]
	v_pk_fma_f32 v[2:3], v[112:113], v[8:9], v[2:3] op_sel:[0,0,1] op_sel_hi:[0,1,0]
	v_mov_b32_e32 v5, v3
	;; [unrolled: 5-line block ×3, first 2 shown]
	v_pk_mul_f32 v[2:3], v[118:119], v[122:123] op_sel_hi:[0,1]
	v_pk_add_f32 v[0:1], v[0:1], v[4:5]
	v_pk_fma_f32 v[4:5], v[116:117], v[122:123], v[2:3] op_sel:[0,0,1] op_sel_hi:[1,1,0] neg_lo:[0,0,1] neg_hi:[0,0,1]
	v_pk_fma_f32 v[2:3], v[116:117], v[122:123], v[2:3] op_sel:[0,0,1] op_sel_hi:[0,1,0]
	v_mov_b32_e32 v5, v3
	v_pk_mul_f32 v[2:3], v[124:125], v[16:17] op_sel:[1,0]
	v_pk_add_f32 v[0:1], v[0:1], v[4:5]
	v_pk_fma_f32 v[4:5], v[124:125], v[16:17], v[2:3] op_sel:[0,0,1] op_sel_hi:[1,1,0] neg_lo:[0,0,1] neg_hi:[0,0,1]
	v_pk_fma_f32 v[2:3], v[124:125], v[16:17], v[2:3] op_sel:[0,0,1] op_sel_hi:[0,1,0]
	v_mov_b32_e32 v5, v3
	v_pk_mul_f32 v[2:3], v[126:127], v[18:19] op_sel:[1,0]
	v_pk_fma_f32 v[6:7], v[126:127], v[18:19], v[2:3] op_sel:[0,0,1] op_sel_hi:[1,1,0] neg_lo:[0,0,1] neg_hi:[0,0,1]
	v_pk_fma_f32 v[2:3], v[126:127], v[18:19], v[2:3] op_sel:[0,0,1] op_sel_hi:[0,1,0]
	v_mov_b32_e32 v7, v3
	v_pk_mul_f32 v[2:3], v[128:129], v[12:13] op_sel:[1,0]
	v_pk_fma_f32 v[8:9], v[128:129], v[12:13], v[2:3] op_sel:[0,0,1] op_sel_hi:[1,1,0] neg_lo:[0,0,1] neg_hi:[0,0,1]
	v_pk_fma_f32 v[2:3], v[128:129], v[12:13], v[2:3] op_sel:[0,0,1] op_sel_hi:[0,1,0]
	v_mov_b32_e32 v9, v3
	v_pk_mul_f32 v[2:3], v[132:133], v[14:15] op_sel_hi:[0,1]
	v_pk_add_f32 v[0:1], v[0:1], v[4:5]
	v_pk_fma_f32 v[10:11], v[130:131], v[14:15], v[2:3] op_sel:[0,0,1] op_sel_hi:[1,1,0] neg_lo:[0,0,1] neg_hi:[0,0,1]
	v_pk_fma_f32 v[2:3], v[130:131], v[14:15], v[2:3] op_sel:[0,0,1] op_sel_hi:[0,1,0]
	v_pk_add_f32 v[0:1], v[0:1], v[6:7]
	v_mov_b32_e32 v11, v3
	v_pk_add_f32 v[0:1], v[0:1], v[8:9]
	v_pk_add_f32 v[32:33], v[0:1], v[10:11]
	v_mov_b32_e32 v0, s13
	v_add_co_u32_e32 v34, vcc, s12, v34
	v_addc_co_u32_e32 v29, vcc, v29, v0, vcc
	v_add_co_u32_e32 v36, vcc, s12, v36
	v_addc_co_u32_e32 v31, vcc, v31, v0, vcc
	;; [unrolled: 2-line block ×19, first 2 shown]
	s_add_i32 s4, s6, 1
	s_add_i32 s10, s10, s34
	;; [unrolled: 1-line block ×3, first 2 shown]
	v_add_co_u32_e32 v72, vcc, s12, v72
	v_add_u32_e32 v74, 64, v74
	v_addc_co_u32_e32 v69, vcc, v69, v0, vcc
	s_cmp_ge_u32 s5, s7
	s_mov_b32 s6, s4
	s_barrier
	s_cbranch_scc1 .LBB34_184
.LBB34_129:                             ; =>This Inner Loop Header: Depth=1
	s_cmp_eq_u32 s27, s6
	s_cselect_b32 s24, s33, 0
	s_and_saveexec_b64 s[4:5], s[0:1]
	s_cbranch_execz .LBB34_134
; %bb.130:                              ;   in Loop: Header=BB34_129 Depth=1
	s_cmp_lg_u32 s24, 0
	s_cselect_b64 s[8:9], -1, 0
	v_cmp_le_i32_e32 vcc, s24, v30
	s_and_b64 s[8:9], s[8:9], vcc
	s_and_saveexec_b64 s[20:21], s[8:9]
	s_xor_b64 s[8:9], exec, s[20:21]
	s_cbranch_execz .LBB34_132
; %bb.131:                              ;   in Loop: Header=BB34_129 Depth=1
	v_mov_b32_e32 v77, v76
	ds_write_b64 v142, v[76:77]
.LBB34_132:                             ;   in Loop: Header=BB34_129 Depth=1
	s_andn2_saveexec_b64 s[8:9], s[8:9]
	s_cbranch_execz .LBB34_134
; %bb.133:                              ;   in Loop: Header=BB34_129 Depth=1
	s_ashr_i32 s11, s10, 31
	s_lshl_b64 s[8:9], s[10:11], 3
	v_mov_b32_e32 v1, s9
	v_add_co_u32_e32 v0, vcc, s8, v133
	v_addc_co_u32_e32 v1, vcc, v134, v1, vcc
	flat_load_dwordx2 v[0:1], v[0:1]
	s_waitcnt vmcnt(0) lgkmcnt(0)
	ds_write_b64 v142, v[0:1]
.LBB34_134:                             ;   in Loop: Header=BB34_129 Depth=1
	s_or_b64 exec, exec, s[4:5]
	s_cmp_eq_u32 s24, 0
	v_add_co_u32_e32 v0, vcc, v34, v135
	s_cselect_b64 s[20:21], -1, 0
	s_cmp_lg_u32 s24, 0
	v_addc_co_u32_e32 v1, vcc, v29, v136, vcc
	s_cselect_b64 s[8:9], -1, 0
	s_and_b64 vcc, exec, s[8:9]
	s_waitcnt lgkmcnt(0)
	s_barrier
	s_cbranch_vccz .LBB34_142
; %bb.135:                              ;   in Loop: Header=BB34_129 Depth=1
	s_mov_b32 s15, s14
	v_cmp_gt_i32_e32 vcc, s24, v119
	v_pk_mov_b32 v[78:79], s[14:15], s[14:15] op_sel:[0,1]
	s_and_saveexec_b64 s[4:5], vcc
	s_cbranch_execz .LBB34_137
; %bb.136:                              ;   in Loop: Header=BB34_129 Depth=1
	flat_load_dwordx2 v[78:79], v[0:1]
.LBB34_137:                             ;   in Loop: Header=BB34_129 Depth=1
	s_or_b64 exec, exec, s[4:5]
	v_cmp_gt_i32_e32 vcc, s24, v144
	v_pk_mov_b32 v[80:81], s[14:15], s[14:15] op_sel:[0,1]
	s_and_saveexec_b64 s[4:5], vcc
	s_cbranch_execz .LBB34_139
; %bb.138:                              ;   in Loop: Header=BB34_129 Depth=1
	v_add_co_u32_e32 v2, vcc, v38, v135
	v_addc_co_u32_e32 v3, vcc, v35, v136, vcc
	flat_load_dwordx2 v[80:81], v[2:3]
.LBB34_139:                             ;   in Loop: Header=BB34_129 Depth=1
	s_or_b64 exec, exec, s[4:5]
	s_mov_b32 s15, s14
	v_cmp_gt_i32_e32 vcc, s24, v145
	v_pk_mov_b32 v[82:83], s[14:15], s[14:15] op_sel:[0,1]
	s_and_saveexec_b64 s[4:5], vcc
	s_cbranch_execz .LBB34_141
; %bb.140:                              ;   in Loop: Header=BB34_129 Depth=1
	v_add_co_u32_e32 v2, vcc, v40, v135
	v_addc_co_u32_e32 v3, vcc, v37, v136, vcc
	flat_load_dwordx2 v[82:83], v[2:3]
.LBB34_141:                             ;   in Loop: Header=BB34_129 Depth=1
	s_or_b64 exec, exec, s[4:5]
	v_cmp_gt_i32_e64 s[4:5], s24, v146
	s_mov_b32 s11, 0
	s_branch .LBB34_144
.LBB34_142:                             ;   in Loop: Header=BB34_129 Depth=1
	s_mov_b64 s[4:5], 0
                                        ; implicit-def: $sgpr11
                                        ; implicit-def: $vgpr82_vgpr83
                                        ; implicit-def: $vgpr80_vgpr81
                                        ; implicit-def: $vgpr78_vgpr79
	s_cbranch_execz .LBB34_144
; %bb.143:                              ;   in Loop: Header=BB34_129 Depth=1
	s_waitcnt vmcnt(0) lgkmcnt(0)
	flat_load_dwordx2 v[78:79], v[0:1]
	v_add_co_u32_e32 v0, vcc, v38, v135
	v_addc_co_u32_e32 v1, vcc, v35, v136, vcc
	flat_load_dwordx2 v[80:81], v[0:1]
	v_add_co_u32_e32 v0, vcc, v36, v135
	v_addc_co_u32_e32 v1, vcc, v31, v136, vcc
	flat_load_dwordx2 v[82:83], v[0:1]
	s_or_b64 s[4:5], s[4:5], exec
                                        ; implicit-def: $sgpr11
.LBB34_144:                             ;   in Loop: Header=BB34_129 Depth=1
	v_mov_b32_e32 v84, s11
	v_mov_b32_e32 v85, s11
	s_and_saveexec_b64 s[22:23], s[4:5]
	s_cbranch_execz .LBB34_146
; %bb.145:                              ;   in Loop: Header=BB34_129 Depth=1
	v_add_co_u32_e32 v0, vcc, v42, v135
	v_addc_co_u32_e32 v1, vcc, v39, v136, vcc
	flat_load_dwordx2 v[84:85], v[0:1]
.LBB34_146:                             ;   in Loop: Header=BB34_129 Depth=1
	s_or_b64 exec, exec, s[22:23]
	ds_read_b64 v[0:1], v143
	ds_read_b64 v[86:87], v140
	v_cndmask_b32_e64 v8, 0, 1, s[8:9]
	v_cmp_ne_u32_e64 s[4:5], 1, v8
	s_andn2_b64 vcc, exec, s[8:9]
	s_waitcnt vmcnt(0) lgkmcnt(0)
	v_mul_f32_e32 v2, v79, v1
	v_mul_f32_e32 v3, v79, v0
	v_fmac_f32_e32 v2, v78, v0
	v_fma_f32 v3, v78, v1, -v3
	v_mul_f32_e32 v4, v81, v1
	ds_write_b64 v147, v[2:3]
	v_mul_f32_e32 v2, v81, v0
	v_fmac_f32_e32 v4, v80, v0
	v_fma_f32 v5, v80, v1, -v2
	v_mul_f32_e32 v2, v83, v1
	v_mul_f32_e32 v3, v83, v0
	ds_read_b64 v[88:89], v140 offset:8
	ds_write_b64 v147, v[4:5] offset:536
	v_fmac_f32_e32 v2, v82, v0
	v_fma_f32 v3, v82, v1, -v3
	ds_read_b64 v[90:91], v140 offset:16
	ds_write_b64 v147, v[2:3] offset:1072
	v_mul_f32_e32 v2, v85, v1
	v_fmac_f32_e32 v2, v84, v0
	v_mul_f32_e32 v0, v85, v0
	v_fma_f32 v3, v84, v1, -v0
	ds_read_b64 v[92:93], v140 offset:24
	ds_write_b64 v147, v[2:3] offset:1608
	s_waitcnt lgkmcnt(0)
	s_barrier
	ds_read2_b64 v[4:7], v139 offset1:1
	ds_read2_b64 v[0:3], v139 offset0:2 offset1:3
	v_add_co_u32_e64 v8, s[8:9], v44, v135
	v_addc_co_u32_e64 v9, s[8:9], v41, v136, s[8:9]
	s_waitcnt lgkmcnt(0)
	s_barrier
	s_cbranch_vccnz .LBB34_154
; %bb.147:                              ;   in Loop: Header=BB34_129 Depth=1
	s_mov_b32 s15, s14
	v_cmp_gt_i32_e32 vcc, s24, v148
	v_pk_mov_b32 v[94:95], s[14:15], s[14:15] op_sel:[0,1]
	s_and_saveexec_b64 s[8:9], vcc
	s_cbranch_execz .LBB34_149
; %bb.148:                              ;   in Loop: Header=BB34_129 Depth=1
	flat_load_dwordx2 v[94:95], v[8:9]
.LBB34_149:                             ;   in Loop: Header=BB34_129 Depth=1
	s_or_b64 exec, exec, s[8:9]
	v_cmp_gt_i32_e32 vcc, s24, v149
	v_pk_mov_b32 v[96:97], s[14:15], s[14:15] op_sel:[0,1]
	s_and_saveexec_b64 s[8:9], vcc
	s_cbranch_execz .LBB34_151
; %bb.150:                              ;   in Loop: Header=BB34_129 Depth=1
	v_add_co_u32_e32 v10, vcc, v48, v135
	v_addc_co_u32_e32 v11, vcc, v45, v136, vcc
	flat_load_dwordx2 v[96:97], v[10:11]
.LBB34_151:                             ;   in Loop: Header=BB34_129 Depth=1
	s_or_b64 exec, exec, s[8:9]
	s_mov_b32 s15, s14
	v_cmp_gt_i32_e32 vcc, s24, v150
	v_pk_mov_b32 v[98:99], s[14:15], s[14:15] op_sel:[0,1]
	s_and_saveexec_b64 s[8:9], vcc
	s_cbranch_execz .LBB34_153
; %bb.152:                              ;   in Loop: Header=BB34_129 Depth=1
	v_add_co_u32_e32 v10, vcc, v50, v135
	v_addc_co_u32_e32 v11, vcc, v47, v136, vcc
	flat_load_dwordx2 v[98:99], v[10:11]
.LBB34_153:                             ;   in Loop: Header=BB34_129 Depth=1
	s_or_b64 exec, exec, s[8:9]
	v_cmp_gt_i32_e64 s[8:9], s24, v151
	s_mov_b32 s11, 0
	s_branch .LBB34_156
.LBB34_154:                             ;   in Loop: Header=BB34_129 Depth=1
	s_mov_b64 s[8:9], 0
                                        ; implicit-def: $sgpr11
                                        ; implicit-def: $vgpr98_vgpr99
                                        ; implicit-def: $vgpr96_vgpr97
                                        ; implicit-def: $vgpr94_vgpr95
	s_cbranch_execz .LBB34_156
; %bb.155:                              ;   in Loop: Header=BB34_129 Depth=1
	s_waitcnt vmcnt(0) lgkmcnt(0)
	flat_load_dwordx2 v[94:95], v[8:9]
	v_add_co_u32_e32 v8, vcc, v48, v135
	v_addc_co_u32_e32 v9, vcc, v45, v136, vcc
	flat_load_dwordx2 v[96:97], v[8:9]
	v_add_co_u32_e32 v8, vcc, v46, v135
	v_addc_co_u32_e32 v9, vcc, v43, v136, vcc
	flat_load_dwordx2 v[98:99], v[8:9]
	s_or_b64 s[8:9], s[8:9], exec
                                        ; implicit-def: $sgpr11
.LBB34_156:                             ;   in Loop: Header=BB34_129 Depth=1
	v_mov_b32_e32 v100, s11
	v_mov_b32_e32 v101, s11
	s_and_saveexec_b64 s[22:23], s[8:9]
	s_cbranch_execz .LBB34_158
; %bb.157:                              ;   in Loop: Header=BB34_129 Depth=1
	v_add_co_u32_e32 v8, vcc, v52, v135
	v_addc_co_u32_e32 v9, vcc, v49, v136, vcc
	flat_load_dwordx2 v[100:101], v[8:9]
.LBB34_158:                             ;   in Loop: Header=BB34_129 Depth=1
	s_or_b64 exec, exec, s[22:23]
	ds_read_b64 v[8:9], v143
	ds_read_b64 v[102:103], v140 offset:128
	s_and_b64 vcc, exec, s[4:5]
	s_waitcnt vmcnt(0) lgkmcnt(0)
	v_mul_f32_e32 v10, v95, v9
	v_mul_f32_e32 v11, v95, v8
	v_fmac_f32_e32 v10, v94, v8
	v_fma_f32 v11, v94, v9, -v11
	v_mul_f32_e32 v12, v97, v9
	ds_write_b64 v147, v[10:11]
	v_mul_f32_e32 v10, v97, v8
	v_fmac_f32_e32 v12, v96, v8
	v_fma_f32 v13, v96, v9, -v10
	v_mul_f32_e32 v10, v99, v9
	v_mul_f32_e32 v11, v99, v8
	ds_read_b64 v[104:105], v140 offset:136
	ds_write_b64 v147, v[12:13] offset:536
	v_fmac_f32_e32 v10, v98, v8
	v_fma_f32 v11, v98, v9, -v11
	ds_read_b64 v[106:107], v140 offset:144
	ds_write_b64 v147, v[10:11] offset:1072
	v_mul_f32_e32 v10, v101, v9
	v_fmac_f32_e32 v10, v100, v8
	v_mul_f32_e32 v8, v101, v8
	v_fma_f32 v11, v100, v9, -v8
	ds_read_b64 v[108:109], v140 offset:152
	ds_write_b64 v147, v[10:11] offset:1608
	s_waitcnt lgkmcnt(0)
	s_barrier
	ds_read2_b64 v[16:19], v139 offset1:1
	ds_read2_b64 v[12:15], v139 offset0:2 offset1:3
	v_add_co_u32_e64 v8, s[8:9], v54, v135
	v_addc_co_u32_e64 v9, s[8:9], v51, v136, s[8:9]
	s_waitcnt lgkmcnt(0)
	s_barrier
	s_cbranch_vccnz .LBB34_166
; %bb.159:                              ;   in Loop: Header=BB34_129 Depth=1
	s_mov_b32 s15, s14
	v_cmp_gt_i32_e32 vcc, s24, v152
	v_pk_mov_b32 v[110:111], s[14:15], s[14:15] op_sel:[0,1]
	s_and_saveexec_b64 s[8:9], vcc
	s_cbranch_execz .LBB34_161
; %bb.160:                              ;   in Loop: Header=BB34_129 Depth=1
	flat_load_dwordx2 v[110:111], v[8:9]
.LBB34_161:                             ;   in Loop: Header=BB34_129 Depth=1
	s_or_b64 exec, exec, s[8:9]
	v_cmp_gt_i32_e32 vcc, s24, v153
	v_pk_mov_b32 v[112:113], s[14:15], s[14:15] op_sel:[0,1]
	s_and_saveexec_b64 s[8:9], vcc
	s_cbranch_execz .LBB34_163
; %bb.162:                              ;   in Loop: Header=BB34_129 Depth=1
	v_add_co_u32_e32 v10, vcc, v60, v135
	v_addc_co_u32_e32 v11, vcc, v57, v136, vcc
	flat_load_dwordx2 v[112:113], v[10:11]
.LBB34_163:                             ;   in Loop: Header=BB34_129 Depth=1
	s_or_b64 exec, exec, s[8:9]
	s_mov_b32 s15, s14
	v_cmp_gt_i32_e32 vcc, s24, v154
	v_pk_mov_b32 v[114:115], s[14:15], s[14:15] op_sel:[0,1]
	s_and_saveexec_b64 s[8:9], vcc
	s_cbranch_execz .LBB34_165
; %bb.164:                              ;   in Loop: Header=BB34_129 Depth=1
	v_add_co_u32_e32 v10, vcc, v62, v135
	v_addc_co_u32_e32 v11, vcc, v59, v136, vcc
	flat_load_dwordx2 v[114:115], v[10:11]
.LBB34_165:                             ;   in Loop: Header=BB34_129 Depth=1
	s_or_b64 exec, exec, s[8:9]
	v_cmp_gt_i32_e64 s[8:9], s24, v155
	s_mov_b32 s11, 0
	s_branch .LBB34_168
.LBB34_166:                             ;   in Loop: Header=BB34_129 Depth=1
	s_mov_b64 s[8:9], 0
                                        ; implicit-def: $sgpr11
                                        ; implicit-def: $vgpr114_vgpr115
                                        ; implicit-def: $vgpr112_vgpr113
                                        ; implicit-def: $vgpr110_vgpr111
	s_cbranch_execz .LBB34_168
; %bb.167:                              ;   in Loop: Header=BB34_129 Depth=1
	s_waitcnt vmcnt(0) lgkmcnt(0)
	flat_load_dwordx2 v[110:111], v[8:9]
	v_add_co_u32_e32 v8, vcc, v60, v135
	v_addc_co_u32_e32 v9, vcc, v57, v136, vcc
	flat_load_dwordx2 v[112:113], v[8:9]
	v_add_co_u32_e32 v8, vcc, v58, v135
	v_addc_co_u32_e32 v9, vcc, v55, v136, vcc
	flat_load_dwordx2 v[114:115], v[8:9]
	s_or_b64 s[8:9], s[8:9], exec
                                        ; implicit-def: $sgpr11
.LBB34_168:                             ;   in Loop: Header=BB34_129 Depth=1
	v_mov_b32_e32 v116, s11
	v_mov_b32_e32 v118, s11
	s_and_saveexec_b64 s[22:23], s[8:9]
	s_cbranch_execz .LBB34_170
; %bb.169:                              ;   in Loop: Header=BB34_129 Depth=1
	v_add_co_u32_e32 v8, vcc, v64, v135
	v_addc_co_u32_e32 v9, vcc, v61, v136, vcc
	flat_load_dwordx2 v[116:117], v[8:9]
	s_waitcnt vmcnt(0) lgkmcnt(0)
	v_mov_b32_e32 v118, v117
.LBB34_170:                             ;   in Loop: Header=BB34_129 Depth=1
	s_or_b64 exec, exec, s[22:23]
	ds_read_b64 v[8:9], v143
	ds_read_b64 v[120:121], v140 offset:256
	s_and_b64 vcc, exec, s[4:5]
	v_add_co_u32_e64 v130, s[4:5], v56, v135
	s_waitcnt vmcnt(0) lgkmcnt(0)
	v_mul_f32_e32 v10, v111, v9
	v_mul_f32_e32 v11, v111, v8
	;; [unrolled: 1-line block ×4, first 2 shown]
	v_fmac_f32_e32 v10, v110, v8
	v_fma_f32 v11, v110, v9, -v11
	v_fmac_f32_e32 v20, v112, v8
	v_fma_f32 v21, v112, v9, -v21
	ds_write2_b64 v147, v[10:11], v[20:21] offset1:67
	v_mul_f32_e32 v10, v115, v9
	v_mul_f32_e32 v20, v118, v9
	v_fmac_f32_e32 v10, v114, v8
	v_mul_f32_e32 v11, v115, v8
	v_fmac_f32_e32 v20, v116, v8
	v_mul_f32_e32 v8, v118, v8
	v_fma_f32 v11, v114, v9, -v11
	v_fma_f32 v21, v116, v9, -v8
	ds_write2_b64 v147, v[10:11], v[20:21] offset0:134 offset1:201
	ds_read2_b64 v[8:11], v140 offset0:33 offset1:34
	ds_read_b64 v[122:123], v140 offset:280
	s_waitcnt lgkmcnt(0)
	s_barrier
	ds_read2_b64 v[24:27], v139 offset1:1
	ds_read2_b64 v[20:23], v139 offset0:2 offset1:3
	v_addc_co_u32_e64 v131, s[4:5], v53, v136, s[4:5]
	s_waitcnt lgkmcnt(0)
	s_barrier
	s_cbranch_vccnz .LBB34_178
; %bb.171:                              ;   in Loop: Header=BB34_129 Depth=1
	s_mov_b32 s15, s14
	v_cmp_gt_i32_e32 vcc, s24, v156
	v_pk_mov_b32 v[124:125], s[14:15], s[14:15] op_sel:[0,1]
	s_and_saveexec_b64 s[4:5], vcc
	s_cbranch_execz .LBB34_173
; %bb.172:                              ;   in Loop: Header=BB34_129 Depth=1
	flat_load_dwordx2 v[124:125], v[130:131]
.LBB34_173:                             ;   in Loop: Header=BB34_129 Depth=1
	s_or_b64 exec, exec, s[4:5]
	v_cmp_gt_i32_e32 vcc, s24, v157
	v_pk_mov_b32 v[126:127], s[14:15], s[14:15] op_sel:[0,1]
	s_and_saveexec_b64 s[4:5], vcc
	s_cbranch_execz .LBB34_175
; %bb.174:                              ;   in Loop: Header=BB34_129 Depth=1
	v_add_co_u32_e32 v126, vcc, v68, v135
	v_addc_co_u32_e32 v127, vcc, v65, v136, vcc
	flat_load_dwordx2 v[126:127], v[126:127]
.LBB34_175:                             ;   in Loop: Header=BB34_129 Depth=1
	s_or_b64 exec, exec, s[4:5]
	s_mov_b32 s15, s14
	v_cmp_gt_i32_e32 vcc, s24, v158
	v_pk_mov_b32 v[128:129], s[14:15], s[14:15] op_sel:[0,1]
	s_and_saveexec_b64 s[4:5], vcc
	s_cbranch_execz .LBB34_177
; %bb.176:                              ;   in Loop: Header=BB34_129 Depth=1
	v_add_co_u32_e32 v128, vcc, v70, v135
	v_addc_co_u32_e32 v129, vcc, v67, v136, vcc
	flat_load_dwordx2 v[128:129], v[128:129]
.LBB34_177:                             ;   in Loop: Header=BB34_129 Depth=1
	s_or_b64 exec, exec, s[4:5]
	v_cmp_gt_i32_e64 s[4:5], s24, v159
	s_mov_b32 s11, 0
	s_branch .LBB34_180
.LBB34_178:                             ;   in Loop: Header=BB34_129 Depth=1
	s_mov_b64 s[4:5], 0
                                        ; implicit-def: $sgpr11
                                        ; implicit-def: $vgpr128_vgpr129
                                        ; implicit-def: $vgpr126_vgpr127
                                        ; implicit-def: $vgpr124_vgpr125
	s_cbranch_execz .LBB34_180
; %bb.179:                              ;   in Loop: Header=BB34_129 Depth=1
	s_waitcnt vmcnt(0) lgkmcnt(0)
	v_add_co_u32_e32 v126, vcc, v68, v135
	v_addc_co_u32_e32 v127, vcc, v65, v136, vcc
	v_add_co_u32_e32 v128, vcc, v66, v135
	v_addc_co_u32_e32 v129, vcc, v63, v136, vcc
	flat_load_dwordx2 v[124:125], v[130:131]
	s_or_b64 s[4:5], s[4:5], exec
	flat_load_dwordx2 v[126:127], v[126:127]
                                        ; implicit-def: $sgpr11
	s_nop 0
	flat_load_dwordx2 v[128:129], v[128:129]
.LBB34_180:                             ;   in Loop: Header=BB34_129 Depth=1
	v_mov_b32_e32 v130, s11
	v_mov_b32_e32 v132, s11
	s_and_saveexec_b64 s[8:9], s[4:5]
	s_cbranch_execz .LBB34_182
; %bb.181:                              ;   in Loop: Header=BB34_129 Depth=1
	v_add_co_u32_e32 v130, vcc, v72, v135
	v_addc_co_u32_e32 v131, vcc, v69, v136, vcc
	flat_load_dwordx2 v[130:131], v[130:131]
	s_waitcnt vmcnt(0) lgkmcnt(0)
	v_mov_b32_e32 v132, v131
.LBB34_182:                             ;   in Loop: Header=BB34_129 Depth=1
	s_or_b64 exec, exec, s[8:9]
	v_pk_add_f32 v[24:25], v[24:25], 0 op_sel_hi:[1,0]
	v_pk_add_f32 v[24:25], v[24:25], v[26:27]
	v_pk_add_f32 v[20:21], v[24:25], v[20:21]
	;; [unrolled: 1-line block ×3, first 2 shown]
	ds_read_b64 v[20:21], v143
	v_pk_add_f32 v[16:17], v[16:17], 0 op_sel_hi:[1,0]
	v_pk_add_f32 v[16:17], v[16:17], v[18:19]
	v_pk_add_f32 v[12:13], v[16:17], v[12:13]
	v_pk_add_f32 v[26:27], v[12:13], v[14:15]
	s_waitcnt vmcnt(0) lgkmcnt(0)
	v_mul_f32_e32 v12, v125, v21
	v_mul_f32_e32 v13, v125, v20
	;; [unrolled: 1-line block ×4, first 2 shown]
	v_fmac_f32_e32 v12, v124, v20
	v_fma_f32 v13, v124, v21, -v13
	v_fmac_f32_e32 v14, v126, v20
	v_fma_f32 v15, v126, v21, -v15
	ds_write2_b64 v147, v[12:13], v[14:15] offset1:67
	v_mul_f32_e32 v12, v129, v21
	v_mul_f32_e32 v13, v129, v20
	;; [unrolled: 1-line block ×4, first 2 shown]
	v_fmac_f32_e32 v12, v128, v20
	v_fma_f32 v13, v128, v21, -v13
	v_fmac_f32_e32 v14, v130, v20
	v_fma_f32 v15, v130, v21, -v15
	ds_write2_b64 v147, v[12:13], v[14:15] offset0:134 offset1:201
	ds_read_b128 v[16:19], v140 offset:384
	ds_read_b128 v[12:15], v140 offset:400
	s_waitcnt lgkmcnt(0)
	s_barrier
	ds_read2_b64 v[20:23], v139 offset1:1
	v_pk_add_f32 v[4:5], v[4:5], 0 op_sel_hi:[1,0]
	v_pk_add_f32 v[160:161], v[4:5], v[6:7]
	ds_read2_b64 v[4:7], v139 offset0:2 offset1:3
	v_pk_add_f32 v[0:1], v[160:161], v[0:1]
	v_pk_add_f32 v[0:1], v[0:1], v[2:3]
	s_waitcnt lgkmcnt(1)
	v_pk_add_f32 v[2:3], v[20:21], 0 op_sel_hi:[1,0]
	v_cmp_gt_i32_e32 vcc, s24, v30
	v_pk_add_f32 v[2:3], v[2:3], v[22:23]
	s_or_b64 s[4:5], s[20:21], vcc
	s_waitcnt lgkmcnt(0)
	v_pk_add_f32 v[2:3], v[2:3], v[4:5]
	s_and_b64 s[8:9], s[2:3], s[4:5]
	v_pk_add_f32 v[2:3], v[2:3], v[6:7]
	s_barrier
	ds_write2_b64 v141, v[0:1], v[26:27] offset1:16
	ds_write2_b64 v141, v[24:25], v[2:3] offset0:32 offset1:48
	s_waitcnt lgkmcnt(0)
	s_barrier
	s_and_saveexec_b64 s[4:5], s[8:9]
	s_cbranch_execz .LBB34_128
; %bb.183:                              ;   in Loop: Header=BB34_129 Depth=1
	ds_read_b64 v[20:21], v137
	ds_read2_b64 v[0:3], v137 offset0:1 offset1:2
	ds_read2_b64 v[4:7], v137 offset0:3 offset1:4
	v_ashrrev_i32_e32 v75, 31, v74
	v_lshlrev_b64 v[22:23], 3, v[74:75]
	v_mov_b32_e32 v25, s26
	s_waitcnt lgkmcnt(1)
	v_add_f32_e32 v0, v0, v20
	v_add_f32_e32 v1, v1, v21
	;; [unrolled: 1-line block ×4, first 2 shown]
	ds_read2_b64 v[0:3], v137 offset0:5 offset1:6
	s_waitcnt lgkmcnt(1)
	v_add_f32_e32 v4, v20, v4
	v_add_f32_e32 v5, v21, v5
	;; [unrolled: 1-line block ×4, first 2 shown]
	ds_read2_b64 v[4:7], v137 offset0:7 offset1:8
	v_add_co_u32_e32 v24, vcc, s17, v22
	v_addc_co_u32_e32 v25, vcc, v25, v23, vcc
	s_waitcnt lgkmcnt(1)
	v_pk_add_f32 v[0:1], v[20:21], v[0:1]
	ds_read2_b64 v[20:23], v137 offset0:9 offset1:10
	v_pk_add_f32 v[0:1], v[0:1], v[2:3]
	s_waitcnt lgkmcnt(1)
	v_pk_add_f32 v[0:1], v[0:1], v[4:5]
	v_pk_add_f32 v[4:5], v[0:1], v[6:7]
	ds_read2_b64 v[0:3], v137 offset0:11 offset1:12
	s_waitcnt lgkmcnt(1)
	v_pk_add_f32 v[20:21], v[4:5], v[20:21]
	ds_read2_b64 v[4:7], v137 offset0:13 offset1:14
	v_pk_add_f32 v[20:21], v[20:21], v[22:23]
	ds_read_b64 v[22:23], v138
	s_waitcnt lgkmcnt(2)
	v_pk_add_f32 v[0:1], v[20:21], v[0:1]
	v_pk_add_f32 v[0:1], v[0:1], v[2:3]
	s_waitcnt lgkmcnt(1)
	v_pk_add_f32 v[0:1], v[0:1], v[4:5]
	v_pk_add_f32 v[0:1], v[0:1], v[6:7]
	s_waitcnt lgkmcnt(0)
	v_pk_add_f32 v[0:1], v[0:1], v[22:23]
	global_store_dwordx2 v[24:25], v[0:1], off
	s_branch .LBB34_128
.LBB34_184:
	s_movk_i32 s2, 0x218
	v_cmp_gt_i32_e32 vcc, s16, v30
	v_mad_u32_u24 v0, v71, s2, v73
	s_or_b64 s[2:3], s[18:19], vcc
	s_and_b64 s[0:1], s[0:1], s[2:3]
	ds_write_b64 v0, v[32:33]
	s_waitcnt lgkmcnt(0)
	s_barrier
	s_and_saveexec_b64 s[2:3], s[0:1]
	s_cbranch_execz .LBB34_186
; %bb.185:
	ds_read2_b64 v[0:3], v73 offset1:67
	ds_read2_b64 v[4:7], v73 offset0:134 offset1:201
	v_ashrrev_i32_e32 v29, 31, v28
	v_lshlrev_b64 v[8:9], 3, v[28:29]
	v_mov_b32_e32 v10, s26
	s_waitcnt lgkmcnt(1)
	v_pk_add_f32 v[0:1], v[2:3], v[0:1]
	v_add_co_u32_e32 v8, vcc, s17, v8
	s_waitcnt lgkmcnt(0)
	v_pk_add_f32 v[0:1], v[0:1], v[4:5]
	v_addc_co_u32_e32 v9, vcc, v10, v9, vcc
	v_pk_add_f32 v[0:1], v[0:1], v[6:7]
	global_store_dwordx2 v[8:9], v[0:1], off
.LBB34_186:
	s_endpgm
	.section	.rodata,"a",@progbits
	.p2align	6, 0x0
	.amdhsa_kernel _ZL26rocblas_hemvn_kernel_upperILb1ELi64ELi4ELi33ELi32ELi16EiPK19rocblas_complex_numIfEPKS3_PS1_EviT6_lT7_lT5_lS8_lS9_lS7_lT8_i
		.amdhsa_group_segment_fixed_size 9600
		.amdhsa_private_segment_fixed_size 0
		.amdhsa_kernarg_size 376
		.amdhsa_user_sgpr_count 6
		.amdhsa_user_sgpr_private_segment_buffer 1
		.amdhsa_user_sgpr_dispatch_ptr 0
		.amdhsa_user_sgpr_queue_ptr 0
		.amdhsa_user_sgpr_kernarg_segment_ptr 1
		.amdhsa_user_sgpr_dispatch_id 0
		.amdhsa_user_sgpr_flat_scratch_init 0
		.amdhsa_user_sgpr_kernarg_preload_length 0
		.amdhsa_user_sgpr_kernarg_preload_offset 0
		.amdhsa_user_sgpr_private_segment_size 0
		.amdhsa_uses_dynamic_stack 0
		.amdhsa_system_sgpr_private_segment_wavefront_offset 0
		.amdhsa_system_sgpr_workgroup_id_x 1
		.amdhsa_system_sgpr_workgroup_id_y 0
		.amdhsa_system_sgpr_workgroup_id_z 1
		.amdhsa_system_sgpr_workgroup_info 0
		.amdhsa_system_vgpr_workitem_id 1
		.amdhsa_next_free_vgpr 162
		.amdhsa_next_free_sgpr 44
		.amdhsa_accum_offset 164
		.amdhsa_reserve_vcc 1
		.amdhsa_reserve_flat_scratch 0
		.amdhsa_float_round_mode_32 0
		.amdhsa_float_round_mode_16_64 0
		.amdhsa_float_denorm_mode_32 3
		.amdhsa_float_denorm_mode_16_64 3
		.amdhsa_dx10_clamp 1
		.amdhsa_ieee_mode 1
		.amdhsa_fp16_overflow 0
		.amdhsa_tg_split 0
		.amdhsa_exception_fp_ieee_invalid_op 0
		.amdhsa_exception_fp_denorm_src 0
		.amdhsa_exception_fp_ieee_div_zero 0
		.amdhsa_exception_fp_ieee_overflow 0
		.amdhsa_exception_fp_ieee_underflow 0
		.amdhsa_exception_fp_ieee_inexact 0
		.amdhsa_exception_int_div_zero 0
	.end_amdhsa_kernel
	.section	.text._ZL26rocblas_hemvn_kernel_upperILb1ELi64ELi4ELi33ELi32ELi16EiPK19rocblas_complex_numIfEPKS3_PS1_EviT6_lT7_lT5_lS8_lS9_lS7_lT8_i,"axG",@progbits,_ZL26rocblas_hemvn_kernel_upperILb1ELi64ELi4ELi33ELi32ELi16EiPK19rocblas_complex_numIfEPKS3_PS1_EviT6_lT7_lT5_lS8_lS9_lS7_lT8_i,comdat
.Lfunc_end34:
	.size	_ZL26rocblas_hemvn_kernel_upperILb1ELi64ELi4ELi33ELi32ELi16EiPK19rocblas_complex_numIfEPKS3_PS1_EviT6_lT7_lT5_lS8_lS9_lS7_lT8_i, .Lfunc_end34-_ZL26rocblas_hemvn_kernel_upperILb1ELi64ELi4ELi33ELi32ELi16EiPK19rocblas_complex_numIfEPKS3_PS1_EviT6_lT7_lT5_lS8_lS9_lS7_lT8_i
                                        ; -- End function
	.section	.AMDGPU.csdata,"",@progbits
; Kernel info:
; codeLenInByte = 9248
; NumSgprs: 48
; NumVgprs: 162
; NumAgprs: 0
; TotalNumVgprs: 162
; ScratchSize: 0
; MemoryBound: 1
; FloatMode: 240
; IeeeMode: 1
; LDSByteSize: 9600 bytes/workgroup (compile time only)
; SGPRBlocks: 5
; VGPRBlocks: 20
; NumSGPRsForWavesPerEU: 48
; NumVGPRsForWavesPerEU: 162
; AccumOffset: 164
; Occupancy: 3
; WaveLimiterHint : 1
; COMPUTE_PGM_RSRC2:SCRATCH_EN: 0
; COMPUTE_PGM_RSRC2:USER_SGPR: 6
; COMPUTE_PGM_RSRC2:TRAP_HANDLER: 0
; COMPUTE_PGM_RSRC2:TGID_X_EN: 1
; COMPUTE_PGM_RSRC2:TGID_Y_EN: 0
; COMPUTE_PGM_RSRC2:TGID_Z_EN: 1
; COMPUTE_PGM_RSRC2:TIDIG_COMP_CNT: 1
; COMPUTE_PGM_RSRC3_GFX90A:ACCUM_OFFSET: 40
; COMPUTE_PGM_RSRC3_GFX90A:TG_SPLIT: 0
	.section	.text._ZL36rocblas_hemvn_kernel_upper_block_sumILi64EiPK19rocblas_complex_numIfEPKPS1_S1_EviT1_lS7_lT2_lT0_lPT3_i,"axG",@progbits,_ZL36rocblas_hemvn_kernel_upper_block_sumILi64EiPK19rocblas_complex_numIfEPKPS1_S1_EviT1_lS7_lT2_lT0_lPT3_i,comdat
	.globl	_ZL36rocblas_hemvn_kernel_upper_block_sumILi64EiPK19rocblas_complex_numIfEPKPS1_S1_EviT1_lS7_lT2_lT0_lPT3_i ; -- Begin function _ZL36rocblas_hemvn_kernel_upper_block_sumILi64EiPK19rocblas_complex_numIfEPKPS1_S1_EviT1_lS7_lT2_lT0_lPT3_i
	.p2align	8
	.type	_ZL36rocblas_hemvn_kernel_upper_block_sumILi64EiPK19rocblas_complex_numIfEPKPS1_S1_EviT1_lS7_lT2_lT0_lPT3_i,@function
_ZL36rocblas_hemvn_kernel_upper_block_sumILi64EiPK19rocblas_complex_numIfEPKPS1_S1_EviT1_lS7_lT2_lT0_lPT3_i: ; @_ZL36rocblas_hemvn_kernel_upper_block_sumILi64EiPK19rocblas_complex_numIfEPKPS1_S1_EviT1_lS7_lT2_lT0_lPT3_i
; %bb.0:
	s_load_dwordx8 s[12:19], s[4:5], 0x8
	s_mov_b32 s11, 0
	s_waitcnt lgkmcnt(0)
	s_mul_i32 s0, s7, s15
	s_mul_hi_u32 s1, s7, s14
	s_add_i32 s1, s1, s0
	s_mul_i32 s0, s7, s14
	s_lshl_b64 s[0:1], s[0:1], 3
	s_add_u32 s0, s12, s0
	s_mul_i32 s2, s7, s19
	s_mul_hi_u32 s3, s7, s18
	s_addc_u32 s1, s13, s1
	s_add_i32 s9, s3, s2
	s_mul_i32 s8, s7, s18
	s_load_dwordx2 s[2:3], s[0:1], 0x0
	s_lshl_b64 s[0:1], s[8:9], 3
	s_add_u32 s0, s16, s0
	s_addc_u32 s1, s17, s1
	s_load_dwordx2 s[8:9], s[0:1], 0x0
	s_waitcnt lgkmcnt(0)
	s_or_b32 s0, s2, s3
	s_bitset0_b32 s0, 31
	s_cmp_eq_u32 s0, 0
	s_cselect_b64 s[0:1], -1, 0
	v_cmp_eq_f32_e64 s[12:13], s8, 1.0
	v_cmp_eq_f32_e64 s[14:15], s9, 0
	s_and_b64 s[12:13], s[12:13], s[14:15]
	s_and_b64 s[12:13], s[0:1], s[12:13]
	s_and_b64 vcc, exec, s[12:13]
	s_cbranch_vccnz .LBB35_17
; %bb.1:
	s_load_dwordx4 s[20:23], s[4:5], 0x28
	s_load_dword s16, s[4:5], 0x38
	s_load_dword s12, s[4:5], 0x0
	s_mov_b32 s10, s7
	s_lshl_b64 s[14:15], s[10:11], 3
	s_waitcnt lgkmcnt(0)
	s_add_u32 s14, s20, s14
	s_addc_u32 s15, s21, s15
	s_load_dwordx2 s[18:19], s[14:15], 0x0
	s_lshl_b64 s[20:21], s[22:23], 3
	v_lshl_or_b32 v0, s6, 6, v0
	s_mov_b64 s[14:15], -1
	s_waitcnt lgkmcnt(0)
	s_add_u32 s7, s18, s20
	s_addc_u32 s11, s19, s21
	s_andn2_b64 vcc, exec, s[0:1]
	v_cmp_gt_i32_e64 s[0:1], s12, v0
	s_cbranch_vccnz .LBB35_7
; %bb.2:
	s_and_saveexec_b64 s[14:15], s[0:1]
	s_cbranch_execz .LBB35_6
; %bb.3:
	v_cmp_neq_f32_e64 s[0:1], s8, 0
	v_cmp_neq_f32_e64 s[18:19], s9, 0
	v_mul_lo_u32 v2, v0, s16
	v_ashrrev_i32_e32 v3, 31, v2
	s_or_b64 s[0:1], s[0:1], s[18:19]
	s_andn2_b64 vcc, exec, s[0:1]
	v_mov_b32_e32 v4, 0
	v_lshlrev_b64 v[2:3], 3, v[2:3]
	v_mov_b32_e32 v5, 0
	s_cbranch_vccnz .LBB35_5
; %bb.4:
	v_mov_b32_e32 v1, s11
	v_add_co_u32_e32 v4, vcc, s7, v2
	v_addc_co_u32_e32 v5, vcc, v1, v3, vcc
	global_load_dwordx2 v[6:7], v[4:5], off
	s_waitcnt vmcnt(0)
	v_pk_mul_f32 v[8:9], v[6:7], s[8:9] op_sel:[1,0]
	v_pk_fma_f32 v[4:5], v[6:7], s[8:9], v[8:9] op_sel:[0,0,1] op_sel_hi:[1,1,0] neg_lo:[0,0,1] neg_hi:[0,0,1]
	v_pk_fma_f32 v[6:7], v[6:7], s[8:9], v[8:9] op_sel:[0,0,1] op_sel_hi:[0,1,0]
	v_mov_b32_e32 v5, v7
.LBB35_5:
	v_mov_b32_e32 v1, s11
	v_add_co_u32_e32 v2, vcc, s7, v2
	v_addc_co_u32_e32 v3, vcc, v1, v3, vcc
	global_store_dwordx2 v[2:3], v[4:5], off
.LBB35_6:
	s_or_b64 exec, exec, s[14:15]
	s_mov_b64 s[14:15], 0
.LBB35_7:
	s_andn2_b64 vcc, exec, s[14:15]
	s_cbranch_vccnz .LBB35_17
; %bb.8:
	v_cmp_gt_i32_e32 vcc, s12, v0
	s_and_saveexec_b64 s[0:1], vcc
	s_cbranch_execz .LBB35_17
; %bb.9:
	v_mov_b32_e32 v3, 0
	s_cmp_lt_i32 s6, 0
	v_mov_b32_e32 v2, v3
	s_cbranch_scc1 .LBB35_12
; %bb.10:
	s_load_dwordx2 s[0:1], s[4:5], 0x48
	s_load_dword s14, s[4:5], 0x58
	s_ashr_i32 s13, s12, 31
	s_mul_hi_u32 s4, s12, s10
	s_mul_i32 s5, s13, s10
	s_add_i32 s4, s4, s5
	s_mul_i32 s10, s12, s10
	s_waitcnt lgkmcnt(0)
	s_mul_i32 s4, s4, s14
	s_mul_hi_u32 s5, s10, s14
	s_add_i32 s5, s5, s4
	s_mul_i32 s4, s10, s14
	s_lshl_b64 s[4:5], s[4:5], 3
	s_add_u32 s0, s0, s4
	v_mov_b32_e32 v1, 0
	s_addc_u32 s1, s1, s5
	v_lshlrev_b64 v[2:3], 3, v[0:1]
	v_mov_b32_e32 v5, s1
	v_add_co_u32_e32 v4, vcc, s0, v2
	s_lshl_b64 s[0:1], s[12:13], 3
	v_addc_co_u32_e32 v5, vcc, v5, v3, vcc
	s_add_i32 s4, s6, 1
	v_mov_b32_e32 v6, s1
	v_mov_b32_e32 v2, v1
	;; [unrolled: 1-line block ×3, first 2 shown]
.LBB35_11:                              ; =>This Inner Loop Header: Depth=1
	global_load_dwordx2 v[8:9], v[4:5], off
	s_add_i32 s4, s4, -1
	v_add_co_u32_e32 v4, vcc, s0, v4
	v_addc_co_u32_e32 v5, vcc, v5, v6, vcc
	s_cmp_eq_u32 s4, 0
	s_waitcnt vmcnt(0)
	v_pk_add_f32 v[2:3], v[2:3], v[8:9]
	s_cbranch_scc0 .LBB35_11
.LBB35_12:
	v_cmp_neq_f32_e64 s[0:1], s8, 0
	v_cmp_neq_f32_e64 s[4:5], s9, 0
	s_or_b64 s[0:1], s[0:1], s[4:5]
	v_pk_mul_f32 v[6:7], v[2:3], s[2:3] op_sel:[1,0]
	v_mul_lo_u32 v4, v0, s16
	s_andn2_b64 vcc, exec, s[0:1]
	v_pk_fma_f32 v[0:1], v[2:3], s[2:3], v[6:7] op_sel:[0,0,1] op_sel_hi:[0,1,0]
	v_ashrrev_i32_e32 v5, 31, v4
	s_cbranch_vccz .LBB35_14
; %bb.13:
	v_pk_mul_f32 v[8:9], v[2:3], s[2:3] op_sel_hi:[0,1]
	v_sub_f32_e32 v0, v8, v7
	s_cbranch_execz .LBB35_15
	s_branch .LBB35_16
.LBB35_14:
.LBB35_15:
	v_lshlrev_b64 v[8:9], 3, v[4:5]
	v_mov_b32_e32 v0, s11
	v_add_co_u32_e32 v8, vcc, s7, v8
	v_addc_co_u32_e32 v9, vcc, v0, v9, vcc
	global_load_dwordx2 v[8:9], v[8:9], off
	v_pk_fma_f32 v[2:3], v[2:3], s[2:3], v[6:7] op_sel:[0,0,1] op_sel_hi:[1,1,0] neg_lo:[0,0,1] neg_hi:[0,0,1]
	v_mov_b32_e32 v3, v1
	s_waitcnt vmcnt(0)
	v_pk_mul_f32 v[6:7], v[8:9], s[8:9] op_sel:[1,0]
	v_pk_fma_f32 v[10:11], v[8:9], s[8:9], v[6:7] op_sel:[0,0,1] op_sel_hi:[1,1,0] neg_lo:[0,0,1] neg_hi:[0,0,1]
	v_pk_fma_f32 v[6:7], v[8:9], s[8:9], v[6:7] op_sel:[0,0,1] op_sel_hi:[0,1,0]
	v_mov_b32_e32 v11, v7
	v_pk_add_f32 v[0:1], v[2:3], v[10:11]
.LBB35_16:
	v_lshlrev_b64 v[2:3], 3, v[4:5]
	v_mov_b32_e32 v4, s11
	v_add_co_u32_e32 v2, vcc, s7, v2
	v_addc_co_u32_e32 v3, vcc, v4, v3, vcc
	global_store_dwordx2 v[2:3], v[0:1], off
.LBB35_17:
	s_endpgm
	.section	.rodata,"a",@progbits
	.p2align	6, 0x0
	.amdhsa_kernel _ZL36rocblas_hemvn_kernel_upper_block_sumILi64EiPK19rocblas_complex_numIfEPKPS1_S1_EviT1_lS7_lT2_lT0_lPT3_i
		.amdhsa_group_segment_fixed_size 0
		.amdhsa_private_segment_fixed_size 0
		.amdhsa_kernarg_size 344
		.amdhsa_user_sgpr_count 6
		.amdhsa_user_sgpr_private_segment_buffer 1
		.amdhsa_user_sgpr_dispatch_ptr 0
		.amdhsa_user_sgpr_queue_ptr 0
		.amdhsa_user_sgpr_kernarg_segment_ptr 1
		.amdhsa_user_sgpr_dispatch_id 0
		.amdhsa_user_sgpr_flat_scratch_init 0
		.amdhsa_user_sgpr_kernarg_preload_length 0
		.amdhsa_user_sgpr_kernarg_preload_offset 0
		.amdhsa_user_sgpr_private_segment_size 0
		.amdhsa_uses_dynamic_stack 0
		.amdhsa_system_sgpr_private_segment_wavefront_offset 0
		.amdhsa_system_sgpr_workgroup_id_x 1
		.amdhsa_system_sgpr_workgroup_id_y 0
		.amdhsa_system_sgpr_workgroup_id_z 1
		.amdhsa_system_sgpr_workgroup_info 0
		.amdhsa_system_vgpr_workitem_id 0
		.amdhsa_next_free_vgpr 12
		.amdhsa_next_free_sgpr 24
		.amdhsa_accum_offset 12
		.amdhsa_reserve_vcc 1
		.amdhsa_reserve_flat_scratch 0
		.amdhsa_float_round_mode_32 0
		.amdhsa_float_round_mode_16_64 0
		.amdhsa_float_denorm_mode_32 3
		.amdhsa_float_denorm_mode_16_64 3
		.amdhsa_dx10_clamp 1
		.amdhsa_ieee_mode 1
		.amdhsa_fp16_overflow 0
		.amdhsa_tg_split 0
		.amdhsa_exception_fp_ieee_invalid_op 0
		.amdhsa_exception_fp_denorm_src 0
		.amdhsa_exception_fp_ieee_div_zero 0
		.amdhsa_exception_fp_ieee_overflow 0
		.amdhsa_exception_fp_ieee_underflow 0
		.amdhsa_exception_fp_ieee_inexact 0
		.amdhsa_exception_int_div_zero 0
	.end_amdhsa_kernel
	.section	.text._ZL36rocblas_hemvn_kernel_upper_block_sumILi64EiPK19rocblas_complex_numIfEPKPS1_S1_EviT1_lS7_lT2_lT0_lPT3_i,"axG",@progbits,_ZL36rocblas_hemvn_kernel_upper_block_sumILi64EiPK19rocblas_complex_numIfEPKPS1_S1_EviT1_lS7_lT2_lT0_lPT3_i,comdat
.Lfunc_end35:
	.size	_ZL36rocblas_hemvn_kernel_upper_block_sumILi64EiPK19rocblas_complex_numIfEPKPS1_S1_EviT1_lS7_lT2_lT0_lPT3_i, .Lfunc_end35-_ZL36rocblas_hemvn_kernel_upper_block_sumILi64EiPK19rocblas_complex_numIfEPKPS1_S1_EviT1_lS7_lT2_lT0_lPT3_i
                                        ; -- End function
	.section	.AMDGPU.csdata,"",@progbits
; Kernel info:
; codeLenInByte = 756
; NumSgprs: 28
; NumVgprs: 12
; NumAgprs: 0
; TotalNumVgprs: 12
; ScratchSize: 0
; MemoryBound: 0
; FloatMode: 240
; IeeeMode: 1
; LDSByteSize: 0 bytes/workgroup (compile time only)
; SGPRBlocks: 3
; VGPRBlocks: 1
; NumSGPRsForWavesPerEU: 28
; NumVGPRsForWavesPerEU: 12
; AccumOffset: 12
; Occupancy: 8
; WaveLimiterHint : 1
; COMPUTE_PGM_RSRC2:SCRATCH_EN: 0
; COMPUTE_PGM_RSRC2:USER_SGPR: 6
; COMPUTE_PGM_RSRC2:TRAP_HANDLER: 0
; COMPUTE_PGM_RSRC2:TGID_X_EN: 1
; COMPUTE_PGM_RSRC2:TGID_Y_EN: 0
; COMPUTE_PGM_RSRC2:TGID_Z_EN: 1
; COMPUTE_PGM_RSRC2:TIDIG_COMP_CNT: 0
; COMPUTE_PGM_RSRC3_GFX90A:ACCUM_OFFSET: 2
; COMPUTE_PGM_RSRC3_GFX90A:TG_SPLIT: 0
	.section	.text._ZL26rocblas_hemvn_kernel_upperILb1ELi64ELi4ELi33ELi32ELi16El19rocblas_complex_numIfEPKPKS1_PS1_EviT6_lT7_lT5_lS8_lS9_lS7_lT8_i,"axG",@progbits,_ZL26rocblas_hemvn_kernel_upperILb1ELi64ELi4ELi33ELi32ELi16El19rocblas_complex_numIfEPKPKS1_PS1_EviT6_lT7_lT5_lS8_lS9_lS7_lT8_i,comdat
	.globl	_ZL26rocblas_hemvn_kernel_upperILb1ELi64ELi4ELi33ELi32ELi16El19rocblas_complex_numIfEPKPKS1_PS1_EviT6_lT7_lT5_lS8_lS9_lS7_lT8_i ; -- Begin function _ZL26rocblas_hemvn_kernel_upperILb1ELi64ELi4ELi33ELi32ELi16El19rocblas_complex_numIfEPKPKS1_PS1_EviT6_lT7_lT5_lS8_lS9_lS7_lT8_i
	.p2align	8
	.type	_ZL26rocblas_hemvn_kernel_upperILb1ELi64ELi4ELi33ELi32ELi16El19rocblas_complex_numIfEPKPKS1_PS1_EviT6_lT7_lT5_lS8_lS9_lS7_lT8_i,@function
_ZL26rocblas_hemvn_kernel_upperILb1ELi64ELi4ELi33ELi32ELi16El19rocblas_complex_numIfEPKPKS1_PS1_EviT6_lT7_lT5_lS8_lS9_lS7_lT8_i: ; @_ZL26rocblas_hemvn_kernel_upperILb1ELi64ELi4ELi33ELi32ELi16El19rocblas_complex_numIfEPKPKS1_PS1_EviT6_lT7_lT5_lS8_lS9_lS7_lT8_i
; %bb.0:
	s_load_dwordx2 s[0:1], s[4:5], 0x84
	s_add_u32 s14, s4, 0x78
	s_addc_u32 s15, s5, 0
	s_waitcnt lgkmcnt(0)
	s_lshr_b32 s2, s0, 16
	s_and_b32 s0, s0, 0xffff
	s_and_b32 s1, s1, 0xffff
	s_mul_i32 s0, s2, s0
	s_mul_i32 s0, s0, s1
	s_cmpk_lg_i32 s0, 0x100
	s_cbranch_scc1 .LBB36_186
; %bb.1:
	s_load_dwordx2 s[8:9], s[4:5], 0x4
	s_load_dwordx4 s[0:3], s[4:5], 0x18
	s_load_dwordx2 s[24:25], s[4:5], 0x28
	s_mov_b32 s28, s7
	s_waitcnt lgkmcnt(0)
	s_or_b32 s7, s8, s9
	s_bitset0_b32 s7, 31
	s_cmp_lg_u32 s7, 0
	s_cselect_b64 s[16:17], -1, 0
	s_and_b64 vcc, exec, s[16:17]
	s_cbranch_vccnz .LBB36_4
; %bb.2:
	s_load_dwordx2 s[8:9], s[4:5], 0x58
                                        ; implicit-def: $sgpr12_sgpr13
	s_waitcnt lgkmcnt(0)
	v_cmp_eq_f32_e64 s[10:11], s8, 1.0
	v_cmp_eq_f32_e64 s[8:9], s9, 0
	s_and_b64 s[8:9], s[10:11], s[8:9]
	s_mov_b64 s[10:11], 0
	s_andn2_b64 vcc, exec, s[8:9]
	s_mov_b64 s[8:9], 0
	s_cbranch_vccz .LBB36_5
; %bb.3:
	s_mov_b64 s[8:9], -1
	s_mov_b64 s[12:13], 0
	s_branch .LBB36_5
.LBB36_4:
	s_mov_b64 s[10:11], -1
	s_mov_b64 s[8:9], 0
                                        ; implicit-def: $sgpr12_sgpr13
.LBB36_5:
	s_and_b64 vcc, exec, s[10:11]
	s_cbranch_vccz .LBB36_7
; %bb.6:
	s_mov_b32 s29, 0
	s_lshl_b64 s[8:9], s[28:29], 3
	s_add_u32 s0, s0, s8
	s_addc_u32 s1, s1, s9
	s_load_dwordx2 s[0:1], s[0:1], 0x0
	s_lshl_b64 s[2:3], s[2:3], 3
	s_mov_b64 s[8:9], -1
	s_waitcnt lgkmcnt(0)
	s_add_u32 s12, s0, s2
	s_addc_u32 s13, s1, s3
.LBB36_7:
	s_andn2_b64 vcc, exec, s[8:9]
	s_cbranch_vccnz .LBB36_186
; %bb.8:
	s_load_dwordx4 s[8:11], s[4:5], 0x38
	s_load_dwordx2 s[18:19], s[4:5], 0x48
	v_cndmask_b32_e64 v1, 0, 1, s[16:17]
	v_cmp_ne_u32_e64 s[0:1], 1, v1
	s_andn2_b64 vcc, exec, s[16:17]
	s_mov_b64 s[2:3], 0
	s_cbranch_vccnz .LBB36_10
; %bb.9:
	s_mov_b32 s29, 0
	s_lshl_b64 s[2:3], s[28:29], 3
	s_waitcnt lgkmcnt(0)
	s_add_u32 s2, s8, s2
	s_addc_u32 s3, s9, s3
	s_load_dwordx2 s[2:3], s[2:3], 0x0
	s_lshl_b64 s[8:9], s[10:11], 3
	s_waitcnt lgkmcnt(0)
	s_add_u32 s2, s2, s8
	s_addc_u32 s3, s3, s9
.LBB36_10:
	s_and_b64 vcc, exec, s[0:1]
	s_cbranch_vccnz .LBB36_186
; %bb.11:
	s_load_dword s7, s[14:15], 0x0
	s_load_dword s33, s[4:5], 0x0
	v_and_b32_e32 v65, 0x3ff, v0
	s_lshl_b32 s26, s6, 6
	v_add_u32_e32 v28, s26, v65
	s_waitcnt lgkmcnt(0)
	s_add_i32 s0, s7, -1
	s_ashr_i32 s38, s33, 31
	s_lshr_b32 s1, s38, 26
	s_add_i32 s1, s33, s1
	s_andn2_b32 s1, s1, 63
	s_sub_i32 s29, s33, s1
	v_ashrrev_i32_e32 v29, 31, v28
	v_bfe_u32 v109, v0, 10, 10
	s_cmp_eq_u32 s6, s0
	v_mul_lo_u32 v2, v29, s18
	v_mul_lo_u32 v3, v28, s19
	v_mad_u64_u32 v[0:1], s[0:1], v28, s18, 0
	v_add3_u32 v1, v1, v3, v2
	v_lshlrev_b64 v[0:1], 3, v[0:1]
	v_mov_b32_e32 v2, s3
	v_add_co_u32_e32 v14, vcc, s2, v0
	s_cselect_b32 s20, s29, 0
	v_addc_co_u32_e32 v15, vcc, v2, v1, vcc
	v_cmp_eq_u32_e64 s[0:1], 0, v109
	s_and_saveexec_b64 s[2:3], s[0:1]
	s_cbranch_execz .LBB36_16
; %bb.12:
	s_cmp_lg_u32 s20, 0
	s_cselect_b64 s[8:9], -1, 0
	v_cmp_le_i32_e32 vcc, s20, v65
	v_mov_b32_e32 v0, 0x2380
	s_and_b64 s[8:9], s[8:9], vcc
	v_lshl_add_u32 v0, v65, 3, v0
	s_and_saveexec_b64 s[10:11], s[8:9]
	s_xor_b64 s[8:9], exec, s[10:11]
	s_cbranch_execz .LBB36_14
; %bb.13:
	v_mov_b32_e32 v2, 0
	v_mov_b32_e32 v3, v2
	ds_write_b64 v0, v[2:3]
                                        ; implicit-def: $vgpr0
.LBB36_14:
	s_andn2_saveexec_b64 s[8:9], s[8:9]
	s_cbranch_execz .LBB36_16
; %bb.15:
	flat_load_dwordx2 v[2:3], v[14:15]
	s_waitcnt vmcnt(0) lgkmcnt(0)
	ds_write_b64 v0, v[2:3]
.LBB36_16:
	s_or_b64 exec, exec, s[2:3]
	s_ashr_i32 s27, s26, 31
	v_lshl_add_u32 v22, v109, 6, v65
	s_lshl_b64 s[2:3], s[26:27], 3
	v_and_b32_e32 v0, 31, v65
	v_lshrrev_b32_e32 v10, 5, v22
	s_add_u32 s8, s12, s2
	v_mov_b32_e32 v1, 0
	s_addc_u32 s9, s13, s3
	v_mad_u64_u32 v[2:3], s[2:3], v10, s24, v[0:1]
	v_mov_b32_e32 v4, v3
	v_mad_u64_u32 v[4:5], s[2:3], v10, s25, v[4:5]
	s_mul_i32 s2, s26, s25
	s_mul_hi_u32 s3, s26, s24
	s_add_i32 s2, s3, s2
	s_mul_i32 s3, s27, s24
	s_add_i32 s3, s2, s3
	s_mul_i32 s2, s26, s24
	s_lshl_b64 s[2:3], s[2:3], 3
	s_add_u32 s2, s2, s8
	v_mov_b32_e32 v3, v4
	s_addc_u32 s3, s3, s9
	v_lshlrev_b64 v[12:13], 3, v[2:3]
	s_cmp_eq_u32 s20, 0
	v_mov_b32_e32 v2, s3
	v_add_co_u32_e32 v4, vcc, s2, v12
	s_cselect_b64 s[22:23], -1, 0
	s_cmp_lg_u32 s20, 0
	v_addc_co_u32_e32 v5, vcc, v2, v13, vcc
	s_cselect_b64 s[30:31], -1, 0
	s_and_b64 vcc, exec, s[30:31]
	v_cmp_gt_i32_e64 s[2:3], s20, v0
	v_lshlrev_b32_e32 v11, 3, v0
	s_mul_i32 s39, s25, 0xc0
	s_cbranch_vccz .LBB36_32
; %bb.17:
	v_sub_co_u32_e32 v2, vcc, v4, v11
	s_ashr_i32 s21, s20, 31
	v_subbrev_co_u32_e32 v3, vcc, 0, v5, vcc
	s_lshl_b64 s[8:9], s[20:21], 3
	v_mov_b32_e32 v6, s9
	v_add_co_u32_e32 v2, vcc, s8, v2
	v_addc_co_u32_e32 v3, vcc, v3, v6, vcc
	v_add_co_u32_e32 v2, vcc, -8, v2
	v_addc_co_u32_e32 v3, vcc, -1, v3, vcc
	v_cndmask_b32_e64 v3, v3, v5, s[2:3]
	v_cndmask_b32_e64 v2, v2, v4, s[2:3]
	v_cmp_gt_i32_e32 vcc, s20, v10
	v_mov_b32_e32 v7, 0
	s_and_saveexec_b64 s[10:11], vcc
	s_cbranch_execz .LBB36_19
; %bb.18:
	flat_load_dwordx2 v[6:7], v[2:3]
	s_waitcnt vmcnt(0) lgkmcnt(0)
	v_mov_b32_e32 v1, v6
.LBB36_19:
	s_or_b64 exec, exec, s[10:11]
	v_mul_u32_u24_e32 v6, 33, v10
	v_add_lshl_u32 v8, v6, v0, 3
	v_mov_b32_e32 v6, v1
	v_add_u32_e32 v1, 8, v10
	v_cmp_le_i32_e32 vcc, s20, v1
	ds_write_b64 v8, v[6:7]
	s_and_saveexec_b64 s[10:11], vcc
	s_xor_b64 s[10:11], exec, s[10:11]
	s_cbranch_execz .LBB36_21
; %bb.20:
	v_mul_u32_u24_e32 v1, 33, v1
	v_mov_b32_e32 v6, 0
	v_add_lshl_u32 v1, v1, v0, 3
	v_mov_b32_e32 v7, v6
	ds_write_b64 v1, v[6:7]
.LBB36_21:
	s_andn2_saveexec_b64 s[10:11], s[10:11]
	s_cbranch_execz .LBB36_23
; %bb.22:
	s_lshl_b64 s[12:13], s[24:25], 6
	v_mov_b32_e32 v1, s13
	v_add_co_u32_e32 v6, vcc, s12, v2
	v_addc_co_u32_e32 v7, vcc, v3, v1, vcc
	flat_load_dwordx2 v[6:7], v[6:7]
	s_waitcnt vmcnt(0) lgkmcnt(0)
	ds_write_b64 v8, v[6:7] offset:2112
.LBB36_23:
	s_or_b64 exec, exec, s[10:11]
	v_add_u32_e32 v1, 16, v10
	v_cmp_le_i32_e32 vcc, s20, v1
	s_and_saveexec_b64 s[10:11], vcc
	s_xor_b64 s[10:11], exec, s[10:11]
	s_cbranch_execz .LBB36_25
; %bb.24:
	v_mov_b32_e32 v6, 0
	v_mov_b32_e32 v7, v6
	ds_write_b64 v8, v[6:7] offset:4224
.LBB36_25:
	s_andn2_saveexec_b64 s[10:11], s[10:11]
	s_cbranch_execz .LBB36_27
; %bb.26:
	s_lshl_b64 s[12:13], s[24:25], 7
	v_mov_b32_e32 v1, s13
	v_add_co_u32_e32 v6, vcc, s12, v2
	v_addc_co_u32_e32 v7, vcc, v3, v1, vcc
	flat_load_dwordx2 v[6:7], v[6:7]
	s_waitcnt vmcnt(0) lgkmcnt(0)
	ds_write_b64 v8, v[6:7] offset:4224
.LBB36_27:
	s_or_b64 exec, exec, s[10:11]
	v_add_u32_e32 v1, 24, v10
	v_cmp_le_i32_e32 vcc, s20, v1
	s_and_saveexec_b64 s[10:11], vcc
	s_xor_b64 s[10:11], exec, s[10:11]
	s_cbranch_execz .LBB36_29
; %bb.28:
	v_mov_b32_e32 v6, 0
	v_mov_b32_e32 v7, v6
	ds_write_b64 v8, v[6:7] offset:6336
                                        ; implicit-def: $vgpr8
.LBB36_29:
	s_andn2_saveexec_b64 s[10:11], s[10:11]
	s_cbranch_execz .LBB36_31
; %bb.30:
	v_mov_b32_e32 v1, 0xc0
	v_mad_u64_u32 v[6:7], s[12:13], s24, v1, v[2:3]
	v_add_u32_e32 v7, s39, v7
	flat_load_dwordx2 v[6:7], v[6:7]
	s_waitcnt vmcnt(0) lgkmcnt(0)
	ds_write_b64 v8, v[6:7] offset:6336
.LBB36_31:
	s_or_b64 exec, exec, s[10:11]
	v_add_co_u32_e32 v1, vcc, v2, v11
	v_addc_co_u32_e32 v2, vcc, 0, v3, vcc
	v_mov_b32_e32 v3, s9
	v_subrev_co_u32_e32 v1, vcc, s8, v1
	v_subb_co_u32_e32 v2, vcc, v2, v3, vcc
	v_add_co_u32_e32 v1, vcc, 8, v1
	v_addc_co_u32_e32 v2, vcc, 0, v2, vcc
	v_cndmask_b32_e64 v3, v2, v5, s[2:3]
	v_cndmask_b32_e64 v2, v1, v4, s[2:3]
	v_mul_u32_u24_e32 v1, 33, v10
	s_branch .LBB36_34
.LBB36_32:
                                        ; implicit-def: $vgpr2_vgpr3
	v_mul_u32_u24_e32 v1, 33, v10
	s_cbranch_execz .LBB36_34
; %bb.33:
	flat_load_dwordx2 v[2:3], v[4:5]
	s_lshl_b64 s[2:3], s[24:25], 6
	v_add_lshl_u32 v8, v1, v0, 3
	v_mov_b32_e32 v9, s3
	v_add_co_u32_e32 v6, vcc, s2, v4
	v_addc_co_u32_e32 v7, vcc, v5, v9, vcc
	s_waitcnt vmcnt(0) lgkmcnt(0)
	ds_write_b64 v8, v[2:3]
	flat_load_dwordx2 v[2:3], v[6:7]
	v_add_co_u32_e32 v6, vcc, s2, v6
	v_addc_co_u32_e32 v7, vcc, v7, v9, vcc
	s_waitcnt vmcnt(0) lgkmcnt(0)
	ds_write_b64 v8, v[2:3] offset:2112
	flat_load_dwordx2 v[2:3], v[6:7]
	v_mov_b32_e32 v6, 0xc0
	v_mad_u64_u32 v[6:7], s[2:3], s24, v6, v[4:5]
	v_add_u32_e32 v7, s39, v7
	s_waitcnt vmcnt(0) lgkmcnt(0)
	ds_write_b64 v8, v[2:3] offset:4224
	flat_load_dwordx2 v[2:3], v[6:7]
	s_waitcnt vmcnt(0) lgkmcnt(0)
	ds_write_b64 v8, v[2:3] offset:6336
	v_pk_mov_b32 v[2:3], v[4:5], v[4:5] op_sel:[0,1]
.LBB36_34:
	v_lshlrev_b32_e32 v21, 2, v10
	v_cmp_le_u32_e64 s[16:17], v21, v0
	s_waitcnt lgkmcnt(0)
	s_barrier
	s_and_saveexec_b64 s[2:3], s[16:17]
	s_xor_b64 s[2:3], exec, s[2:3]
	s_cbranch_execz .LBB36_38
; %bb.35:
	v_cmp_eq_u32_e32 vcc, v21, v0
	s_and_saveexec_b64 s[8:9], vcc
	s_cbranch_execz .LBB36_37
; %bb.36:
	v_mul_u32_u24_e32 v4, 34, v0
	v_lshlrev_b32_e32 v4, 3, v4
	v_mov_b32_e32 v5, 0
	ds_write_b32 v4, v5 offset:4
.LBB36_37:
	s_or_b64 exec, exec, s[8:9]
.LBB36_38:
	s_or_saveexec_b64 s[2:3], s[2:3]
	v_mul_u32_u24_e32 v18, 33, v0
	v_add_lshl_u32 v16, v21, v18, 3
	s_xor_b64 exec, exec, s[2:3]
	s_cbranch_execz .LBB36_40
; %bb.39:
	v_mul_u32_u24_e32 v4, 0x84, v10
	v_add_lshl_u32 v4, v4, v0, 3
	ds_read_b64 v[4:5], v4
	s_waitcnt lgkmcnt(0)
	v_xor_b32_e32 v5, 0x80000000, v5
	ds_write_b64 v16, v[4:5]
.LBB36_40:
	s_or_b64 exec, exec, s[2:3]
	v_or_b32_e32 v17, 1, v21
	v_cmp_ge_u32_e64 s[8:9], v21, v0
	v_mul_u32_u24_e32 v4, 33, v17
	s_and_saveexec_b64 s[2:3], s[8:9]
	s_xor_b64 s[2:3], exec, s[2:3]
	s_cbranch_execz .LBB36_42
; %bb.41:
	v_add_lshl_u32 v5, v4, v0, 3
	ds_read_b64 v[6:7], v5
	s_waitcnt lgkmcnt(0)
	v_xor_b32_e32 v7, 0x80000000, v7
	ds_write_b64 v16, v[6:7] offset:8
.LBB36_42:
	s_andn2_saveexec_b64 s[2:3], s[2:3]
	s_cbranch_execz .LBB36_46
; %bb.43:
	v_cmp_eq_u32_e32 vcc, v17, v0
	s_and_saveexec_b64 s[10:11], vcc
	s_cbranch_execz .LBB36_45
; %bb.44:
	v_mul_u32_u24_e32 v5, 34, v0
	v_lshlrev_b32_e32 v5, 3, v5
	v_mov_b32_e32 v6, 0
	ds_write_b32 v5, v6 offset:4
.LBB36_45:
	s_or_b64 exec, exec, s[10:11]
.LBB36_46:
	s_or_b64 exec, exec, s[2:3]
	v_or_b32_e32 v25, 2, v21
	v_cmp_le_u32_e64 s[10:11], v25, v0
	s_and_saveexec_b64 s[2:3], s[10:11]
	s_xor_b64 s[2:3], exec, s[2:3]
	s_cbranch_execz .LBB36_50
; %bb.47:
	v_cmp_eq_u32_e32 vcc, v25, v0
	s_and_saveexec_b64 s[12:13], vcc
	s_cbranch_execz .LBB36_49
; %bb.48:
	v_mul_u32_u24_e32 v5, 34, v0
	v_lshlrev_b32_e32 v5, 3, v5
	v_mov_b32_e32 v6, 0
	ds_write_b32 v5, v6 offset:4
.LBB36_49:
	s_or_b64 exec, exec, s[12:13]
.LBB36_50:
	s_andn2_saveexec_b64 s[2:3], s[2:3]
	s_cbranch_execz .LBB36_52
; %bb.51:
	v_mul_u32_u24_e32 v5, 33, v25
	v_add_lshl_u32 v5, v5, v0, 3
	ds_read_b64 v[6:7], v5
	s_waitcnt lgkmcnt(0)
	v_xor_b32_e32 v7, 0x80000000, v7
	ds_write_b64 v16, v[6:7] offset:16
.LBB36_52:
	s_or_b64 exec, exec, s[2:3]
	v_or_b32_e32 v26, 3, v21
	v_cmp_le_u32_e64 s[12:13], v26, v0
	s_and_saveexec_b64 s[2:3], s[12:13]
	s_xor_b64 s[2:3], exec, s[2:3]
	s_cbranch_execz .LBB36_56
; %bb.53:
	v_cmp_eq_u32_e32 vcc, v26, v0
	s_and_saveexec_b64 s[14:15], vcc
	s_cbranch_execz .LBB36_55
; %bb.54:
	v_mul_u32_u24_e32 v5, 34, v0
	v_lshlrev_b32_e32 v5, 3, v5
	v_mov_b32_e32 v6, 0
	ds_write_b32 v5, v6 offset:4
.LBB36_55:
	s_or_b64 exec, exec, s[14:15]
.LBB36_56:
	s_andn2_saveexec_b64 s[2:3], s[2:3]
	s_cbranch_execz .LBB36_58
; %bb.57:
	v_mul_u32_u24_e32 v5, 33, v26
	v_add_lshl_u32 v5, v5, v0, 3
	ds_read_b64 v[6:7], v5
	s_waitcnt lgkmcnt(0)
	v_xor_b32_e32 v7, 0x80000000, v7
	ds_write_b64 v16, v[6:7] offset:24
.LBB36_58:
	s_or_b64 exec, exec, s[2:3]
	v_mul_u32_u24_e32 v5, 0x84, v10
	v_lshlrev_b32_e32 v27, 3, v21
	s_waitcnt lgkmcnt(0)
	s_barrier
	v_add_lshl_u32 v20, v5, v0, 3
	v_add_lshl_u32 v19, v4, v0, 3
	ds_read_b128 v[4:7], v27 offset:9088
	ds_read_b64 v[8:9], v20
	ds_read2_b64 v[30:33], v19 offset1:33
	ds_read_b64 v[38:39], v19 offset:528
	ds_read_b128 v[34:37], v27 offset:9104
	s_mov_b32 s14, 0
	s_waitcnt lgkmcnt(3)
	v_pk_mul_f32 v[40:41], v[4:5], v[8:9] op_sel:[0,1]
	v_pk_fma_f32 v[42:43], v[4:5], v[8:9], v[40:41] op_sel:[0,0,1] op_sel_hi:[1,1,0] neg_lo:[0,0,1] neg_hi:[0,0,1]
	v_pk_fma_f32 v[4:5], v[4:5], v[8:9], v[40:41] op_sel:[0,0,1] op_sel_hi:[1,0,0]
	s_waitcnt lgkmcnt(2)
	v_pk_mul_f32 v[8:9], v[6:7], v[30:31] op_sel:[0,1]
	v_pk_fma_f32 v[40:41], v[6:7], v[30:31], v[8:9] op_sel:[0,0,1] op_sel_hi:[1,1,0] neg_lo:[0,0,1] neg_hi:[0,0,1]
	v_pk_fma_f32 v[6:7], v[6:7], v[30:31], v[8:9] op_sel:[0,0,1] op_sel_hi:[1,0,0]
	v_mov_b32_e32 v43, v5
	v_mov_b32_e32 v41, v7
	s_waitcnt lgkmcnt(0)
	v_pk_mul_f32 v[6:7], v[34:35], v[32:33] op_sel:[0,1]
	v_pk_add_f32 v[4:5], v[42:43], 0 op_sel_hi:[1,0]
	v_pk_fma_f32 v[8:9], v[34:35], v[32:33], v[6:7] op_sel:[0,0,1] op_sel_hi:[1,1,0] neg_lo:[0,0,1] neg_hi:[0,0,1]
	v_pk_fma_f32 v[6:7], v[34:35], v[32:33], v[6:7] op_sel:[0,0,1] op_sel_hi:[1,0,0]
	v_pk_add_f32 v[4:5], v[4:5], v[40:41]
	v_mov_b32_e32 v9, v7
	v_pk_mul_f32 v[6:7], v[36:37], v[38:39] op_sel:[0,1]
	v_pk_add_f32 v[4:5], v[4:5], v[8:9]
	v_pk_fma_f32 v[8:9], v[36:37], v[38:39], v[6:7] op_sel:[0,0,1] op_sel_hi:[1,1,0] neg_lo:[0,0,1] neg_hi:[0,0,1]
	v_pk_fma_f32 v[6:7], v[36:37], v[38:39], v[6:7] op_sel:[0,0,1] op_sel_hi:[1,0,0]
	s_mov_b32 s15, s14
	v_mov_b32_e32 v9, v7
	v_add_lshl_u32 v23, v10, v18, 3
	v_pk_add_f32 v[4:5], v[4:5], v[8:9]
	v_cmp_gt_u32_e64 s[2:3], 32, v22
	v_pk_mov_b32 v[30:31], s[14:15], s[14:15] op_sel:[0,1]
	v_lshlrev_b32_e32 v24, 3, v18
	s_barrier
	ds_write_b64 v23, v[4:5]
	s_waitcnt lgkmcnt(0)
	s_barrier
	s_and_saveexec_b64 s[14:15], s[2:3]
	s_cbranch_execz .LBB36_60
; %bb.59:
	ds_read2_b64 v[4:7], v24 offset1:7
	ds_read2_b64 v[30:33], v24 offset0:1 offset1:2
	ds_read2_b64 v[34:37], v24 offset0:3 offset1:4
	s_waitcnt lgkmcnt(1)
	v_add_f32_e32 v4, v30, v4
	v_add_f32_e32 v5, v31, v5
	;; [unrolled: 1-line block ×4, first 2 shown]
	ds_read2_b64 v[30:33], v24 offset0:5 offset1:6
	s_waitcnt lgkmcnt(1)
	v_add_f32_e32 v4, v4, v34
	v_add_f32_e32 v5, v5, v35
	v_add_f32_e32 v4, v4, v36
	v_add_f32_e32 v5, v5, v37
	s_waitcnt lgkmcnt(0)
	v_add_f32_e32 v4, v4, v30
	v_add_f32_e32 v5, v5, v31
	;; [unrolled: 1-line block ×4, first 2 shown]
	v_pk_add_f32 v[30:31], v[4:5], v[6:7]
.LBB36_60:
	s_or_b64 exec, exec, s[14:15]
	s_lshl_b64 s[14:15], s[24:25], 8
	v_mov_b32_e32 v4, s15
	v_add_co_u32_e32 v6, vcc, s14, v2
	v_addc_co_u32_e32 v7, vcc, v3, v4, vcc
	v_add_co_u32_e32 v4, vcc, 0x100, v6
	v_addc_co_u32_e32 v5, vcc, 0, v7, vcc
	s_and_b64 vcc, exec, s[30:31]
	s_barrier
	s_cbranch_vccz .LBB36_76
; %bb.61:
	v_or_b32_e32 v2, 32, v0
	v_lshlrev_b32_e32 v3, 3, v2
	v_sub_co_u32_e32 v3, vcc, v4, v3
	s_ashr_i32 s21, s20, 31
	v_subbrev_co_u32_e32 v8, vcc, 0, v5, vcc
	s_lshl_b64 s[34:35], s[20:21], 3
	v_mov_b32_e32 v9, s35
	v_add_co_u32_e32 v3, vcc, s34, v3
	v_addc_co_u32_e32 v8, vcc, v8, v9, vcc
	v_add_co_u32_e32 v9, vcc, -8, v3
	v_addc_co_u32_e32 v3, vcc, -1, v8, vcc
	v_cmp_gt_i32_e64 s[14:15], s20, v2
	s_sub_i32 s21, s20, 32
	v_mov_b32_e32 v8, 0
	v_cndmask_b32_e64 v3, v3, v5, s[14:15]
	v_cndmask_b32_e64 v2, v9, v4, s[14:15]
	v_cmp_gt_i32_e32 vcc, s21, v10
	v_mov_b32_e32 v9, v8
	s_and_saveexec_b64 s[36:37], vcc
	s_cbranch_execz .LBB36_63
; %bb.62:
	flat_load_dwordx2 v[8:9], v[2:3]
.LBB36_63:
	s_or_b64 exec, exec, s[36:37]
	v_add_lshl_u32 v32, v1, v0, 3
	s_waitcnt vmcnt(0) lgkmcnt(0)
	ds_write_b64 v32, v[8:9]
	v_add_u32_e32 v8, 8, v10
	v_cmp_le_i32_e32 vcc, s21, v8
	s_and_saveexec_b64 s[36:37], vcc
	s_xor_b64 s[36:37], exec, s[36:37]
	s_cbranch_execz .LBB36_65
; %bb.64:
	v_mul_u32_u24_e32 v8, 33, v8
	v_add_lshl_u32 v33, v8, v0, 3
	v_mov_b32_e32 v8, 0
	v_mov_b32_e32 v9, v8
	ds_write_b64 v33, v[8:9]
.LBB36_65:
	s_andn2_saveexec_b64 s[36:37], s[36:37]
	s_cbranch_execz .LBB36_67
; %bb.66:
	s_lshl_b64 s[40:41], s[24:25], 6
	v_mov_b32_e32 v9, s41
	v_add_co_u32_e32 v8, vcc, s40, v2
	v_addc_co_u32_e32 v9, vcc, v3, v9, vcc
	flat_load_dwordx2 v[8:9], v[8:9]
	s_waitcnt vmcnt(0) lgkmcnt(0)
	ds_write_b64 v32, v[8:9] offset:2112
.LBB36_67:
	s_or_b64 exec, exec, s[36:37]
	v_add_u32_e32 v8, 16, v10
	v_cmp_le_i32_e32 vcc, s21, v8
	s_and_saveexec_b64 s[36:37], vcc
	s_xor_b64 s[36:37], exec, s[36:37]
	s_cbranch_execz .LBB36_69
; %bb.68:
	v_mov_b32_e32 v8, 0
	v_mov_b32_e32 v9, v8
	ds_write_b64 v32, v[8:9] offset:4224
.LBB36_69:
	s_andn2_saveexec_b64 s[36:37], s[36:37]
	s_cbranch_execz .LBB36_71
; %bb.70:
	s_lshl_b64 s[40:41], s[24:25], 7
	v_mov_b32_e32 v9, s41
	v_add_co_u32_e32 v8, vcc, s40, v2
	v_addc_co_u32_e32 v9, vcc, v3, v9, vcc
	flat_load_dwordx2 v[8:9], v[8:9]
	s_waitcnt vmcnt(0) lgkmcnt(0)
	ds_write_b64 v32, v[8:9] offset:4224
.LBB36_71:
	s_or_b64 exec, exec, s[36:37]
	v_add_u32_e32 v8, 24, v10
	v_cmp_le_i32_e32 vcc, s21, v8
	s_and_saveexec_b64 s[36:37], vcc
	s_xor_b64 s[36:37], exec, s[36:37]
	s_cbranch_execz .LBB36_73
; %bb.72:
	v_mov_b32_e32 v8, 0
	v_mov_b32_e32 v9, v8
	ds_write_b64 v32, v[8:9] offset:6336
                                        ; implicit-def: $vgpr32
.LBB36_73:
	s_andn2_saveexec_b64 s[36:37], s[36:37]
	s_cbranch_execz .LBB36_75
; %bb.74:
	v_mov_b32_e32 v8, 0xc0
	v_mad_u64_u32 v[8:9], s[40:41], s24, v8, v[2:3]
	v_add_u32_e32 v9, s39, v9
	flat_load_dwordx2 v[8:9], v[8:9]
	s_waitcnt vmcnt(0) lgkmcnt(0)
	ds_write_b64 v32, v[8:9] offset:6336
.LBB36_75:
	s_or_b64 exec, exec, s[36:37]
	v_add_co_u32_e32 v2, vcc, v2, v11
	v_addc_co_u32_e32 v3, vcc, 0, v3, vcc
	v_mov_b32_e32 v8, s35
	v_subrev_co_u32_e32 v2, vcc, s34, v2
	v_subb_co_u32_e32 v3, vcc, v3, v8, vcc
	v_add_co_u32_e32 v2, vcc, 0x108, v2
	v_addc_co_u32_e32 v3, vcc, 0, v3, vcc
	v_cndmask_b32_e64 v3, v3, v5, s[14:15]
	v_cndmask_b32_e64 v2, v2, v4, s[14:15]
	s_branch .LBB36_78
.LBB36_76:
                                        ; implicit-def: $vgpr2_vgpr3
	s_cbranch_execz .LBB36_78
; %bb.77:
	flat_load_dwordx2 v[2:3], v[6:7] offset:256
	s_lshl_b64 s[14:15], s[24:25], 6
	v_add_lshl_u32 v32, v1, v0, 3
	v_mov_b32_e32 v33, s15
	v_add_co_u32_e32 v8, vcc, s14, v6
	v_addc_co_u32_e32 v9, vcc, v7, v33, vcc
	s_waitcnt vmcnt(0) lgkmcnt(0)
	ds_write_b64 v32, v[2:3]
	flat_load_dwordx2 v[2:3], v[8:9] offset:256
	v_add_co_u32_e32 v8, vcc, s14, v8
	v_addc_co_u32_e32 v9, vcc, v9, v33, vcc
	s_waitcnt vmcnt(0) lgkmcnt(0)
	ds_write_b64 v32, v[2:3] offset:2112
	flat_load_dwordx2 v[2:3], v[8:9] offset:256
	v_mov_b32_e32 v8, 0xc0
	v_mad_u64_u32 v[6:7], s[14:15], s24, v8, v[6:7]
	v_add_u32_e32 v7, s39, v7
	s_waitcnt vmcnt(0) lgkmcnt(0)
	ds_write_b64 v32, v[2:3] offset:4224
	flat_load_dwordx2 v[2:3], v[6:7] offset:256
	s_waitcnt vmcnt(0) lgkmcnt(0)
	ds_write_b64 v32, v[2:3] offset:6336
	v_pk_mov_b32 v[2:3], v[4:5], v[4:5] op_sel:[0,1]
.LBB36_78:
	s_waitcnt lgkmcnt(0)
	s_barrier
	s_and_saveexec_b64 s[14:15], s[16:17]
	s_xor_b64 s[14:15], exec, s[14:15]
	s_cbranch_execnz .LBB36_105
; %bb.79:
	s_andn2_saveexec_b64 s[14:15], s[14:15]
	s_cbranch_execnz .LBB36_108
.LBB36_80:
	s_or_b64 exec, exec, s[14:15]
	s_and_saveexec_b64 s[14:15], s[8:9]
	s_xor_b64 s[8:9], exec, s[14:15]
	s_cbranch_execnz .LBB36_109
.LBB36_81:
	s_andn2_saveexec_b64 s[8:9], s[8:9]
	s_cbranch_execnz .LBB36_110
.LBB36_82:
	s_or_b64 exec, exec, s[8:9]
	s_and_saveexec_b64 s[8:9], s[10:11]
	s_xor_b64 s[8:9], exec, s[8:9]
	s_cbranch_execnz .LBB36_113
.LBB36_83:
	s_andn2_saveexec_b64 s[8:9], s[8:9]
	s_cbranch_execnz .LBB36_116
.LBB36_84:
	s_or_b64 exec, exec, s[8:9]
	s_and_saveexec_b64 s[8:9], s[12:13]
	s_xor_b64 s[8:9], exec, s[8:9]
	s_cbranch_execnz .LBB36_117
.LBB36_85:
	s_or_saveexec_b64 s[8:9], s[8:9]
	v_add_u32_e32 v25, 0x2380, v27
	s_xor_b64 exec, exec, s[8:9]
	s_cbranch_execz .LBB36_87
.LBB36_86:
	ds_read_b64 v[4:5], v19 offset:528
	s_waitcnt lgkmcnt(0)
	v_xor_b32_e32 v5, 0x80000000, v5
	ds_write_b64 v16, v[4:5] offset:24
.LBB36_87:
	s_or_b64 exec, exec, s[8:9]
	s_waitcnt lgkmcnt(0)
	s_barrier
	ds_read_b64 v[8:9], v20
	ds_read_b128 v[4:7], v25 offset:256
	ds_read2_b64 v[32:35], v19 offset1:33
	ds_read_b64 v[16:17], v19 offset:528
	ds_read_b128 v[36:39], v25 offset:272
	v_cmp_eq_u32_e64 s[8:9], 1, v10
	s_waitcnt lgkmcnt(3)
	v_pk_mul_f32 v[26:27], v[4:5], v[8:9] op_sel:[0,1]
	v_pk_fma_f32 v[40:41], v[4:5], v[8:9], v[26:27] op_sel:[0,0,1] op_sel_hi:[1,1,0] neg_lo:[0,0,1] neg_hi:[0,0,1]
	v_pk_fma_f32 v[4:5], v[4:5], v[8:9], v[26:27] op_sel:[0,0,1] op_sel_hi:[1,0,0]
	s_waitcnt lgkmcnt(2)
	v_pk_mul_f32 v[8:9], v[6:7], v[32:33] op_sel:[0,1]
	v_pk_fma_f32 v[26:27], v[6:7], v[32:33], v[8:9] op_sel:[0,0,1] op_sel_hi:[1,1,0] neg_lo:[0,0,1] neg_hi:[0,0,1]
	v_pk_fma_f32 v[6:7], v[6:7], v[32:33], v[8:9] op_sel:[0,0,1] op_sel_hi:[1,0,0]
	v_mov_b32_e32 v41, v5
	v_mov_b32_e32 v27, v7
	s_waitcnt lgkmcnt(0)
	v_pk_mul_f32 v[6:7], v[36:37], v[34:35] op_sel:[0,1]
	v_pk_add_f32 v[4:5], v[40:41], 0 op_sel_hi:[1,0]
	v_pk_fma_f32 v[8:9], v[36:37], v[34:35], v[6:7] op_sel:[0,0,1] op_sel_hi:[1,1,0] neg_lo:[0,0,1] neg_hi:[0,0,1]
	v_pk_fma_f32 v[6:7], v[36:37], v[34:35], v[6:7] op_sel:[0,0,1] op_sel_hi:[1,0,0]
	v_pk_add_f32 v[4:5], v[4:5], v[26:27]
	v_mov_b32_e32 v9, v7
	v_pk_mul_f32 v[6:7], v[38:39], v[16:17] op_sel:[0,1]
	v_pk_add_f32 v[4:5], v[4:5], v[8:9]
	v_pk_fma_f32 v[8:9], v[38:39], v[16:17], v[6:7] op_sel:[0,0,1] op_sel_hi:[1,1,0] neg_lo:[0,0,1] neg_hi:[0,0,1]
	v_pk_fma_f32 v[6:7], v[38:39], v[16:17], v[6:7] op_sel:[0,0,1] op_sel_hi:[1,0,0]
	v_mov_b32_e32 v9, v7
	v_pk_add_f32 v[4:5], v[4:5], v[8:9]
	s_barrier
	ds_write_b64 v23, v[4:5]
	s_waitcnt lgkmcnt(0)
	s_barrier
	s_and_saveexec_b64 s[10:11], s[8:9]
	s_cbranch_execz .LBB36_89
; %bb.88:
	ds_read2_b64 v[4:7], v24 offset1:7
	ds_read2_b64 v[30:33], v24 offset0:1 offset1:2
	ds_read2_b64 v[34:37], v24 offset0:3 offset1:4
	s_waitcnt lgkmcnt(1)
	v_add_f32_e32 v4, v30, v4
	v_add_f32_e32 v5, v31, v5
	;; [unrolled: 1-line block ×4, first 2 shown]
	ds_read2_b64 v[30:33], v24 offset0:5 offset1:6
	s_waitcnt lgkmcnt(1)
	v_add_f32_e32 v4, v4, v34
	v_add_f32_e32 v5, v5, v35
	;; [unrolled: 1-line block ×4, first 2 shown]
	s_waitcnt lgkmcnt(0)
	v_add_f32_e32 v4, v4, v30
	v_add_f32_e32 v5, v5, v31
	v_pk_add_f32 v[4:5], v[4:5], v[32:33]
	v_pk_add_f32 v[30:31], v[4:5], v[6:7]
.LBB36_89:
	s_or_b64 exec, exec, s[10:11]
	v_add_co_u32_e32 v2, vcc, 0xffffff00, v2
	v_addc_co_u32_e32 v3, vcc, -1, v3, vcc
	s_and_b64 vcc, exec, s[30:31]
	s_barrier
	s_cbranch_vccz .LBB36_120
; %bb.90:
	v_sub_co_u32_e32 v4, vcc, v2, v11
	s_ashr_i32 s21, s20, 31
	v_subbrev_co_u32_e32 v5, vcc, 0, v3, vcc
	s_lshl_b64 s[12:13], s[20:21], 3
	v_mov_b32_e32 v6, s13
	v_add_co_u32_e32 v4, vcc, s12, v4
	v_addc_co_u32_e32 v5, vcc, v5, v6, vcc
	v_add_co_u32_e32 v4, vcc, -8, v4
	v_addc_co_u32_e32 v5, vcc, -1, v5, vcc
	v_cmp_gt_i32_e32 vcc, s20, v0
	s_sub_i32 s16, s20, 32
	v_mov_b32_e32 v6, 0
	v_cndmask_b32_e32 v5, v5, v3, vcc
	v_cndmask_b32_e32 v4, v4, v2, vcc
	v_cmp_gt_i32_e64 s[10:11], s16, v10
	v_mov_b32_e32 v7, v6
	s_and_saveexec_b64 s[14:15], s[10:11]
	s_cbranch_execz .LBB36_92
; %bb.91:
	flat_load_dwordx2 v[6:7], v[4:5]
.LBB36_92:
	s_or_b64 exec, exec, s[14:15]
	v_add_lshl_u32 v8, v1, v0, 3
	s_waitcnt vmcnt(0) lgkmcnt(0)
	ds_write_b64 v8, v[6:7]
	v_add_u32_e32 v6, 8, v10
	v_cmp_le_i32_e64 s[10:11], s16, v6
	s_and_saveexec_b64 s[14:15], s[10:11]
	s_xor_b64 s[10:11], exec, s[14:15]
	s_cbranch_execz .LBB36_94
; %bb.93:
	v_mul_u32_u24_e32 v7, 33, v6
	v_mov_b32_e32 v16, 0
	v_add_lshl_u32 v7, v7, v0, 3
	v_mov_b32_e32 v17, v16
	ds_write_b64 v7, v[16:17]
.LBB36_94:
	s_andn2_saveexec_b64 s[14:15], s[10:11]
	s_cbranch_execz .LBB36_96
; %bb.95:
	s_lshl_b64 s[10:11], s[24:25], 6
	v_mov_b32_e32 v7, s11
	v_add_co_u32_e64 v16, s[10:11], s10, v4
	v_addc_co_u32_e64 v17, s[10:11], v5, v7, s[10:11]
	flat_load_dwordx2 v[16:17], v[16:17]
	s_waitcnt vmcnt(0) lgkmcnt(0)
	ds_write_b64 v8, v[16:17] offset:2112
.LBB36_96:
	s_or_b64 exec, exec, s[14:15]
	v_add_u32_e32 v7, 16, v10
	v_cmp_le_i32_e64 s[10:11], s16, v7
	s_and_saveexec_b64 s[14:15], s[10:11]
	s_xor_b64 s[10:11], exec, s[14:15]
	s_cbranch_execz .LBB36_98
; %bb.97:
	v_mov_b32_e32 v16, 0
	v_mov_b32_e32 v17, v16
	ds_write_b64 v8, v[16:17] offset:4224
.LBB36_98:
	s_andn2_saveexec_b64 s[14:15], s[10:11]
	s_cbranch_execz .LBB36_100
; %bb.99:
	s_lshl_b64 s[10:11], s[24:25], 7
	v_mov_b32_e32 v9, s11
	v_add_co_u32_e64 v16, s[10:11], s10, v4
	v_addc_co_u32_e64 v17, s[10:11], v5, v9, s[10:11]
	flat_load_dwordx2 v[16:17], v[16:17]
	s_waitcnt vmcnt(0) lgkmcnt(0)
	ds_write_b64 v8, v[16:17] offset:4224
.LBB36_100:
	s_or_b64 exec, exec, s[14:15]
	v_add_u32_e32 v9, 24, v10
	v_cmp_le_i32_e64 s[10:11], s16, v9
	s_and_saveexec_b64 s[14:15], s[10:11]
	s_xor_b64 s[10:11], exec, s[14:15]
	s_cbranch_execz .LBB36_102
; %bb.101:
	v_mov_b32_e32 v16, 0
	v_mov_b32_e32 v17, v16
	ds_write_b64 v8, v[16:17] offset:6336
                                        ; implicit-def: $vgpr8
.LBB36_102:
	s_andn2_saveexec_b64 s[10:11], s[10:11]
	s_cbranch_execz .LBB36_104
; %bb.103:
	v_mov_b32_e32 v16, 0xc0
	v_mad_u64_u32 v[16:17], s[14:15], s24, v16, v[4:5]
	v_add_u32_e32 v17, s39, v17
	flat_load_dwordx2 v[16:17], v[16:17]
	s_waitcnt vmcnt(0) lgkmcnt(0)
	ds_write_b64 v8, v[16:17] offset:6336
.LBB36_104:
	s_or_b64 exec, exec, s[10:11]
	v_add_co_u32_e64 v4, s[10:11], v4, v11
	v_addc_co_u32_e64 v5, s[10:11], 0, v5, s[10:11]
	v_mov_b32_e32 v8, s13
	v_subrev_co_u32_e64 v4, s[10:11], s12, v4
	v_subb_co_u32_e64 v5, s[10:11], v5, v8, s[10:11]
	v_add_co_u32_e64 v4, s[10:11], 8, v4
	v_addc_co_u32_e64 v5, s[10:11], 0, v5, s[10:11]
	v_cndmask_b32_e32 v17, v5, v3, vcc
	v_cndmask_b32_e32 v16, v4, v2, vcc
	s_branch .LBB36_122
.LBB36_105:
	v_cmp_eq_u32_e32 vcc, v21, v0
	s_and_saveexec_b64 s[16:17], vcc
	s_cbranch_execz .LBB36_107
; %bb.106:
	v_mul_u32_u24_e32 v4, 34, v0
	v_lshlrev_b32_e32 v4, 3, v4
	v_mov_b32_e32 v5, 0
	ds_write_b32 v4, v5 offset:4
.LBB36_107:
	s_or_b64 exec, exec, s[16:17]
	s_andn2_saveexec_b64 s[14:15], s[14:15]
	s_cbranch_execz .LBB36_80
.LBB36_108:
	ds_read_b64 v[4:5], v20
	s_waitcnt lgkmcnt(0)
	v_xor_b32_e32 v5, 0x80000000, v5
	ds_write_b64 v16, v[4:5]
	s_or_b64 exec, exec, s[14:15]
	s_and_saveexec_b64 s[14:15], s[8:9]
	s_xor_b64 s[8:9], exec, s[14:15]
	s_cbranch_execz .LBB36_81
.LBB36_109:
	ds_read_b64 v[4:5], v19
                                        ; implicit-def: $vgpr17
	s_waitcnt lgkmcnt(0)
	v_xor_b32_e32 v5, 0x80000000, v5
	ds_write_b64 v16, v[4:5] offset:8
	s_andn2_saveexec_b64 s[8:9], s[8:9]
	s_cbranch_execz .LBB36_82
.LBB36_110:
	v_cmp_eq_u32_e32 vcc, v17, v0
	s_and_saveexec_b64 s[14:15], vcc
	s_cbranch_execz .LBB36_112
; %bb.111:
	v_mul_u32_u24_e32 v4, 34, v0
	v_lshlrev_b32_e32 v4, 3, v4
	v_mov_b32_e32 v5, 0
	ds_write_b32 v4, v5 offset:4
.LBB36_112:
	s_or_b64 exec, exec, s[14:15]
	s_or_b64 exec, exec, s[8:9]
	s_and_saveexec_b64 s[8:9], s[10:11]
	s_xor_b64 s[8:9], exec, s[8:9]
	s_cbranch_execz .LBB36_83
.LBB36_113:
	v_cmp_eq_u32_e32 vcc, v25, v0
	s_and_saveexec_b64 s[10:11], vcc
	s_cbranch_execz .LBB36_115
; %bb.114:
	v_mul_u32_u24_e32 v4, 34, v0
	v_lshlrev_b32_e32 v4, 3, v4
	v_mov_b32_e32 v5, 0
	ds_write_b32 v4, v5 offset:4
.LBB36_115:
	s_or_b64 exec, exec, s[10:11]
	s_andn2_saveexec_b64 s[8:9], s[8:9]
	s_cbranch_execz .LBB36_84
.LBB36_116:
	ds_read_b64 v[4:5], v19 offset:264
	s_waitcnt lgkmcnt(0)
	v_xor_b32_e32 v5, 0x80000000, v5
	ds_write_b64 v16, v[4:5] offset:16
	s_or_b64 exec, exec, s[8:9]
	s_and_saveexec_b64 s[8:9], s[12:13]
	s_xor_b64 s[8:9], exec, s[8:9]
	s_cbranch_execz .LBB36_85
.LBB36_117:
	v_cmp_eq_u32_e32 vcc, v26, v0
	s_and_saveexec_b64 s[10:11], vcc
	s_cbranch_execz .LBB36_119
; %bb.118:
	v_mul_u32_u24_e32 v4, 34, v0
	v_lshlrev_b32_e32 v4, 3, v4
	v_mov_b32_e32 v5, 0
	ds_write_b32 v4, v5 offset:4
.LBB36_119:
	s_or_b64 exec, exec, s[10:11]
                                        ; implicit-def: $vgpr16
	s_or_saveexec_b64 s[8:9], s[8:9]
	v_add_u32_e32 v25, 0x2380, v27
	s_xor_b64 exec, exec, s[8:9]
	s_cbranch_execnz .LBB36_86
	s_branch .LBB36_87
.LBB36_120:
                                        ; implicit-def: $vgpr16_vgpr17
                                        ; implicit-def: $vgpr6
                                        ; implicit-def: $vgpr7
                                        ; implicit-def: $vgpr9
	s_cbranch_execz .LBB36_122
; %bb.121:
	flat_load_dwordx2 v[4:5], v[2:3]
	s_lshl_b64 s[10:11], s[24:25], 6
	v_add_lshl_u32 v8, v1, v0, 3
	v_mov_b32_e32 v6, s11
	v_add_co_u32_e32 v0, vcc, s10, v2
	v_addc_co_u32_e32 v1, vcc, v3, v6, vcc
	v_add_u32_e32 v7, 16, v10
	v_add_u32_e32 v9, 24, v10
	v_pk_mov_b32 v[16:17], v[2:3], v[2:3] op_sel:[0,1]
	s_waitcnt vmcnt(0) lgkmcnt(0)
	ds_write_b64 v8, v[4:5]
	flat_load_dwordx2 v[4:5], v[0:1]
	v_add_co_u32_e32 v0, vcc, s10, v0
	v_addc_co_u32_e32 v1, vcc, v1, v6, vcc
	v_add_u32_e32 v6, 8, v10
	s_waitcnt vmcnt(0) lgkmcnt(0)
	ds_write_b64 v8, v[4:5] offset:2112
	flat_load_dwordx2 v[0:1], v[0:1]
	v_mov_b32_e32 v4, 0xc0
	v_mad_u64_u32 v[4:5], s[10:11], s24, v4, v[2:3]
	v_add_u32_e32 v5, s39, v5
	s_waitcnt vmcnt(0) lgkmcnt(0)
	ds_write_b64 v8, v[0:1] offset:4224
	flat_load_dwordx2 v[0:1], v[4:5]
	s_waitcnt vmcnt(0) lgkmcnt(0)
	ds_write_b64 v8, v[0:1] offset:6336
.LBB36_122:
	s_waitcnt lgkmcnt(0)
	s_barrier
	ds_read_b64 v[26:27], v23
	v_add_lshl_u32 v0, v7, v18, 3
	ds_read_b64 v[32:33], v0
	v_lshlrev_b32_e32 v4, 3, v10
	v_add_lshl_u32 v5, v6, v18, 3
	v_lshlrev_b32_e32 v6, 3, v6
	v_lshlrev_b32_e32 v7, 3, v7
	v_add_lshl_u32 v18, v9, v18, 3
	v_lshlrev_b32_e32 v40, 3, v9
	ds_read2_b64 v[0:3], v19 offset1:33
	ds_read_b64 v[20:21], v20
	ds_read_b128 v[8:11], v25 offset:256
	ds_read_b64 v[34:35], v6 offset:9088
	ds_read_b64 v[36:37], v5
	ds_read_b64 v[38:39], v4 offset:9088
	ds_read_b64 v[40:41], v40 offset:9088
	ds_read_b64 v[42:43], v18
	ds_read_b64 v[44:45], v7 offset:9088
	ds_read_b64 v[18:19], v19 offset:528
	ds_read_b128 v[4:7], v25 offset:272
	s_waitcnt lgkmcnt(5)
	v_pk_mul_f32 v[46:47], v[26:27], v[38:39] op_sel:[1,0]
	v_pk_mul_f32 v[48:49], v[36:37], v[34:35] op_sel:[1,0]
	v_pk_fma_f32 v[54:55], v[26:27], v[38:39], v[46:47] op_sel:[0,0,1] op_sel_hi:[1,1,0]
	v_pk_fma_f32 v[26:27], v[26:27], v[38:39], v[46:47] op_sel:[0,0,1] op_sel_hi:[0,1,0] neg_lo:[0,0,1] neg_hi:[0,0,1]
	s_waitcnt lgkmcnt(2)
	v_pk_mul_f32 v[50:51], v[32:33], v[44:45] op_sel:[1,0]
	v_mov_b32_e32 v55, v27
	v_pk_fma_f32 v[38:39], v[36:37], v[34:35], v[48:49] op_sel:[0,0,1] op_sel_hi:[1,1,0]
	v_pk_fma_f32 v[34:35], v[36:37], v[34:35], v[48:49] op_sel:[0,0,1] op_sel_hi:[0,1,0] neg_lo:[0,0,1] neg_hi:[0,0,1]
	v_pk_add_f32 v[26:27], v[54:55], 0 op_sel_hi:[1,0]
	v_mov_b32_e32 v39, v35
	v_pk_fma_f32 v[34:35], v[32:33], v[44:45], v[50:51] op_sel:[0,0,1] op_sel_hi:[1,1,0]
	v_pk_fma_f32 v[32:33], v[32:33], v[44:45], v[50:51] op_sel:[0,0,1] op_sel_hi:[0,1,0] neg_lo:[0,0,1] neg_hi:[0,0,1]
	v_pk_mul_f32 v[52:53], v[42:43], v[40:41] op_sel:[1,0]
	v_pk_add_f32 v[26:27], v[26:27], v[38:39]
	v_mov_b32_e32 v35, v33
	v_pk_add_f32 v[26:27], v[26:27], v[34:35]
	v_pk_fma_f32 v[32:33], v[42:43], v[40:41], v[52:53] op_sel:[0,0,1] op_sel_hi:[1,1,0]
	v_pk_fma_f32 v[34:35], v[42:43], v[40:41], v[52:53] op_sel:[0,0,1] op_sel_hi:[0,1,0] neg_lo:[0,0,1] neg_hi:[0,0,1]
	v_mov_b32_e32 v33, v35
	v_pk_add_f32 v[26:27], v[26:27], v[32:33]
	s_waitcnt lgkmcnt(0)
	s_barrier
	ds_write_b64 v23, v[26:27]
	s_waitcnt lgkmcnt(0)
	s_barrier
	s_and_saveexec_b64 s[10:11], s[8:9]
	s_cbranch_execz .LBB36_124
; %bb.123:
	ds_read2_b64 v[32:35], v24 offset1:1
	ds_read2_b64 v[36:39], v24 offset0:2 offset1:3
	ds_read2_b64 v[40:43], v24 offset0:6 offset1:7
	s_waitcnt lgkmcnt(2)
	v_pk_add_f32 v[26:27], v[30:31], v[32:33]
	ds_read2_b64 v[30:33], v24 offset0:4 offset1:5
	v_pk_add_f32 v[26:27], v[26:27], v[34:35]
	s_waitcnt lgkmcnt(2)
	v_pk_add_f32 v[26:27], v[26:27], v[36:37]
	v_pk_add_f32 v[26:27], v[26:27], v[38:39]
	s_waitcnt lgkmcnt(0)
	v_pk_add_f32 v[26:27], v[26:27], v[30:31]
	v_pk_add_f32 v[26:27], v[26:27], v[32:33]
	;; [unrolled: 1-line block ×4, first 2 shown]
.LBB36_124:
	s_or_b64 exec, exec, s[10:11]
	v_pk_mul_f32 v[26:27], v[8:9], v[20:21] op_sel:[0,1]
	v_pk_fma_f32 v[32:33], v[8:9], v[20:21], v[26:27] op_sel:[0,0,1] op_sel_hi:[1,1,0] neg_lo:[0,0,1] neg_hi:[0,0,1]
	v_pk_fma_f32 v[8:9], v[8:9], v[20:21], v[26:27] op_sel:[0,0,1] op_sel_hi:[1,0,0]
	v_pk_mul_f32 v[20:21], v[10:11], v[0:1] op_sel:[0,1]
	v_mov_b32_e32 v33, v9
	v_pk_fma_f32 v[26:27], v[10:11], v[0:1], v[20:21] op_sel:[0,0,1] op_sel_hi:[1,1,0] neg_lo:[0,0,1] neg_hi:[0,0,1]
	v_pk_fma_f32 v[0:1], v[10:11], v[0:1], v[20:21] op_sel:[0,0,1] op_sel_hi:[1,0,0]
	v_pk_add_f32 v[8:9], v[32:33], 0 op_sel_hi:[1,0]
	v_mov_b32_e32 v27, v1
	v_pk_add_f32 v[0:1], v[8:9], v[26:27]
	v_pk_mul_f32 v[8:9], v[4:5], v[2:3] op_sel:[0,1]
	v_pk_fma_f32 v[10:11], v[4:5], v[2:3], v[8:9] op_sel:[0,0,1] op_sel_hi:[1,1,0] neg_lo:[0,0,1] neg_hi:[0,0,1]
	v_pk_fma_f32 v[2:3], v[4:5], v[2:3], v[8:9] op_sel:[0,0,1] op_sel_hi:[1,0,0]
	v_mov_b32_e32 v11, v3
	v_pk_mul_f32 v[2:3], v[6:7], v[18:19] op_sel:[0,1]
	v_pk_fma_f32 v[4:5], v[6:7], v[18:19], v[2:3] op_sel:[0,0,1] op_sel_hi:[1,1,0] neg_lo:[0,0,1] neg_hi:[0,0,1]
	v_pk_fma_f32 v[2:3], v[6:7], v[18:19], v[2:3] op_sel:[0,0,1] op_sel_hi:[1,0,0]
	v_pk_add_f32 v[0:1], v[0:1], v[10:11]
	v_mov_b32_e32 v5, v3
	v_pk_add_f32 v[0:1], v[0:1], v[4:5]
	s_barrier
	ds_write_b64 v23, v[0:1]
	s_waitcnt lgkmcnt(0)
	s_barrier
	s_and_saveexec_b64 s[8:9], s[2:3]
	s_cbranch_execz .LBB36_126
; %bb.125:
	ds_read2_b64 v[0:3], v24 offset1:1
	ds_read2_b64 v[4:7], v24 offset0:2 offset1:3
	ds_read2_b64 v[8:11], v24 offset0:4 offset1:5
	s_waitcnt lgkmcnt(2)
	v_pk_add_f32 v[0:1], v[30:31], v[0:1]
	v_pk_add_f32 v[18:19], v[0:1], v[2:3]
	ds_read2_b64 v[0:3], v24 offset0:6 offset1:7
	s_waitcnt lgkmcnt(2)
	v_pk_add_f32 v[4:5], v[18:19], v[4:5]
	v_pk_add_f32 v[4:5], v[4:5], v[6:7]
	s_waitcnt lgkmcnt(1)
	v_pk_add_f32 v[4:5], v[4:5], v[8:9]
	v_pk_add_f32 v[4:5], v[4:5], v[10:11]
	;; [unrolled: 3-line block ×3, first 2 shown]
.LBB36_126:
	s_or_b64 exec, exec, s[8:9]
	s_load_dwordx2 s[2:3], s[4:5], 0x68
	s_mul_hi_u32 s4, s33, s28
	s_mul_i32 s38, s38, s28
	s_add_i32 s4, s4, s38
	s_mul_i32 s8, s33, s28
	s_mul_i32 s4, s4, s7
	s_mul_hi_u32 s5, s8, s7
	s_add_i32 s5, s5, s4
	s_mul_i32 s4, s8, s7
	s_lshl_b64 s[4:5], s[4:5], 3
	s_waitcnt lgkmcnt(0)
	s_add_u32 s4, s2, s4
	s_addc_u32 s5, s3, s5
	s_mul_hi_i32 s3, s33, s6
	s_mul_i32 s2, s33, s6
	s_lshl_b64 s[2:3], s[2:3], 3
	s_add_u32 s21, s4, s2
	s_addc_u32 s28, s5, s3
	s_add_i32 s2, s6, 1
	s_cmp_ge_u32 s2, s7
	v_lshlrev_b32_e32 v32, 3, v65
	s_barrier
	s_cbranch_scc1 .LBB36_184
; %bb.127:
	s_mul_i32 s2, s26, s19
	s_mul_hi_u32 s3, s26, s18
	s_add_i32 s2, s3, s2
	s_mul_i32 s3, s27, s18
	s_add_i32 s3, s2, s3
	s_mul_i32 s2, s26, s18
	s_lshl_b64 s[2:3], s[2:3], 3
	v_mov_b32_e32 v0, s3
	v_subrev_co_u32_e32 v123, vcc, s2, v14
	v_and_b32_e32 v1, 48, v65
	v_subb_co_u32_e32 v124, vcc, v15, v0, vcc
	v_and_b32_e32 v0, 15, v65
	v_lshlrev_b32_e32 v2, 3, v1
	s_movk_i32 s4, 0x218
	v_lshrrev_b32_e32 v4, 4, v22
	v_mad_u32_u24 v125, v0, s4, v2
	v_or_b32_e32 v2, 0x78, v32
	v_lshlrev_b32_e32 v5, 5, v109
	v_mad_u32_u24 v126, v0, s4, v2
	v_lshlrev_b32_e32 v2, 5, v4
	v_add_u32_e32 v3, 0x100, v5
	v_mad_u32_u24 v127, v0, s4, v2
	v_or_b32_e32 v128, v1, v0
	v_mad_u64_u32 v[0:1], s[4:5], s24, v3, 0
	v_mov_b32_e32 v2, v1
	v_mad_u64_u32 v[2:3], s[4:5], s25, v3, v[2:3]
	v_mov_b32_e32 v1, v2
	v_sub_co_u32_e32 v0, vcc, v0, v12
	v_subb_co_u32_e32 v1, vcc, v1, v13, vcc
	v_add_co_u32_e32 v34, vcc, v16, v0
	v_add_u32_e32 v3, 0x110, v5
	v_addc_co_u32_e32 v33, vcc, v17, v1, vcc
	v_mad_u64_u32 v[0:1], s[4:5], s24, v3, 0
	v_mov_b32_e32 v2, v1
	v_mad_u64_u32 v[2:3], s[4:5], s25, v3, v[2:3]
	v_mov_b32_e32 v1, v2
	v_sub_co_u32_e32 v0, vcc, v0, v12
	v_subb_co_u32_e32 v1, vcc, v1, v13, vcc
	v_add_co_u32_e32 v36, vcc, v16, v0
	v_add_u32_e32 v3, 0x108, v5
	v_addc_co_u32_e32 v35, vcc, v17, v1, vcc
	;; [unrolled: 9-line block ×12, first 2 shown]
	v_mad_u64_u32 v[0:1], s[4:5], s24, v3, 0
	v_mov_b32_e32 v2, v1
	v_mad_u64_u32 v[2:3], s[4:5], s25, v3, v[2:3]
	v_mov_b32_e32 v1, v2
	v_sub_co_u32_e32 v6, vcc, v0, v12
	v_add_u32_e32 v3, 0x290, v5
	v_subb_co_u32_e32 v7, vcc, v1, v13, vcc
	v_mad_u64_u32 v[0:1], s[4:5], s24, v3, 0
	v_mov_b32_e32 v2, v1
	v_mad_u64_u32 v[2:3], s[4:5], s25, v3, v[2:3]
	v_mov_b32_e32 v1, v2
	v_sub_co_u32_e32 v8, vcc, v0, v12
	v_add_u32_e32 v3, 0x288, v5
	v_subb_co_u32_e32 v9, vcc, v1, v13, vcc
	v_mad_u64_u32 v[0:1], s[4:5], s24, v3, 0
	v_mov_b32_e32 v2, v1
	v_mad_u64_u32 v[2:3], s[4:5], s25, v3, v[2:3]
	v_mov_b32_e32 v1, v2
	v_sub_co_u32_e32 v10, vcc, v0, v12
	v_add_u32_e32 v3, 0x298, v5
	v_subb_co_u32_e32 v11, vcc, v1, v13, vcc
	v_mad_u64_u32 v[0:1], s[4:5], s24, v3, 0
	v_mov_b32_e32 v2, v1
	v_add_co_u32_e32 v58, vcc, v16, v6
	v_mad_u64_u32 v[2:3], s[4:5], s25, v3, v[2:3]
	v_addc_co_u32_e32 v57, vcc, v17, v7, vcc
	v_mov_b32_e32 v1, v2
	v_sub_co_u32_e32 v0, vcc, v0, v12
	v_subb_co_u32_e32 v1, vcc, v1, v13, vcc
	v_add_co_u32_e32 v60, vcc, v16, v8
	v_addc_co_u32_e32 v59, vcc, v17, v9, vcc
	v_add_co_u32_e32 v62, vcc, v16, v10
	v_addc_co_u32_e32 v61, vcc, v17, v11, vcc
	v_add_co_u32_e32 v64, vcc, v16, v0
	s_movk_i32 s4, 0x860
	v_mul_i32_i24_e32 v0, 0xffffffe8, v4
	v_lshlrev_b32_e32 v131, 2, v109
	v_cmp_gt_u32_e64 s[2:3], 64, v22
	v_addc_co_u32_e32 v63, vcc, v17, v1, vcc
	s_add_i32 s27, s7, -2
	v_add_u32_e32 v129, 0x2180, v5
	s_add_i32 s26, s26, 64
	s_lshl_b64 s[10:11], s[24:25], 9
	s_mov_b32 s12, 0
	v_add_u32_e32 v130, v127, v0
	v_add_u32_e32 v132, 0x2180, v32
	;; [unrolled: 1-line block ×3, first 2 shown]
	v_or_b32_e32 v134, 1, v131
	v_or_b32_e32 v135, 2, v131
	;; [unrolled: 1-line block ×3, first 2 shown]
	v_mad_u32_u24 v137, v109, s4, v32
	v_add_u32_e32 v138, 16, v131
	v_add_u32_e32 v139, 17, v131
	;; [unrolled: 1-line block ×12, first 2 shown]
	v_mov_b32_e32 v66, 0
	s_branch .LBB36_129
.LBB36_128:                             ;   in Loop: Header=BB36_129 Depth=1
	s_or_b64 exec, exec, s[4:5]
	v_mul_f32_e32 v0, v69, v77
	v_fma_f32 v0, v68, v76, -v0
	v_mul_f32_e32 v2, v71, v79
	v_add_f32_e32 v0, v30, v0
	v_fma_f32 v2, v70, v78, -v2
	v_add_f32_e32 v0, v0, v2
	v_mul_f32_e32 v2, v73, v81
	v_fma_f32 v2, v72, v80, -v2
	v_mul_f32_e32 v1, v68, v77
	v_add_f32_e32 v0, v0, v2
	v_mul_f32_e32 v2, v75, v83
	v_mul_f32_e32 v3, v70, v79
	v_fma_f32 v2, v74, v82, -v2
	v_fmac_f32_e32 v1, v69, v76
	v_mul_f32_e32 v4, v72, v81
	v_add_f32_e32 v0, v0, v2
	v_add_f32_e32 v1, v31, v1
	v_fmac_f32_e32 v3, v71, v78
	v_mul_f32_e32 v2, v85, v93
	v_mul_f32_e32 v5, v74, v83
	v_add_f32_e32 v1, v1, v3
	v_fmac_f32_e32 v4, v73, v80
	v_fma_f32 v2, v84, v92, -v2
	v_add_f32_e32 v1, v1, v4
	v_fmac_f32_e32 v5, v75, v82
	v_mul_f32_e32 v6, v84, v93
	v_add_f32_e32 v0, v0, v2
	v_mul_f32_e32 v2, v87, v95
	v_add_f32_e32 v1, v1, v5
	v_fma_f32 v2, v86, v94, -v2
	v_mul_f32_e32 v7, v86, v95
	v_fmac_f32_e32 v6, v85, v92
	v_add_f32_e32 v0, v0, v2
	v_mul_f32_e32 v2, v89, v97
	v_mul_f32_e32 v3, v88, v97
	v_add_f32_e32 v1, v1, v6
	v_fmac_f32_e32 v7, v87, v94
	v_fma_f32 v2, v88, v96, -v2
	v_mul_f32_e32 v4, v91, v99
	v_mul_f32_e32 v5, v90, v99
	v_add_f32_e32 v1, v1, v7
	v_fmac_f32_e32 v3, v89, v96
	v_fma_f32 v4, v90, v98, -v4
	v_pk_add_f32 v[0:1], v[0:1], v[2:3]
	v_fmac_f32_e32 v5, v91, v98
	v_pk_mul_f32 v[2:3], v[100:101], v[110:111] op_sel:[1,0]
	v_pk_add_f32 v[0:1], v[0:1], v[4:5]
	v_pk_fma_f32 v[4:5], v[100:101], v[110:111], v[2:3] op_sel:[0,0,1] op_sel_hi:[1,1,0] neg_lo:[0,0,1] neg_hi:[0,0,1]
	v_pk_fma_f32 v[2:3], v[100:101], v[110:111], v[2:3] op_sel:[0,0,1] op_sel_hi:[0,1,0]
	v_mov_b32_e32 v5, v3
	v_pk_mul_f32 v[2:3], v[102:103], v[8:9] op_sel:[1,0]
	v_pk_add_f32 v[0:1], v[0:1], v[4:5]
	v_pk_fma_f32 v[4:5], v[102:103], v[8:9], v[2:3] op_sel:[0,0,1] op_sel_hi:[1,1,0] neg_lo:[0,0,1] neg_hi:[0,0,1]
	v_pk_fma_f32 v[2:3], v[102:103], v[8:9], v[2:3] op_sel:[0,0,1] op_sel_hi:[0,1,0]
	v_mov_b32_e32 v5, v3
	;; [unrolled: 5-line block ×3, first 2 shown]
	v_pk_mul_f32 v[2:3], v[108:109], v[112:113] op_sel_hi:[0,1]
	v_pk_add_f32 v[0:1], v[0:1], v[4:5]
	v_pk_fma_f32 v[4:5], v[106:107], v[112:113], v[2:3] op_sel:[0,0,1] op_sel_hi:[1,1,0] neg_lo:[0,0,1] neg_hi:[0,0,1]
	v_pk_fma_f32 v[2:3], v[106:107], v[112:113], v[2:3] op_sel:[0,0,1] op_sel_hi:[0,1,0]
	v_mov_b32_e32 v5, v3
	v_pk_mul_f32 v[2:3], v[114:115], v[16:17] op_sel:[1,0]
	v_pk_add_f32 v[0:1], v[0:1], v[4:5]
	v_pk_fma_f32 v[4:5], v[114:115], v[16:17], v[2:3] op_sel:[0,0,1] op_sel_hi:[1,1,0] neg_lo:[0,0,1] neg_hi:[0,0,1]
	v_pk_fma_f32 v[2:3], v[114:115], v[16:17], v[2:3] op_sel:[0,0,1] op_sel_hi:[0,1,0]
	v_mov_b32_e32 v5, v3
	v_pk_mul_f32 v[2:3], v[116:117], v[18:19] op_sel:[1,0]
	v_pk_fma_f32 v[6:7], v[116:117], v[18:19], v[2:3] op_sel:[0,0,1] op_sel_hi:[1,1,0] neg_lo:[0,0,1] neg_hi:[0,0,1]
	v_pk_fma_f32 v[2:3], v[116:117], v[18:19], v[2:3] op_sel:[0,0,1] op_sel_hi:[0,1,0]
	v_mov_b32_e32 v7, v3
	v_pk_mul_f32 v[2:3], v[118:119], v[12:13] op_sel:[1,0]
	v_pk_fma_f32 v[8:9], v[118:119], v[12:13], v[2:3] op_sel:[0,0,1] op_sel_hi:[1,1,0] neg_lo:[0,0,1] neg_hi:[0,0,1]
	v_pk_fma_f32 v[2:3], v[118:119], v[12:13], v[2:3] op_sel:[0,0,1] op_sel_hi:[0,1,0]
	v_mov_b32_e32 v9, v3
	v_pk_mul_f32 v[2:3], v[122:123], v[14:15] op_sel_hi:[0,1]
	v_pk_add_f32 v[0:1], v[0:1], v[4:5]
	v_pk_fma_f32 v[10:11], v[120:121], v[14:15], v[2:3] op_sel:[0,0,1] op_sel_hi:[1,1,0] neg_lo:[0,0,1] neg_hi:[0,0,1]
	v_pk_fma_f32 v[2:3], v[120:121], v[14:15], v[2:3] op_sel:[0,0,1] op_sel_hi:[0,1,0]
	v_pk_add_f32 v[0:1], v[0:1], v[6:7]
	v_mov_b32_e32 v11, v3
	v_pk_add_f32 v[0:1], v[0:1], v[8:9]
	v_pk_add_f32 v[30:31], v[0:1], v[10:11]
	v_mov_b32_e32 v0, s11
	v_add_co_u32_e32 v34, vcc, s10, v34
	v_addc_co_u32_e32 v33, vcc, v33, v0, vcc
	v_add_co_u32_e32 v36, vcc, s10, v36
	v_addc_co_u32_e32 v35, vcc, v35, v0, vcc
	;; [unrolled: 2-line block ×15, first 2 shown]
	s_add_i32 s4, s6, 1
	s_add_i32 s26, s26, 64
	;; [unrolled: 1-line block ×3, first 2 shown]
	v_add_co_u32_e32 v64, vcc, s10, v64
	v_addc_co_u32_e32 v63, vcc, v63, v0, vcc
	s_cmp_ge_u32 s5, s7
	s_mov_b32 s6, s4
	s_barrier
	s_cbranch_scc1 .LBB36_184
.LBB36_129:                             ; =>This Inner Loop Header: Depth=1
	s_cmp_eq_u32 s27, s6
	s_cselect_b32 s24, s29, 0
	s_and_saveexec_b64 s[4:5], s[0:1]
	s_cbranch_execz .LBB36_134
; %bb.130:                              ;   in Loop: Header=BB36_129 Depth=1
	s_cmp_lg_u32 s24, 0
	s_cselect_b64 s[8:9], -1, 0
	v_cmp_le_i32_e32 vcc, s24, v65
	s_and_b64 s[8:9], s[8:9], vcc
	s_and_saveexec_b64 s[14:15], s[8:9]
	s_xor_b64 s[8:9], exec, s[14:15]
	s_cbranch_execz .LBB36_132
; %bb.131:                              ;   in Loop: Header=BB36_129 Depth=1
	v_mov_b32_e32 v67, v66
	ds_write_b64 v132, v[66:67]
.LBB36_132:                             ;   in Loop: Header=BB36_129 Depth=1
	s_andn2_saveexec_b64 s[8:9], s[8:9]
	s_cbranch_execz .LBB36_134
; %bb.133:                              ;   in Loop: Header=BB36_129 Depth=1
	s_ashr_i32 s8, s26, 31
	s_mul_i32 s9, s26, s19
	s_mul_hi_u32 s13, s26, s18
	s_add_i32 s9, s13, s9
	s_mul_i32 s8, s8, s18
	s_add_i32 s9, s9, s8
	s_mul_i32 s8, s26, s18
	s_lshl_b64 s[8:9], s[8:9], 3
	v_mov_b32_e32 v1, s9
	v_add_co_u32_e32 v0, vcc, s8, v123
	v_addc_co_u32_e32 v1, vcc, v124, v1, vcc
	flat_load_dwordx2 v[0:1], v[0:1]
	s_waitcnt vmcnt(0) lgkmcnt(0)
	ds_write_b64 v132, v[0:1]
.LBB36_134:                             ;   in Loop: Header=BB36_129 Depth=1
	s_or_b64 exec, exec, s[4:5]
	s_cmp_eq_u32 s24, 0
	v_add_co_u32_e32 v0, vcc, v34, v32
	s_cselect_b64 s[14:15], -1, 0
	s_cmp_lg_u32 s24, 0
	v_addc_co_u32_e32 v1, vcc, 0, v33, vcc
	s_cselect_b64 s[8:9], -1, 0
	s_and_b64 vcc, exec, s[8:9]
	s_waitcnt lgkmcnt(0)
	s_barrier
	s_cbranch_vccz .LBB36_142
; %bb.135:                              ;   in Loop: Header=BB36_129 Depth=1
	s_mov_b32 s13, s12
	v_cmp_gt_i32_e32 vcc, s24, v131
	v_pk_mov_b32 v[68:69], s[12:13], s[12:13] op_sel:[0,1]
	s_and_saveexec_b64 s[4:5], vcc
	s_cbranch_execz .LBB36_137
; %bb.136:                              ;   in Loop: Header=BB36_129 Depth=1
	flat_load_dwordx2 v[68:69], v[0:1]
.LBB36_137:                             ;   in Loop: Header=BB36_129 Depth=1
	s_or_b64 exec, exec, s[4:5]
	v_cmp_gt_i32_e32 vcc, s24, v134
	v_pk_mov_b32 v[70:71], s[12:13], s[12:13] op_sel:[0,1]
	s_and_saveexec_b64 s[4:5], vcc
	s_cbranch_execz .LBB36_139
; %bb.138:                              ;   in Loop: Header=BB36_129 Depth=1
	v_add_co_u32_e32 v2, vcc, v38, v32
	v_addc_co_u32_e32 v3, vcc, 0, v37, vcc
	flat_load_dwordx2 v[70:71], v[2:3]
.LBB36_139:                             ;   in Loop: Header=BB36_129 Depth=1
	s_or_b64 exec, exec, s[4:5]
	s_mov_b32 s13, s12
	v_cmp_gt_i32_e32 vcc, s24, v135
	v_pk_mov_b32 v[72:73], s[12:13], s[12:13] op_sel:[0,1]
	s_and_saveexec_b64 s[4:5], vcc
	s_cbranch_execz .LBB36_141
; %bb.140:                              ;   in Loop: Header=BB36_129 Depth=1
	v_add_co_u32_e32 v2, vcc, v36, v32
	v_addc_co_u32_e32 v3, vcc, 0, v35, vcc
	flat_load_dwordx2 v[72:73], v[2:3]
.LBB36_141:                             ;   in Loop: Header=BB36_129 Depth=1
	s_or_b64 exec, exec, s[4:5]
	v_cmp_gt_i32_e64 s[4:5], s24, v136
	s_mov_b32 s13, 0
	s_branch .LBB36_144
.LBB36_142:                             ;   in Loop: Header=BB36_129 Depth=1
	s_mov_b64 s[4:5], 0
                                        ; implicit-def: $sgpr13
                                        ; implicit-def: $vgpr72_vgpr73
                                        ; implicit-def: $vgpr70_vgpr71
                                        ; implicit-def: $vgpr68_vgpr69
	s_cbranch_execz .LBB36_144
; %bb.143:                              ;   in Loop: Header=BB36_129 Depth=1
	s_waitcnt vmcnt(0) lgkmcnt(0)
	flat_load_dwordx2 v[68:69], v[0:1]
	v_add_co_u32_e32 v0, vcc, v38, v32
	v_addc_co_u32_e32 v1, vcc, 0, v37, vcc
	flat_load_dwordx2 v[70:71], v[0:1]
	v_add_co_u32_e32 v0, vcc, v36, v32
	v_addc_co_u32_e32 v1, vcc, 0, v35, vcc
	flat_load_dwordx2 v[72:73], v[0:1]
	s_or_b64 s[4:5], s[4:5], exec
                                        ; implicit-def: $sgpr13
.LBB36_144:                             ;   in Loop: Header=BB36_129 Depth=1
	v_mov_b32_e32 v74, s13
	v_mov_b32_e32 v75, s13
	s_and_saveexec_b64 s[16:17], s[4:5]
	s_cbranch_execz .LBB36_146
; %bb.145:                              ;   in Loop: Header=BB36_129 Depth=1
	v_add_co_u32_e32 v0, vcc, v40, v32
	v_addc_co_u32_e32 v1, vcc, 0, v39, vcc
	flat_load_dwordx2 v[74:75], v[0:1]
.LBB36_146:                             ;   in Loop: Header=BB36_129 Depth=1
	s_or_b64 exec, exec, s[16:17]
	ds_read_b64 v[0:1], v133
	ds_read_b64 v[76:77], v129
	v_cndmask_b32_e64 v8, 0, 1, s[8:9]
	v_cmp_ne_u32_e64 s[4:5], 1, v8
	s_andn2_b64 vcc, exec, s[8:9]
	s_waitcnt vmcnt(0) lgkmcnt(0)
	v_mul_f32_e32 v2, v69, v1
	v_mul_f32_e32 v3, v69, v0
	v_fmac_f32_e32 v2, v68, v0
	v_fma_f32 v3, v68, v1, -v3
	v_mul_f32_e32 v4, v71, v1
	ds_write_b64 v137, v[2:3]
	v_mul_f32_e32 v2, v71, v0
	v_fmac_f32_e32 v4, v70, v0
	v_fma_f32 v5, v70, v1, -v2
	v_mul_f32_e32 v2, v73, v1
	v_mul_f32_e32 v3, v73, v0
	ds_read_b64 v[78:79], v129 offset:8
	ds_write_b64 v137, v[4:5] offset:536
	v_fmac_f32_e32 v2, v72, v0
	v_fma_f32 v3, v72, v1, -v3
	ds_read_b64 v[80:81], v129 offset:16
	ds_write_b64 v137, v[2:3] offset:1072
	v_mul_f32_e32 v2, v75, v1
	v_fmac_f32_e32 v2, v74, v0
	v_mul_f32_e32 v0, v75, v0
	v_fma_f32 v3, v74, v1, -v0
	ds_read_b64 v[82:83], v129 offset:24
	ds_write_b64 v137, v[2:3] offset:1608
	s_waitcnt lgkmcnt(0)
	s_barrier
	ds_read2_b64 v[4:7], v127 offset1:1
	ds_read2_b64 v[0:3], v127 offset0:2 offset1:3
	v_add_co_u32_e64 v8, s[8:9], v42, v32
	v_addc_co_u32_e64 v9, s[8:9], 0, v41, s[8:9]
	s_waitcnt lgkmcnt(0)
	s_barrier
	s_cbranch_vccnz .LBB36_154
; %bb.147:                              ;   in Loop: Header=BB36_129 Depth=1
	s_mov_b32 s13, s12
	v_cmp_gt_i32_e32 vcc, s24, v138
	v_pk_mov_b32 v[84:85], s[12:13], s[12:13] op_sel:[0,1]
	s_and_saveexec_b64 s[8:9], vcc
	s_cbranch_execz .LBB36_149
; %bb.148:                              ;   in Loop: Header=BB36_129 Depth=1
	flat_load_dwordx2 v[84:85], v[8:9]
.LBB36_149:                             ;   in Loop: Header=BB36_129 Depth=1
	s_or_b64 exec, exec, s[8:9]
	v_cmp_gt_i32_e32 vcc, s24, v139
	v_pk_mov_b32 v[86:87], s[12:13], s[12:13] op_sel:[0,1]
	s_and_saveexec_b64 s[8:9], vcc
	s_cbranch_execz .LBB36_151
; %bb.150:                              ;   in Loop: Header=BB36_129 Depth=1
	v_add_co_u32_e32 v10, vcc, v46, v32
	v_addc_co_u32_e32 v11, vcc, 0, v45, vcc
	flat_load_dwordx2 v[86:87], v[10:11]
.LBB36_151:                             ;   in Loop: Header=BB36_129 Depth=1
	s_or_b64 exec, exec, s[8:9]
	s_mov_b32 s13, s12
	v_cmp_gt_i32_e32 vcc, s24, v140
	v_pk_mov_b32 v[88:89], s[12:13], s[12:13] op_sel:[0,1]
	s_and_saveexec_b64 s[8:9], vcc
	s_cbranch_execz .LBB36_153
; %bb.152:                              ;   in Loop: Header=BB36_129 Depth=1
	v_add_co_u32_e32 v10, vcc, v44, v32
	v_addc_co_u32_e32 v11, vcc, 0, v43, vcc
	flat_load_dwordx2 v[88:89], v[10:11]
.LBB36_153:                             ;   in Loop: Header=BB36_129 Depth=1
	s_or_b64 exec, exec, s[8:9]
	v_cmp_gt_i32_e64 s[8:9], s24, v141
	s_mov_b32 s13, 0
	s_branch .LBB36_156
.LBB36_154:                             ;   in Loop: Header=BB36_129 Depth=1
	s_mov_b64 s[8:9], 0
                                        ; implicit-def: $sgpr13
                                        ; implicit-def: $vgpr88_vgpr89
                                        ; implicit-def: $vgpr86_vgpr87
                                        ; implicit-def: $vgpr84_vgpr85
	s_cbranch_execz .LBB36_156
; %bb.155:                              ;   in Loop: Header=BB36_129 Depth=1
	s_waitcnt vmcnt(0) lgkmcnt(0)
	flat_load_dwordx2 v[84:85], v[8:9]
	v_add_co_u32_e32 v8, vcc, v46, v32
	v_addc_co_u32_e32 v9, vcc, 0, v45, vcc
	flat_load_dwordx2 v[86:87], v[8:9]
	v_add_co_u32_e32 v8, vcc, v44, v32
	v_addc_co_u32_e32 v9, vcc, 0, v43, vcc
	flat_load_dwordx2 v[88:89], v[8:9]
	s_or_b64 s[8:9], s[8:9], exec
                                        ; implicit-def: $sgpr13
.LBB36_156:                             ;   in Loop: Header=BB36_129 Depth=1
	v_mov_b32_e32 v90, s13
	v_mov_b32_e32 v91, s13
	s_and_saveexec_b64 s[16:17], s[8:9]
	s_cbranch_execz .LBB36_158
; %bb.157:                              ;   in Loop: Header=BB36_129 Depth=1
	v_add_co_u32_e32 v8, vcc, v48, v32
	v_addc_co_u32_e32 v9, vcc, 0, v47, vcc
	flat_load_dwordx2 v[90:91], v[8:9]
.LBB36_158:                             ;   in Loop: Header=BB36_129 Depth=1
	s_or_b64 exec, exec, s[16:17]
	ds_read_b64 v[8:9], v133
	ds_read_b64 v[92:93], v129 offset:128
	s_and_b64 vcc, exec, s[4:5]
	s_waitcnt vmcnt(0) lgkmcnt(0)
	v_mul_f32_e32 v10, v85, v9
	v_mul_f32_e32 v11, v85, v8
	v_fmac_f32_e32 v10, v84, v8
	v_fma_f32 v11, v84, v9, -v11
	v_mul_f32_e32 v12, v87, v9
	ds_write_b64 v137, v[10:11]
	v_mul_f32_e32 v10, v87, v8
	v_fmac_f32_e32 v12, v86, v8
	v_fma_f32 v13, v86, v9, -v10
	v_mul_f32_e32 v10, v89, v9
	v_mul_f32_e32 v11, v89, v8
	ds_read_b64 v[94:95], v129 offset:136
	ds_write_b64 v137, v[12:13] offset:536
	v_fmac_f32_e32 v10, v88, v8
	v_fma_f32 v11, v88, v9, -v11
	ds_read_b64 v[96:97], v129 offset:144
	ds_write_b64 v137, v[10:11] offset:1072
	v_mul_f32_e32 v10, v91, v9
	v_fmac_f32_e32 v10, v90, v8
	v_mul_f32_e32 v8, v91, v8
	v_fma_f32 v11, v90, v9, -v8
	ds_read_b64 v[98:99], v129 offset:152
	ds_write_b64 v137, v[10:11] offset:1608
	s_waitcnt lgkmcnt(0)
	s_barrier
	ds_read2_b64 v[16:19], v127 offset1:1
	ds_read2_b64 v[12:15], v127 offset0:2 offset1:3
	v_add_co_u32_e64 v8, s[8:9], v50, v32
	v_addc_co_u32_e64 v9, s[8:9], 0, v49, s[8:9]
	s_waitcnt lgkmcnt(0)
	s_barrier
	s_cbranch_vccnz .LBB36_166
; %bb.159:                              ;   in Loop: Header=BB36_129 Depth=1
	s_mov_b32 s13, s12
	v_cmp_gt_i32_e32 vcc, s24, v142
	v_pk_mov_b32 v[100:101], s[12:13], s[12:13] op_sel:[0,1]
	s_and_saveexec_b64 s[8:9], vcc
	s_cbranch_execz .LBB36_161
; %bb.160:                              ;   in Loop: Header=BB36_129 Depth=1
	flat_load_dwordx2 v[100:101], v[8:9]
.LBB36_161:                             ;   in Loop: Header=BB36_129 Depth=1
	s_or_b64 exec, exec, s[8:9]
	v_cmp_gt_i32_e32 vcc, s24, v143
	v_pk_mov_b32 v[102:103], s[12:13], s[12:13] op_sel:[0,1]
	s_and_saveexec_b64 s[8:9], vcc
	s_cbranch_execz .LBB36_163
; %bb.162:                              ;   in Loop: Header=BB36_129 Depth=1
	v_add_co_u32_e32 v10, vcc, v54, v32
	v_addc_co_u32_e32 v11, vcc, 0, v53, vcc
	flat_load_dwordx2 v[102:103], v[10:11]
.LBB36_163:                             ;   in Loop: Header=BB36_129 Depth=1
	s_or_b64 exec, exec, s[8:9]
	s_mov_b32 s13, s12
	v_cmp_gt_i32_e32 vcc, s24, v144
	v_pk_mov_b32 v[104:105], s[12:13], s[12:13] op_sel:[0,1]
	s_and_saveexec_b64 s[8:9], vcc
	s_cbranch_execz .LBB36_165
; %bb.164:                              ;   in Loop: Header=BB36_129 Depth=1
	v_add_co_u32_e32 v10, vcc, v52, v32
	v_addc_co_u32_e32 v11, vcc, 0, v51, vcc
	flat_load_dwordx2 v[104:105], v[10:11]
.LBB36_165:                             ;   in Loop: Header=BB36_129 Depth=1
	s_or_b64 exec, exec, s[8:9]
	v_cmp_gt_i32_e64 s[8:9], s24, v145
	s_mov_b32 s13, 0
	s_branch .LBB36_168
.LBB36_166:                             ;   in Loop: Header=BB36_129 Depth=1
	s_mov_b64 s[8:9], 0
                                        ; implicit-def: $sgpr13
                                        ; implicit-def: $vgpr104_vgpr105
                                        ; implicit-def: $vgpr102_vgpr103
                                        ; implicit-def: $vgpr100_vgpr101
	s_cbranch_execz .LBB36_168
; %bb.167:                              ;   in Loop: Header=BB36_129 Depth=1
	s_waitcnt vmcnt(0) lgkmcnt(0)
	flat_load_dwordx2 v[100:101], v[8:9]
	v_add_co_u32_e32 v8, vcc, v54, v32
	v_addc_co_u32_e32 v9, vcc, 0, v53, vcc
	flat_load_dwordx2 v[102:103], v[8:9]
	v_add_co_u32_e32 v8, vcc, v52, v32
	v_addc_co_u32_e32 v9, vcc, 0, v51, vcc
	flat_load_dwordx2 v[104:105], v[8:9]
	s_or_b64 s[8:9], s[8:9], exec
                                        ; implicit-def: $sgpr13
.LBB36_168:                             ;   in Loop: Header=BB36_129 Depth=1
	v_mov_b32_e32 v106, s13
	v_mov_b32_e32 v108, s13
	s_and_saveexec_b64 s[16:17], s[8:9]
	s_cbranch_execz .LBB36_170
; %bb.169:                              ;   in Loop: Header=BB36_129 Depth=1
	v_add_co_u32_e32 v8, vcc, v56, v32
	v_addc_co_u32_e32 v9, vcc, 0, v55, vcc
	flat_load_dwordx2 v[106:107], v[8:9]
	s_waitcnt vmcnt(0) lgkmcnt(0)
	v_mov_b32_e32 v108, v107
.LBB36_170:                             ;   in Loop: Header=BB36_129 Depth=1
	s_or_b64 exec, exec, s[16:17]
	ds_read_b64 v[8:9], v133
	ds_read_b64 v[110:111], v129 offset:256
	s_and_b64 vcc, exec, s[4:5]
	v_add_co_u32_e64 v120, s[4:5], v58, v32
	s_waitcnt vmcnt(0) lgkmcnt(0)
	v_mul_f32_e32 v10, v101, v9
	v_mul_f32_e32 v11, v101, v8
	;; [unrolled: 1-line block ×4, first 2 shown]
	v_fmac_f32_e32 v10, v100, v8
	v_fma_f32 v11, v100, v9, -v11
	v_fmac_f32_e32 v20, v102, v8
	v_fma_f32 v21, v102, v9, -v21
	ds_write2_b64 v137, v[10:11], v[20:21] offset1:67
	v_mul_f32_e32 v10, v105, v9
	v_mul_f32_e32 v20, v108, v9
	v_fmac_f32_e32 v10, v104, v8
	v_mul_f32_e32 v11, v105, v8
	v_fmac_f32_e32 v20, v106, v8
	v_mul_f32_e32 v8, v108, v8
	v_fma_f32 v11, v104, v9, -v11
	v_fma_f32 v21, v106, v9, -v8
	ds_write2_b64 v137, v[10:11], v[20:21] offset0:134 offset1:201
	ds_read2_b64 v[8:11], v129 offset0:33 offset1:34
	ds_read_b64 v[112:113], v129 offset:280
	s_waitcnt lgkmcnt(0)
	s_barrier
	ds_read2_b64 v[24:27], v127 offset1:1
	ds_read2_b64 v[20:23], v127 offset0:2 offset1:3
	v_addc_co_u32_e64 v121, s[4:5], 0, v57, s[4:5]
	s_waitcnt lgkmcnt(0)
	s_barrier
	s_cbranch_vccnz .LBB36_178
; %bb.171:                              ;   in Loop: Header=BB36_129 Depth=1
	s_mov_b32 s13, s12
	v_cmp_gt_i32_e32 vcc, s24, v146
	v_pk_mov_b32 v[114:115], s[12:13], s[12:13] op_sel:[0,1]
	s_and_saveexec_b64 s[4:5], vcc
	s_cbranch_execz .LBB36_173
; %bb.172:                              ;   in Loop: Header=BB36_129 Depth=1
	flat_load_dwordx2 v[114:115], v[120:121]
.LBB36_173:                             ;   in Loop: Header=BB36_129 Depth=1
	s_or_b64 exec, exec, s[4:5]
	v_cmp_gt_i32_e32 vcc, s24, v147
	v_pk_mov_b32 v[116:117], s[12:13], s[12:13] op_sel:[0,1]
	s_and_saveexec_b64 s[4:5], vcc
	s_cbranch_execz .LBB36_175
; %bb.174:                              ;   in Loop: Header=BB36_129 Depth=1
	v_add_co_u32_e32 v116, vcc, v62, v32
	v_addc_co_u32_e32 v117, vcc, 0, v61, vcc
	flat_load_dwordx2 v[116:117], v[116:117]
.LBB36_175:                             ;   in Loop: Header=BB36_129 Depth=1
	s_or_b64 exec, exec, s[4:5]
	s_mov_b32 s13, s12
	v_cmp_gt_i32_e32 vcc, s24, v148
	v_pk_mov_b32 v[118:119], s[12:13], s[12:13] op_sel:[0,1]
	s_and_saveexec_b64 s[4:5], vcc
	s_cbranch_execz .LBB36_177
; %bb.176:                              ;   in Loop: Header=BB36_129 Depth=1
	v_add_co_u32_e32 v118, vcc, v60, v32
	v_addc_co_u32_e32 v119, vcc, 0, v59, vcc
	flat_load_dwordx2 v[118:119], v[118:119]
.LBB36_177:                             ;   in Loop: Header=BB36_129 Depth=1
	s_or_b64 exec, exec, s[4:5]
	v_cmp_gt_i32_e64 s[4:5], s24, v149
	s_mov_b32 s13, 0
	s_branch .LBB36_180
.LBB36_178:                             ;   in Loop: Header=BB36_129 Depth=1
	s_mov_b64 s[4:5], 0
                                        ; implicit-def: $sgpr13
                                        ; implicit-def: $vgpr118_vgpr119
                                        ; implicit-def: $vgpr116_vgpr117
                                        ; implicit-def: $vgpr114_vgpr115
	s_cbranch_execz .LBB36_180
; %bb.179:                              ;   in Loop: Header=BB36_129 Depth=1
	s_waitcnt vmcnt(0) lgkmcnt(0)
	v_add_co_u32_e32 v116, vcc, v62, v32
	v_addc_co_u32_e32 v117, vcc, 0, v61, vcc
	v_add_co_u32_e32 v118, vcc, v60, v32
	v_addc_co_u32_e32 v119, vcc, 0, v59, vcc
	flat_load_dwordx2 v[114:115], v[120:121]
	s_or_b64 s[4:5], s[4:5], exec
	flat_load_dwordx2 v[116:117], v[116:117]
                                        ; implicit-def: $sgpr13
	s_nop 0
	flat_load_dwordx2 v[118:119], v[118:119]
.LBB36_180:                             ;   in Loop: Header=BB36_129 Depth=1
	v_mov_b32_e32 v120, s13
	v_mov_b32_e32 v122, s13
	s_and_saveexec_b64 s[8:9], s[4:5]
	s_cbranch_execz .LBB36_182
; %bb.181:                              ;   in Loop: Header=BB36_129 Depth=1
	v_add_co_u32_e32 v120, vcc, v64, v32
	v_addc_co_u32_e32 v121, vcc, 0, v63, vcc
	flat_load_dwordx2 v[120:121], v[120:121]
	s_waitcnt vmcnt(0) lgkmcnt(0)
	v_mov_b32_e32 v122, v121
.LBB36_182:                             ;   in Loop: Header=BB36_129 Depth=1
	s_or_b64 exec, exec, s[8:9]
	v_pk_add_f32 v[24:25], v[24:25], 0 op_sel_hi:[1,0]
	v_pk_add_f32 v[24:25], v[24:25], v[26:27]
	v_pk_add_f32 v[20:21], v[24:25], v[20:21]
	;; [unrolled: 1-line block ×3, first 2 shown]
	ds_read_b64 v[20:21], v133
	v_pk_add_f32 v[16:17], v[16:17], 0 op_sel_hi:[1,0]
	v_pk_add_f32 v[16:17], v[16:17], v[18:19]
	v_pk_add_f32 v[12:13], v[16:17], v[12:13]
	;; [unrolled: 1-line block ×3, first 2 shown]
	s_waitcnt vmcnt(0) lgkmcnt(0)
	v_mul_f32_e32 v12, v115, v21
	v_mul_f32_e32 v13, v115, v20
	;; [unrolled: 1-line block ×4, first 2 shown]
	v_fmac_f32_e32 v12, v114, v20
	v_fma_f32 v13, v114, v21, -v13
	v_fmac_f32_e32 v14, v116, v20
	v_fma_f32 v15, v116, v21, -v15
	ds_write2_b64 v137, v[12:13], v[14:15] offset1:67
	v_mul_f32_e32 v12, v119, v21
	v_mul_f32_e32 v13, v119, v20
	;; [unrolled: 1-line block ×4, first 2 shown]
	v_fmac_f32_e32 v12, v118, v20
	v_fma_f32 v13, v118, v21, -v13
	v_fmac_f32_e32 v14, v120, v20
	v_fma_f32 v15, v120, v21, -v15
	ds_write2_b64 v137, v[12:13], v[14:15] offset0:134 offset1:201
	ds_read_b128 v[16:19], v129 offset:384
	ds_read_b128 v[12:15], v129 offset:400
	s_waitcnt lgkmcnt(0)
	s_barrier
	ds_read2_b64 v[20:23], v127 offset1:1
	v_pk_add_f32 v[4:5], v[4:5], 0 op_sel_hi:[1,0]
	v_pk_add_f32 v[150:151], v[4:5], v[6:7]
	ds_read2_b64 v[4:7], v127 offset0:2 offset1:3
	v_pk_add_f32 v[0:1], v[150:151], v[0:1]
	v_pk_add_f32 v[0:1], v[0:1], v[2:3]
	s_waitcnt lgkmcnt(1)
	v_pk_add_f32 v[2:3], v[20:21], 0 op_sel_hi:[1,0]
	v_cmp_gt_i32_e32 vcc, s24, v65
	v_pk_add_f32 v[2:3], v[2:3], v[22:23]
	s_or_b64 s[4:5], s[14:15], vcc
	s_waitcnt lgkmcnt(0)
	v_pk_add_f32 v[2:3], v[2:3], v[4:5]
	s_and_b64 s[8:9], s[2:3], s[4:5]
	v_pk_add_f32 v[2:3], v[2:3], v[6:7]
	s_barrier
	ds_write2_b64 v130, v[0:1], v[26:27] offset1:16
	ds_write2_b64 v130, v[24:25], v[2:3] offset0:32 offset1:48
	s_waitcnt lgkmcnt(0)
	s_barrier
	s_and_saveexec_b64 s[4:5], s[8:9]
	s_cbranch_execz .LBB36_128
; %bb.183:                              ;   in Loop: Header=BB36_129 Depth=1
	ds_read_b64 v[20:21], v125
	ds_read2_b64 v[0:3], v125 offset0:1 offset1:2
	ds_read2_b64 v[4:7], v125 offset0:3 offset1:4
	v_mov_b32_e32 v25, s28
	s_waitcnt lgkmcnt(1)
	v_add_f32_e32 v0, v0, v20
	v_add_f32_e32 v1, v1, v21
	;; [unrolled: 1-line block ×4, first 2 shown]
	ds_read2_b64 v[0:3], v125 offset0:5 offset1:6
	s_waitcnt lgkmcnt(1)
	v_add_f32_e32 v4, v20, v4
	v_add_f32_e32 v5, v21, v5
	;; [unrolled: 1-line block ×3, first 2 shown]
	v_add_u32_e32 v4, s26, v128
	v_add_f32_e32 v21, v5, v7
	v_ashrrev_i32_e32 v5, 31, v4
	v_lshlrev_b64 v[22:23], 3, v[4:5]
	ds_read2_b64 v[4:7], v125 offset0:7 offset1:8
	v_add_co_u32_e32 v24, vcc, s21, v22
	v_addc_co_u32_e32 v25, vcc, v25, v23, vcc
	s_waitcnt lgkmcnt(1)
	v_pk_add_f32 v[0:1], v[20:21], v[0:1]
	ds_read2_b64 v[20:23], v125 offset0:9 offset1:10
	v_pk_add_f32 v[0:1], v[0:1], v[2:3]
	s_waitcnt lgkmcnt(1)
	v_pk_add_f32 v[0:1], v[0:1], v[4:5]
	v_pk_add_f32 v[4:5], v[0:1], v[6:7]
	ds_read2_b64 v[0:3], v125 offset0:11 offset1:12
	s_waitcnt lgkmcnt(1)
	v_pk_add_f32 v[20:21], v[4:5], v[20:21]
	ds_read2_b64 v[4:7], v125 offset0:13 offset1:14
	v_pk_add_f32 v[20:21], v[20:21], v[22:23]
	ds_read_b64 v[22:23], v126
	s_waitcnt lgkmcnt(2)
	v_pk_add_f32 v[0:1], v[20:21], v[0:1]
	v_pk_add_f32 v[0:1], v[0:1], v[2:3]
	s_waitcnt lgkmcnt(1)
	v_pk_add_f32 v[0:1], v[0:1], v[4:5]
	v_pk_add_f32 v[0:1], v[0:1], v[6:7]
	s_waitcnt lgkmcnt(0)
	v_pk_add_f32 v[0:1], v[0:1], v[22:23]
	global_store_dwordx2 v[24:25], v[0:1], off
	s_branch .LBB36_128
.LBB36_184:
	s_movk_i32 s2, 0x218
	v_cmp_gt_i32_e32 vcc, s20, v65
	v_mad_u32_u24 v0, v109, s2, v32
	s_or_b64 s[2:3], s[22:23], vcc
	s_and_b64 s[0:1], s[0:1], s[2:3]
	ds_write_b64 v0, v[30:31]
	s_waitcnt lgkmcnt(0)
	s_barrier
	s_and_saveexec_b64 s[2:3], s[0:1]
	s_cbranch_execz .LBB36_186
; %bb.185:
	ds_read2_b64 v[0:3], v32 offset1:67
	ds_read2_b64 v[4:7], v32 offset0:134 offset1:201
	v_lshlrev_b64 v[8:9], 3, v[28:29]
	v_mov_b32_e32 v10, s28
	v_add_co_u32_e32 v8, vcc, s21, v8
	s_waitcnt lgkmcnt(1)
	v_pk_add_f32 v[0:1], v[2:3], v[0:1]
	s_waitcnt lgkmcnt(0)
	v_pk_add_f32 v[0:1], v[0:1], v[4:5]
	v_addc_co_u32_e32 v9, vcc, v10, v9, vcc
	v_pk_add_f32 v[0:1], v[0:1], v[6:7]
	global_store_dwordx2 v[8:9], v[0:1], off
.LBB36_186:
	s_endpgm
	.section	.rodata,"a",@progbits
	.p2align	6, 0x0
	.amdhsa_kernel _ZL26rocblas_hemvn_kernel_upperILb1ELi64ELi4ELi33ELi32ELi16El19rocblas_complex_numIfEPKPKS1_PS1_EviT6_lT7_lT5_lS8_lS9_lS7_lT8_i
		.amdhsa_group_segment_fixed_size 9600
		.amdhsa_private_segment_fixed_size 0
		.amdhsa_kernarg_size 376
		.amdhsa_user_sgpr_count 6
		.amdhsa_user_sgpr_private_segment_buffer 1
		.amdhsa_user_sgpr_dispatch_ptr 0
		.amdhsa_user_sgpr_queue_ptr 0
		.amdhsa_user_sgpr_kernarg_segment_ptr 1
		.amdhsa_user_sgpr_dispatch_id 0
		.amdhsa_user_sgpr_flat_scratch_init 0
		.amdhsa_user_sgpr_kernarg_preload_length 0
		.amdhsa_user_sgpr_kernarg_preload_offset 0
		.amdhsa_user_sgpr_private_segment_size 0
		.amdhsa_uses_dynamic_stack 0
		.amdhsa_system_sgpr_private_segment_wavefront_offset 0
		.amdhsa_system_sgpr_workgroup_id_x 1
		.amdhsa_system_sgpr_workgroup_id_y 0
		.amdhsa_system_sgpr_workgroup_id_z 1
		.amdhsa_system_sgpr_workgroup_info 0
		.amdhsa_system_vgpr_workitem_id 1
		.amdhsa_next_free_vgpr 152
		.amdhsa_next_free_sgpr 42
		.amdhsa_accum_offset 152
		.amdhsa_reserve_vcc 1
		.amdhsa_reserve_flat_scratch 0
		.amdhsa_float_round_mode_32 0
		.amdhsa_float_round_mode_16_64 0
		.amdhsa_float_denorm_mode_32 3
		.amdhsa_float_denorm_mode_16_64 3
		.amdhsa_dx10_clamp 1
		.amdhsa_ieee_mode 1
		.amdhsa_fp16_overflow 0
		.amdhsa_tg_split 0
		.amdhsa_exception_fp_ieee_invalid_op 0
		.amdhsa_exception_fp_denorm_src 0
		.amdhsa_exception_fp_ieee_div_zero 0
		.amdhsa_exception_fp_ieee_overflow 0
		.amdhsa_exception_fp_ieee_underflow 0
		.amdhsa_exception_fp_ieee_inexact 0
		.amdhsa_exception_int_div_zero 0
	.end_amdhsa_kernel
	.section	.text._ZL26rocblas_hemvn_kernel_upperILb1ELi64ELi4ELi33ELi32ELi16El19rocblas_complex_numIfEPKPKS1_PS1_EviT6_lT7_lT5_lS8_lS9_lS7_lT8_i,"axG",@progbits,_ZL26rocblas_hemvn_kernel_upperILb1ELi64ELi4ELi33ELi32ELi16El19rocblas_complex_numIfEPKPKS1_PS1_EviT6_lT7_lT5_lS8_lS9_lS7_lT8_i,comdat
.Lfunc_end36:
	.size	_ZL26rocblas_hemvn_kernel_upperILb1ELi64ELi4ELi33ELi32ELi16El19rocblas_complex_numIfEPKPKS1_PS1_EviT6_lT7_lT5_lS8_lS9_lS7_lT8_i, .Lfunc_end36-_ZL26rocblas_hemvn_kernel_upperILb1ELi64ELi4ELi33ELi32ELi16El19rocblas_complex_numIfEPKPKS1_PS1_EviT6_lT7_lT5_lS8_lS9_lS7_lT8_i
                                        ; -- End function
	.section	.AMDGPU.csdata,"",@progbits
; Kernel info:
; codeLenInByte = 9264
; NumSgprs: 46
; NumVgprs: 152
; NumAgprs: 0
; TotalNumVgprs: 152
; ScratchSize: 0
; MemoryBound: 1
; FloatMode: 240
; IeeeMode: 1
; LDSByteSize: 9600 bytes/workgroup (compile time only)
; SGPRBlocks: 5
; VGPRBlocks: 18
; NumSGPRsForWavesPerEU: 46
; NumVGPRsForWavesPerEU: 152
; AccumOffset: 152
; Occupancy: 3
; WaveLimiterHint : 0
; COMPUTE_PGM_RSRC2:SCRATCH_EN: 0
; COMPUTE_PGM_RSRC2:USER_SGPR: 6
; COMPUTE_PGM_RSRC2:TRAP_HANDLER: 0
; COMPUTE_PGM_RSRC2:TGID_X_EN: 1
; COMPUTE_PGM_RSRC2:TGID_Y_EN: 0
; COMPUTE_PGM_RSRC2:TGID_Z_EN: 1
; COMPUTE_PGM_RSRC2:TIDIG_COMP_CNT: 1
; COMPUTE_PGM_RSRC3_GFX90A:ACCUM_OFFSET: 37
; COMPUTE_PGM_RSRC3_GFX90A:TG_SPLIT: 0
	.section	.text._ZL36rocblas_hemvn_kernel_upper_block_sumILi64El19rocblas_complex_numIfEPKPS1_S1_EviT1_lS5_lT2_lT0_lPT3_i,"axG",@progbits,_ZL36rocblas_hemvn_kernel_upper_block_sumILi64El19rocblas_complex_numIfEPKPS1_S1_EviT1_lS5_lT2_lT0_lPT3_i,comdat
	.globl	_ZL36rocblas_hemvn_kernel_upper_block_sumILi64El19rocblas_complex_numIfEPKPS1_S1_EviT1_lS5_lT2_lT0_lPT3_i ; -- Begin function _ZL36rocblas_hemvn_kernel_upper_block_sumILi64El19rocblas_complex_numIfEPKPS1_S1_EviT1_lS5_lT2_lT0_lPT3_i
	.p2align	8
	.type	_ZL36rocblas_hemvn_kernel_upper_block_sumILi64El19rocblas_complex_numIfEPKPS1_S1_EviT1_lS5_lT2_lT0_lPT3_i,@function
_ZL36rocblas_hemvn_kernel_upper_block_sumILi64El19rocblas_complex_numIfEPKPS1_S1_EviT1_lS5_lT2_lT0_lPT3_i: ; @_ZL36rocblas_hemvn_kernel_upper_block_sumILi64El19rocblas_complex_numIfEPKPS1_S1_EviT1_lS5_lT2_lT0_lPT3_i
; %bb.0:
	s_load_dwordx4 s[8:11], s[4:5], 0x0
	s_load_dwordx2 s[12:13], s[4:5], 0x18
	s_mov_b32 s17, 0
	s_waitcnt lgkmcnt(0)
	s_or_b32 s0, s9, s10
	s_bitset0_b32 s0, 31
	s_cmp_eq_u32 s0, 0
	v_cmp_eq_f32_e64 s[0:1], s12, 1.0
	v_cmp_eq_f32_e64 s[2:3], s13, 0
	s_mov_b32 s15, s10
	s_cselect_b64 s[10:11], -1, 0
	s_and_b64 s[0:1], s[0:1], s[2:3]
	s_and_b64 s[0:1], s[10:11], s[0:1]
	s_and_b64 vcc, exec, s[0:1]
	s_cbranch_vccnz .LBB37_17
; %bb.1:
	s_load_dwordx2 s[18:19], s[4:5], 0x28
	s_load_dwordx4 s[0:3], s[4:5], 0x30
	s_mov_b32 s16, s7
	s_lshl_b64 s[20:21], s[16:17], 3
	v_lshl_or_b32 v0, s6, 6, v0
	s_waitcnt lgkmcnt(0)
	s_add_u32 s18, s18, s20
	s_addc_u32 s19, s19, s21
	s_load_dwordx2 s[20:21], s[18:19], 0x0
	s_lshl_b64 s[0:1], s[0:1], 3
	s_mov_b32 s14, s9
	s_mov_b64 s[18:19], -1
	s_waitcnt lgkmcnt(0)
	s_add_u32 s7, s20, s0
	s_addc_u32 s17, s21, s1
	s_andn2_b64 vcc, exec, s[10:11]
	v_cmp_gt_i32_e64 s[0:1], s8, v0
	s_cbranch_vccnz .LBB37_7
; %bb.2:
	s_and_saveexec_b64 s[10:11], s[0:1]
	s_cbranch_execz .LBB37_6
; %bb.3:
	v_ashrrev_i32_e32 v1, 31, v0
	v_cmp_neq_f32_e64 s[0:1], s12, 0
	v_cmp_neq_f32_e64 s[18:19], s13, 0
	v_mul_lo_u32 v4, v0, s3
	v_mul_lo_u32 v1, v1, s2
	v_mad_u64_u32 v[2:3], s[20:21], v0, s2, 0
	v_add3_u32 v3, v3, v4, v1
	s_or_b64 s[0:1], s[0:1], s[18:19]
	s_andn2_b64 vcc, exec, s[0:1]
	v_mov_b32_e32 v4, 0
	v_lshlrev_b64 v[2:3], 3, v[2:3]
	v_mov_b32_e32 v5, 0
	s_cbranch_vccnz .LBB37_5
; %bb.4:
	v_mov_b32_e32 v1, s17
	v_add_co_u32_e32 v4, vcc, s7, v2
	v_addc_co_u32_e32 v5, vcc, v1, v3, vcc
	global_load_dwordx2 v[6:7], v[4:5], off
	s_waitcnt vmcnt(0)
	v_pk_mul_f32 v[8:9], v[6:7], s[12:13] op_sel:[1,0]
	v_pk_fma_f32 v[4:5], v[6:7], s[12:13], v[8:9] op_sel:[0,0,1] op_sel_hi:[1,1,0] neg_lo:[0,0,1] neg_hi:[0,0,1]
	v_pk_fma_f32 v[6:7], v[6:7], s[12:13], v[8:9] op_sel:[0,0,1] op_sel_hi:[0,1,0]
	v_mov_b32_e32 v5, v7
.LBB37_5:
	v_mov_b32_e32 v1, s17
	v_add_co_u32_e32 v2, vcc, s7, v2
	v_addc_co_u32_e32 v3, vcc, v1, v3, vcc
	global_store_dwordx2 v[2:3], v[4:5], off
.LBB37_6:
	s_or_b64 exec, exec, s[10:11]
	s_mov_b64 s[18:19], 0
.LBB37_7:
	s_andn2_b64 vcc, exec, s[18:19]
	s_cbranch_vccnz .LBB37_17
; %bb.8:
	v_cmp_gt_i32_e32 vcc, s8, v0
	s_and_saveexec_b64 s[0:1], vcc
	s_cbranch_execz .LBB37_17
; %bb.9:
	v_mov_b32_e32 v3, 0
	v_ashrrev_i32_e32 v1, 31, v0
	s_cmp_lt_i32 s6, 0
	v_mov_b32_e32 v2, v3
	s_cbranch_scc1 .LBB37_12
; %bb.10:
	s_load_dwordx2 s[0:1], s[4:5], 0x48
	s_load_dword s10, s[4:5], 0x58
	s_ashr_i32 s9, s8, 31
	s_mul_hi_u32 s4, s8, s16
	s_mul_i32 s5, s9, s16
	s_add_i32 s4, s4, s5
	s_mul_i32 s11, s8, s16
	s_waitcnt lgkmcnt(0)
	s_mul_i32 s4, s4, s10
	s_mul_hi_u32 s5, s11, s10
	s_add_i32 s5, s5, s4
	s_mul_i32 s4, s11, s10
	s_lshl_b64 s[4:5], s[4:5], 3
	s_add_u32 s0, s0, s4
	s_addc_u32 s1, s1, s5
	v_lshlrev_b64 v[2:3], 3, v[0:1]
	v_mov_b32_e32 v5, s1
	v_add_co_u32_e32 v4, vcc, s0, v2
	s_lshl_b64 s[0:1], s[8:9], 3
	v_mov_b32_e32 v2, 0
	v_addc_co_u32_e32 v5, vcc, v5, v3, vcc
	s_add_i32 s4, s6, 1
	v_mov_b32_e32 v6, s1
	v_mov_b32_e32 v3, v2
.LBB37_11:                              ; =>This Inner Loop Header: Depth=1
	global_load_dwordx2 v[8:9], v[4:5], off
	s_add_i32 s4, s4, -1
	v_add_co_u32_e32 v4, vcc, s0, v4
	v_addc_co_u32_e32 v5, vcc, v5, v6, vcc
	s_cmp_eq_u32 s4, 0
	s_waitcnt vmcnt(0)
	v_pk_add_f32 v[2:3], v[2:3], v[8:9]
	s_cbranch_scc0 .LBB37_11
.LBB37_12:
	v_cmp_neq_f32_e64 s[0:1], s12, 0
	v_cmp_neq_f32_e64 s[4:5], s13, 0
	s_or_b64 s[0:1], s[0:1], s[4:5]
	v_pk_mul_f32 v[8:9], v[2:3], s[14:15] op_sel:[1,0]
	s_andn2_b64 vcc, exec, s[0:1]
	v_pk_fma_f32 v[4:5], v[2:3], s[14:15], v[8:9] op_sel:[0,0,1] op_sel_hi:[0,1,0]
	v_mul_lo_u32 v1, v1, s2
	v_mul_lo_u32 v10, v0, s3
	s_cbranch_vccz .LBB37_14
; %bb.13:
	v_pk_mul_f32 v[12:13], v[2:3], s[14:15] op_sel_hi:[0,1]
	v_mad_u64_u32 v[6:7], s[0:1], v0, s2, 0
	v_add3_u32 v7, v7, v10, v1
	v_sub_f32_e32 v4, v12, v9
	s_cbranch_execz .LBB37_15
	s_branch .LBB37_16
.LBB37_14:
                                        ; implicit-def: $vgpr6_vgpr7
.LBB37_15:
	v_mad_u64_u32 v[6:7], s[0:1], v0, s2, 0
	v_add3_u32 v7, v7, v10, v1
	v_lshlrev_b64 v[0:1], 3, v[6:7]
	v_mov_b32_e32 v4, s17
	v_add_co_u32_e32 v0, vcc, s7, v0
	v_addc_co_u32_e32 v1, vcc, v4, v1, vcc
	global_load_dwordx2 v[0:1], v[0:1], off
	v_pk_fma_f32 v[2:3], v[2:3], s[14:15], v[8:9] op_sel:[0,0,1] op_sel_hi:[1,1,0] neg_lo:[0,0,1] neg_hi:[0,0,1]
	v_mov_b32_e32 v3, v5
	s_waitcnt vmcnt(0)
	v_pk_mul_f32 v[8:9], v[0:1], s[12:13] op_sel:[1,0]
	v_pk_fma_f32 v[10:11], v[0:1], s[12:13], v[8:9] op_sel:[0,0,1] op_sel_hi:[1,1,0] neg_lo:[0,0,1] neg_hi:[0,0,1]
	v_pk_fma_f32 v[0:1], v[0:1], s[12:13], v[8:9] op_sel:[0,0,1] op_sel_hi:[0,1,0]
	v_mov_b32_e32 v11, v1
	v_pk_add_f32 v[4:5], v[2:3], v[10:11]
.LBB37_16:
	v_lshlrev_b64 v[0:1], 3, v[6:7]
	v_mov_b32_e32 v2, s17
	v_add_co_u32_e32 v0, vcc, s7, v0
	v_addc_co_u32_e32 v1, vcc, v2, v1, vcc
	global_store_dwordx2 v[0:1], v[4:5], off
.LBB37_17:
	s_endpgm
	.section	.rodata,"a",@progbits
	.p2align	6, 0x0
	.amdhsa_kernel _ZL36rocblas_hemvn_kernel_upper_block_sumILi64El19rocblas_complex_numIfEPKPS1_S1_EviT1_lS5_lT2_lT0_lPT3_i
		.amdhsa_group_segment_fixed_size 0
		.amdhsa_private_segment_fixed_size 0
		.amdhsa_kernarg_size 344
		.amdhsa_user_sgpr_count 6
		.amdhsa_user_sgpr_private_segment_buffer 1
		.amdhsa_user_sgpr_dispatch_ptr 0
		.amdhsa_user_sgpr_queue_ptr 0
		.amdhsa_user_sgpr_kernarg_segment_ptr 1
		.amdhsa_user_sgpr_dispatch_id 0
		.amdhsa_user_sgpr_flat_scratch_init 0
		.amdhsa_user_sgpr_kernarg_preload_length 0
		.amdhsa_user_sgpr_kernarg_preload_offset 0
		.amdhsa_user_sgpr_private_segment_size 0
		.amdhsa_uses_dynamic_stack 0
		.amdhsa_system_sgpr_private_segment_wavefront_offset 0
		.amdhsa_system_sgpr_workgroup_id_x 1
		.amdhsa_system_sgpr_workgroup_id_y 0
		.amdhsa_system_sgpr_workgroup_id_z 1
		.amdhsa_system_sgpr_workgroup_info 0
		.amdhsa_system_vgpr_workitem_id 0
		.amdhsa_next_free_vgpr 14
		.amdhsa_next_free_sgpr 22
		.amdhsa_accum_offset 16
		.amdhsa_reserve_vcc 1
		.amdhsa_reserve_flat_scratch 0
		.amdhsa_float_round_mode_32 0
		.amdhsa_float_round_mode_16_64 0
		.amdhsa_float_denorm_mode_32 3
		.amdhsa_float_denorm_mode_16_64 3
		.amdhsa_dx10_clamp 1
		.amdhsa_ieee_mode 1
		.amdhsa_fp16_overflow 0
		.amdhsa_tg_split 0
		.amdhsa_exception_fp_ieee_invalid_op 0
		.amdhsa_exception_fp_denorm_src 0
		.amdhsa_exception_fp_ieee_div_zero 0
		.amdhsa_exception_fp_ieee_overflow 0
		.amdhsa_exception_fp_ieee_underflow 0
		.amdhsa_exception_fp_ieee_inexact 0
		.amdhsa_exception_int_div_zero 0
	.end_amdhsa_kernel
	.section	.text._ZL36rocblas_hemvn_kernel_upper_block_sumILi64El19rocblas_complex_numIfEPKPS1_S1_EviT1_lS5_lT2_lT0_lPT3_i,"axG",@progbits,_ZL36rocblas_hemvn_kernel_upper_block_sumILi64El19rocblas_complex_numIfEPKPS1_S1_EviT1_lS5_lT2_lT0_lPT3_i,comdat
.Lfunc_end37:
	.size	_ZL36rocblas_hemvn_kernel_upper_block_sumILi64El19rocblas_complex_numIfEPKPS1_S1_EviT1_lS5_lT2_lT0_lPT3_i, .Lfunc_end37-_ZL36rocblas_hemvn_kernel_upper_block_sumILi64El19rocblas_complex_numIfEPKPS1_S1_EviT1_lS5_lT2_lT0_lPT3_i
                                        ; -- End function
	.section	.AMDGPU.csdata,"",@progbits
; Kernel info:
; codeLenInByte = 748
; NumSgprs: 26
; NumVgprs: 14
; NumAgprs: 0
; TotalNumVgprs: 14
; ScratchSize: 0
; MemoryBound: 0
; FloatMode: 240
; IeeeMode: 1
; LDSByteSize: 0 bytes/workgroup (compile time only)
; SGPRBlocks: 3
; VGPRBlocks: 1
; NumSGPRsForWavesPerEU: 26
; NumVGPRsForWavesPerEU: 14
; AccumOffset: 16
; Occupancy: 8
; WaveLimiterHint : 1
; COMPUTE_PGM_RSRC2:SCRATCH_EN: 0
; COMPUTE_PGM_RSRC2:USER_SGPR: 6
; COMPUTE_PGM_RSRC2:TRAP_HANDLER: 0
; COMPUTE_PGM_RSRC2:TGID_X_EN: 1
; COMPUTE_PGM_RSRC2:TGID_Y_EN: 0
; COMPUTE_PGM_RSRC2:TGID_Z_EN: 1
; COMPUTE_PGM_RSRC2:TIDIG_COMP_CNT: 0
; COMPUTE_PGM_RSRC3_GFX90A:ACCUM_OFFSET: 3
; COMPUTE_PGM_RSRC3_GFX90A:TG_SPLIT: 0
	.section	.text._ZL26rocblas_hemvn_kernel_upperILb1ELi64ELi4ELi33ELi32ELi16Ei19rocblas_complex_numIfEPKPKS1_PS1_EviT6_lT7_lT5_lS8_lS9_lS7_lT8_i,"axG",@progbits,_ZL26rocblas_hemvn_kernel_upperILb1ELi64ELi4ELi33ELi32ELi16Ei19rocblas_complex_numIfEPKPKS1_PS1_EviT6_lT7_lT5_lS8_lS9_lS7_lT8_i,comdat
	.globl	_ZL26rocblas_hemvn_kernel_upperILb1ELi64ELi4ELi33ELi32ELi16Ei19rocblas_complex_numIfEPKPKS1_PS1_EviT6_lT7_lT5_lS8_lS9_lS7_lT8_i ; -- Begin function _ZL26rocblas_hemvn_kernel_upperILb1ELi64ELi4ELi33ELi32ELi16Ei19rocblas_complex_numIfEPKPKS1_PS1_EviT6_lT7_lT5_lS8_lS9_lS7_lT8_i
	.p2align	8
	.type	_ZL26rocblas_hemvn_kernel_upperILb1ELi64ELi4ELi33ELi32ELi16Ei19rocblas_complex_numIfEPKPKS1_PS1_EviT6_lT7_lT5_lS8_lS9_lS7_lT8_i,@function
_ZL26rocblas_hemvn_kernel_upperILb1ELi64ELi4ELi33ELi32ELi16Ei19rocblas_complex_numIfEPKPKS1_PS1_EviT6_lT7_lT5_lS8_lS9_lS7_lT8_i: ; @_ZL26rocblas_hemvn_kernel_upperILb1ELi64ELi4ELi33ELi32ELi16Ei19rocblas_complex_numIfEPKPKS1_PS1_EviT6_lT7_lT5_lS8_lS9_lS7_lT8_i
; %bb.0:
	s_load_dwordx2 s[0:1], s[4:5], 0x84
	s_add_u32 s8, s4, 0x78
	s_addc_u32 s9, s5, 0
	s_waitcnt lgkmcnt(0)
	s_lshr_b32 s2, s0, 16
	s_and_b32 s0, s0, 0xffff
	s_and_b32 s1, s1, 0xffff
	s_mul_i32 s0, s2, s0
	s_mul_i32 s0, s0, s1
	s_cmpk_lg_i32 s0, 0x100
	s_cbranch_scc1 .LBB38_186
; %bb.1:
	s_load_dwordx2 s[0:1], s[4:5], 0x4
	s_mov_b32 s26, s7
	s_waitcnt lgkmcnt(0)
	s_or_b32 s0, s0, s1
	s_bitset0_b32 s0, 31
	s_cmp_lg_u32 s0, 0
	s_cselect_b64 s[10:11], -1, 0
	s_and_b64 vcc, exec, s[10:11]
	s_cbranch_vccnz .LBB38_4
; %bb.2:
	s_load_dwordx2 s[0:1], s[4:5], 0x58
	s_mov_b64 s[12:13], 0
	s_waitcnt lgkmcnt(0)
	v_cmp_eq_f32_e64 s[2:3], s0, 1.0
	v_cmp_eq_f32_e64 s[0:1], s1, 0
	s_and_b64 s[0:1], s[2:3], s[0:1]
	s_andn2_b64 vcc, exec, s[0:1]
	s_mov_b64 s[0:1], 0
                                        ; implicit-def: $sgpr2_sgpr3
	s_cbranch_vccz .LBB38_5
; %bb.3:
	s_mov_b64 s[0:1], -1
	s_mov_b64 s[2:3], 0
	s_branch .LBB38_5
.LBB38_4:
	s_mov_b64 s[12:13], -1
	s_mov_b64 s[0:1], 0
                                        ; implicit-def: $sgpr2_sgpr3
.LBB38_5:
	s_and_b64 vcc, exec, s[12:13]
	s_cbranch_vccz .LBB38_7
; %bb.6:
	s_load_dwordx4 s[0:3], s[4:5], 0x18
	s_mov_b32 s27, 0
	s_lshl_b64 s[12:13], s[26:27], 3
	s_waitcnt lgkmcnt(0)
	s_add_u32 s0, s0, s12
	s_addc_u32 s1, s1, s13
	s_load_dwordx2 s[0:1], s[0:1], 0x0
	s_lshl_b64 s[2:3], s[2:3], 3
	s_waitcnt lgkmcnt(0)
	s_add_u32 s2, s0, s2
	s_addc_u32 s3, s1, s3
	s_mov_b64 s[0:1], -1
.LBB38_7:
	s_andn2_b64 vcc, exec, s[0:1]
	s_cbranch_vccnz .LBB38_186
; %bb.8:
	v_cndmask_b32_e64 v1, 0, 1, s[10:11]
	v_cmp_ne_u32_e64 s[0:1], 1, v1
	s_andn2_b64 vcc, exec, s[10:11]
	s_mov_b64 s[10:11], 0
	s_cbranch_vccnz .LBB38_10
; %bb.9:
	s_load_dwordx4 s[12:15], s[4:5], 0x38
	s_mov_b32 s27, 0
	s_lshl_b64 s[10:11], s[26:27], 3
	s_waitcnt lgkmcnt(0)
	s_add_u32 s10, s12, s10
	s_addc_u32 s11, s13, s11
	s_load_dwordx2 s[10:11], s[10:11], 0x0
	s_lshl_b64 s[12:13], s[14:15], 3
	s_waitcnt lgkmcnt(0)
	s_add_u32 s10, s10, s12
	s_addc_u32 s11, s11, s13
.LBB38_10:
	s_and_b64 vcc, exec, s[0:1]
	s_cbranch_vccnz .LBB38_186
; %bb.11:
	s_load_dword s7, s[8:9], 0x0
	s_load_dword s40, s[4:5], 0x0
	;; [unrolled: 1-line block ×3, first 2 shown]
	v_and_b32_e32 v30, 0x3ff, v0
	s_lshl_b32 s22, s6, 6
	v_add_u32_e32 v28, s22, v30
	s_waitcnt lgkmcnt(0)
	s_ashr_i32 s41, s40, 31
	s_lshr_b32 s1, s41, 26
	v_bfe_u32 v71, v0, 10, 10
	s_add_i32 s1, s40, s1
	v_mul_lo_u32 v0, v28, s33
	s_andn2_b32 s1, s1, 63
	v_ashrrev_i32_e32 v1, 31, v0
	s_add_i32 s0, s7, -1
	s_sub_i32 s27, s40, s1
	v_lshlrev_b64 v[0:1], 3, v[0:1]
	s_cmp_eq_u32 s6, s0
	v_mov_b32_e32 v2, s11
	v_add_co_u32_e32 v14, vcc, s10, v0
	s_cselect_b32 s18, s27, 0
	v_addc_co_u32_e32 v15, vcc, v2, v1, vcc
	v_cmp_eq_u32_e64 s[0:1], 0, v71
	s_and_saveexec_b64 s[8:9], s[0:1]
	s_cbranch_execz .LBB38_16
; %bb.12:
	s_cmp_lg_u32 s18, 0
	s_cselect_b64 s[10:11], -1, 0
	v_cmp_le_i32_e32 vcc, s18, v30
	v_mov_b32_e32 v0, 0x2380
	s_and_b64 s[10:11], s[10:11], vcc
	v_lshl_add_u32 v0, v30, 3, v0
	s_and_saveexec_b64 s[12:13], s[10:11]
	s_xor_b64 s[10:11], exec, s[12:13]
	s_cbranch_execz .LBB38_14
; %bb.13:
	v_mov_b32_e32 v2, 0
	v_mov_b32_e32 v3, v2
	ds_write_b64 v0, v[2:3]
                                        ; implicit-def: $vgpr0
.LBB38_14:
	s_andn2_saveexec_b64 s[10:11], s[10:11]
	s_cbranch_execz .LBB38_16
; %bb.15:
	flat_load_dwordx2 v[2:3], v[14:15]
	s_waitcnt vmcnt(0) lgkmcnt(0)
	ds_write_b64 v0, v[2:3]
.LBB38_16:
	s_or_b64 exec, exec, s[8:9]
	s_load_dword s24, s[4:5], 0x28
	s_ashr_i32 s23, s22, 31
	v_lshl_add_u32 v22, v71, 6, v30
	s_lshl_b64 s[8:9], s[22:23], 3
	v_and_b32_e32 v0, 31, v30
	v_lshrrev_b32_e32 v1, 5, v22
	s_add_u32 s8, s2, s8
	s_addc_u32 s9, s3, s9
	s_waitcnt lgkmcnt(0)
	v_mad_u64_u32 v[2:3], s[2:3], v1, s24, v[0:1]
	s_mul_i32 s2, s22, s24
	s_ashr_i32 s3, s2, 31
	s_lshl_b64 s[2:3], s[2:3], 3
	s_add_u32 s2, s2, s8
	v_ashrrev_i32_e32 v3, 31, v2
	s_addc_u32 s3, s3, s9
	v_lshlrev_b64 v[12:13], 3, v[2:3]
	s_cmp_eq_u32 s18, 0
	v_mov_b32_e32 v2, s3
	v_add_co_u32_e32 v4, vcc, s2, v12
	s_cselect_b64 s[20:21], -1, 0
	s_cmp_lg_u32 s18, 0
	v_addc_co_u32_e32 v5, vcc, v2, v13, vcc
	s_cselect_b64 s[34:35], -1, 0
	s_and_b64 vcc, exec, s[34:35]
	v_cmp_gt_i32_e64 s[2:3], s18, v0
	v_lshlrev_b32_e32 v10, 3, v0
	s_cbranch_vccz .LBB38_32
; %bb.17:
	v_sub_co_u32_e32 v2, vcc, v4, v10
	s_ashr_i32 s19, s18, 31
	v_subbrev_co_u32_e32 v3, vcc, 0, v5, vcc
	s_lshl_b64 s[8:9], s[18:19], 3
	v_mov_b32_e32 v6, s9
	v_add_co_u32_e32 v2, vcc, s8, v2
	v_addc_co_u32_e32 v3, vcc, v3, v6, vcc
	v_add_co_u32_e32 v2, vcc, -8, v2
	v_addc_co_u32_e32 v3, vcc, -1, v3, vcc
	v_mov_b32_e32 v6, 0
	v_cndmask_b32_e64 v3, v3, v5, s[2:3]
	v_cndmask_b32_e64 v2, v2, v4, s[2:3]
	v_cmp_gt_i32_e32 vcc, s18, v1
	v_mov_b32_e32 v7, v6
	s_and_saveexec_b64 s[10:11], vcc
	s_cbranch_execz .LBB38_19
; %bb.18:
	flat_load_dwordx2 v[6:7], v[2:3]
.LBB38_19:
	s_or_b64 exec, exec, s[10:11]
	v_mul_u32_u24_e32 v8, 33, v1
	v_add_lshl_u32 v8, v8, v0, 3
	s_waitcnt vmcnt(0) lgkmcnt(0)
	ds_write_b64 v8, v[6:7]
	v_add_u32_e32 v6, 8, v1
	v_cmp_le_i32_e32 vcc, s18, v6
	s_and_saveexec_b64 s[10:11], vcc
	s_xor_b64 s[10:11], exec, s[10:11]
	s_cbranch_execz .LBB38_21
; %bb.20:
	v_mul_u32_u24_e32 v6, 33, v6
	v_add_lshl_u32 v9, v6, v0, 3
	v_mov_b32_e32 v6, 0
	v_mov_b32_e32 v7, v6
	ds_write_b64 v9, v[6:7]
.LBB38_21:
	s_andn2_saveexec_b64 s[10:11], s[10:11]
	s_cbranch_execz .LBB38_23
; %bb.22:
	s_lshl_b32 s12, s24, 3
	s_ashr_i32 s13, s12, 31
	s_lshl_b64 s[12:13], s[12:13], 3
	v_mov_b32_e32 v7, s13
	v_add_co_u32_e32 v6, vcc, s12, v2
	v_addc_co_u32_e32 v7, vcc, v3, v7, vcc
	flat_load_dwordx2 v[6:7], v[6:7]
	s_waitcnt vmcnt(0) lgkmcnt(0)
	ds_write_b64 v8, v[6:7] offset:2112
.LBB38_23:
	s_or_b64 exec, exec, s[10:11]
	v_add_u32_e32 v6, 16, v1
	v_cmp_le_i32_e32 vcc, s18, v6
	s_and_saveexec_b64 s[10:11], vcc
	s_xor_b64 s[10:11], exec, s[10:11]
	s_cbranch_execz .LBB38_25
; %bb.24:
	v_mov_b32_e32 v6, 0
	v_mov_b32_e32 v7, v6
	ds_write_b64 v8, v[6:7] offset:4224
.LBB38_25:
	s_andn2_saveexec_b64 s[10:11], s[10:11]
	s_cbranch_execz .LBB38_27
; %bb.26:
	s_lshl_b32 s12, s24, 4
	s_ashr_i32 s13, s12, 31
	s_lshl_b64 s[12:13], s[12:13], 3
	v_mov_b32_e32 v7, s13
	v_add_co_u32_e32 v6, vcc, s12, v2
	v_addc_co_u32_e32 v7, vcc, v3, v7, vcc
	flat_load_dwordx2 v[6:7], v[6:7]
	s_waitcnt vmcnt(0) lgkmcnt(0)
	ds_write_b64 v8, v[6:7] offset:4224
.LBB38_27:
	s_or_b64 exec, exec, s[10:11]
	v_add_u32_e32 v6, 24, v1
	v_cmp_le_i32_e32 vcc, s18, v6
	s_and_saveexec_b64 s[10:11], vcc
	s_xor_b64 s[10:11], exec, s[10:11]
	s_cbranch_execz .LBB38_29
; %bb.28:
	v_mov_b32_e32 v6, 0
	v_mov_b32_e32 v7, v6
	ds_write_b64 v8, v[6:7] offset:6336
                                        ; implicit-def: $vgpr8
.LBB38_29:
	s_andn2_saveexec_b64 s[10:11], s[10:11]
	s_cbranch_execz .LBB38_31
; %bb.30:
	s_mul_i32 s12, s24, 24
	s_ashr_i32 s13, s12, 31
	s_lshl_b64 s[12:13], s[12:13], 3
	v_mov_b32_e32 v7, s13
	v_add_co_u32_e32 v6, vcc, s12, v2
	v_addc_co_u32_e32 v7, vcc, v3, v7, vcc
	flat_load_dwordx2 v[6:7], v[6:7]
	s_waitcnt vmcnt(0) lgkmcnt(0)
	ds_write_b64 v8, v[6:7] offset:6336
.LBB38_31:
	s_or_b64 exec, exec, s[10:11]
	v_add_co_u32_e32 v2, vcc, v2, v10
	v_addc_co_u32_e32 v3, vcc, 0, v3, vcc
	v_mov_b32_e32 v6, s9
	v_subrev_co_u32_e32 v2, vcc, s8, v2
	v_subb_co_u32_e32 v3, vcc, v3, v6, vcc
	v_add_co_u32_e32 v2, vcc, 8, v2
	v_addc_co_u32_e32 v3, vcc, 0, v3, vcc
	v_cndmask_b32_e64 v3, v3, v5, s[2:3]
	v_cndmask_b32_e64 v2, v2, v4, s[2:3]
	v_mul_u32_u24_e32 v11, 33, v1
	s_branch .LBB38_34
.LBB38_32:
                                        ; implicit-def: $vgpr2_vgpr3
	v_mul_u32_u24_e32 v11, 33, v1
	s_cbranch_execz .LBB38_34
; %bb.33:
	flat_load_dwordx2 v[2:3], v[4:5]
	s_lshl_b32 s2, s24, 3
	s_ashr_i32 s3, s2, 31
	s_lshl_b64 s[2:3], s[2:3], 3
	v_add_lshl_u32 v8, v11, v0, 3
	v_mov_b32_e32 v7, s3
	v_add_co_u32_e32 v6, vcc, s2, v4
	v_addc_co_u32_e32 v7, vcc, v5, v7, vcc
	s_ashr_i32 s25, s24, 31
	s_lshl_b64 s[2:3], s[24:25], 6
	v_mov_b32_e32 v9, s3
	s_waitcnt vmcnt(0) lgkmcnt(0)
	ds_write_b64 v8, v[2:3]
	flat_load_dwordx2 v[2:3], v[6:7]
	v_add_co_u32_e32 v6, vcc, s2, v6
	v_addc_co_u32_e32 v7, vcc, v7, v9, vcc
	s_waitcnt vmcnt(0) lgkmcnt(0)
	ds_write_b64 v8, v[2:3] offset:2112
	flat_load_dwordx2 v[2:3], v[6:7]
	v_add_co_u32_e32 v6, vcc, s2, v6
	v_addc_co_u32_e32 v7, vcc, v7, v9, vcc
	s_waitcnt vmcnt(0) lgkmcnt(0)
	ds_write_b64 v8, v[2:3] offset:4224
	flat_load_dwordx2 v[2:3], v[6:7]
	s_waitcnt vmcnt(0) lgkmcnt(0)
	ds_write_b64 v8, v[2:3] offset:6336
	v_pk_mov_b32 v[2:3], v[4:5], v[4:5] op_sel:[0,1]
.LBB38_34:
	v_lshlrev_b32_e32 v21, 2, v1
	v_cmp_le_u32_e64 s[16:17], v21, v0
	s_waitcnt lgkmcnt(0)
	s_barrier
	s_and_saveexec_b64 s[2:3], s[16:17]
	s_xor_b64 s[2:3], exec, s[2:3]
	s_cbranch_execz .LBB38_38
; %bb.35:
	v_cmp_eq_u32_e32 vcc, v21, v0
	s_and_saveexec_b64 s[8:9], vcc
	s_cbranch_execz .LBB38_37
; %bb.36:
	v_mul_u32_u24_e32 v4, 34, v0
	v_lshlrev_b32_e32 v4, 3, v4
	v_mov_b32_e32 v5, 0
	ds_write_b32 v4, v5 offset:4
.LBB38_37:
	s_or_b64 exec, exec, s[8:9]
.LBB38_38:
	s_or_saveexec_b64 s[2:3], s[2:3]
	v_mul_u32_u24_e32 v18, 33, v0
	v_add_lshl_u32 v16, v21, v18, 3
	s_xor_b64 exec, exec, s[2:3]
	s_cbranch_execz .LBB38_40
; %bb.39:
	v_mul_u32_u24_e32 v4, 0x84, v1
	v_add_lshl_u32 v4, v4, v0, 3
	ds_read_b64 v[4:5], v4
	s_waitcnt lgkmcnt(0)
	v_xor_b32_e32 v5, 0x80000000, v5
	ds_write_b64 v16, v[4:5]
.LBB38_40:
	s_or_b64 exec, exec, s[2:3]
	v_or_b32_e32 v17, 1, v21
	v_cmp_ge_u32_e64 s[8:9], v21, v0
	v_mul_u32_u24_e32 v4, 33, v17
	s_and_saveexec_b64 s[2:3], s[8:9]
	s_xor_b64 s[2:3], exec, s[2:3]
	s_cbranch_execz .LBB38_42
; %bb.41:
	v_add_lshl_u32 v5, v4, v0, 3
	ds_read_b64 v[6:7], v5
	s_waitcnt lgkmcnt(0)
	v_xor_b32_e32 v7, 0x80000000, v7
	ds_write_b64 v16, v[6:7] offset:8
.LBB38_42:
	s_andn2_saveexec_b64 s[2:3], s[2:3]
	s_cbranch_execz .LBB38_46
; %bb.43:
	v_cmp_eq_u32_e32 vcc, v17, v0
	s_and_saveexec_b64 s[10:11], vcc
	s_cbranch_execz .LBB38_45
; %bb.44:
	v_mul_u32_u24_e32 v5, 34, v0
	v_lshlrev_b32_e32 v5, 3, v5
	v_mov_b32_e32 v6, 0
	ds_write_b32 v5, v6 offset:4
.LBB38_45:
	s_or_b64 exec, exec, s[10:11]
.LBB38_46:
	s_or_b64 exec, exec, s[2:3]
	v_or_b32_e32 v25, 2, v21
	v_cmp_le_u32_e64 s[10:11], v25, v0
	s_and_saveexec_b64 s[2:3], s[10:11]
	s_xor_b64 s[2:3], exec, s[2:3]
	s_cbranch_execz .LBB38_50
; %bb.47:
	v_cmp_eq_u32_e32 vcc, v25, v0
	s_and_saveexec_b64 s[12:13], vcc
	s_cbranch_execz .LBB38_49
; %bb.48:
	v_mul_u32_u24_e32 v5, 34, v0
	v_lshlrev_b32_e32 v5, 3, v5
	v_mov_b32_e32 v6, 0
	ds_write_b32 v5, v6 offset:4
.LBB38_49:
	s_or_b64 exec, exec, s[12:13]
.LBB38_50:
	s_andn2_saveexec_b64 s[2:3], s[2:3]
	s_cbranch_execz .LBB38_52
; %bb.51:
	v_mul_u32_u24_e32 v5, 33, v25
	v_add_lshl_u32 v5, v5, v0, 3
	ds_read_b64 v[6:7], v5
	s_waitcnt lgkmcnt(0)
	v_xor_b32_e32 v7, 0x80000000, v7
	ds_write_b64 v16, v[6:7] offset:16
.LBB38_52:
	s_or_b64 exec, exec, s[2:3]
	v_or_b32_e32 v26, 3, v21
	v_cmp_le_u32_e64 s[12:13], v26, v0
	s_and_saveexec_b64 s[2:3], s[12:13]
	s_xor_b64 s[2:3], exec, s[2:3]
	s_cbranch_execz .LBB38_56
; %bb.53:
	v_cmp_eq_u32_e32 vcc, v26, v0
	s_and_saveexec_b64 s[14:15], vcc
	s_cbranch_execz .LBB38_55
; %bb.54:
	v_mul_u32_u24_e32 v5, 34, v0
	v_lshlrev_b32_e32 v5, 3, v5
	v_mov_b32_e32 v6, 0
	ds_write_b32 v5, v6 offset:4
.LBB38_55:
	s_or_b64 exec, exec, s[14:15]
.LBB38_56:
	s_andn2_saveexec_b64 s[2:3], s[2:3]
	s_cbranch_execz .LBB38_58
; %bb.57:
	v_mul_u32_u24_e32 v5, 33, v26
	v_add_lshl_u32 v5, v5, v0, 3
	ds_read_b64 v[6:7], v5
	s_waitcnt lgkmcnt(0)
	v_xor_b32_e32 v7, 0x80000000, v7
	ds_write_b64 v16, v[6:7] offset:24
.LBB38_58:
	s_or_b64 exec, exec, s[2:3]
	v_mul_u32_u24_e32 v5, 0x84, v1
	v_lshlrev_b32_e32 v27, 3, v21
	s_waitcnt lgkmcnt(0)
	s_barrier
	v_add_lshl_u32 v20, v5, v0, 3
	v_add_lshl_u32 v19, v4, v0, 3
	ds_read_b128 v[4:7], v27 offset:9088
	ds_read_b64 v[8:9], v20
	ds_read2_b64 v[32:35], v19 offset1:33
	ds_read_b64 v[40:41], v19 offset:528
	ds_read_b128 v[36:39], v27 offset:9104
	s_mov_b32 s14, 0
	s_waitcnt lgkmcnt(3)
	v_pk_mul_f32 v[42:43], v[4:5], v[8:9] op_sel:[0,1]
	v_pk_fma_f32 v[44:45], v[4:5], v[8:9], v[42:43] op_sel:[0,0,1] op_sel_hi:[1,1,0] neg_lo:[0,0,1] neg_hi:[0,0,1]
	v_pk_fma_f32 v[4:5], v[4:5], v[8:9], v[42:43] op_sel:[0,0,1] op_sel_hi:[1,0,0]
	s_waitcnt lgkmcnt(2)
	v_pk_mul_f32 v[8:9], v[6:7], v[32:33] op_sel:[0,1]
	v_pk_fma_f32 v[42:43], v[6:7], v[32:33], v[8:9] op_sel:[0,0,1] op_sel_hi:[1,1,0] neg_lo:[0,0,1] neg_hi:[0,0,1]
	v_pk_fma_f32 v[6:7], v[6:7], v[32:33], v[8:9] op_sel:[0,0,1] op_sel_hi:[1,0,0]
	v_mov_b32_e32 v45, v5
	v_mov_b32_e32 v43, v7
	s_waitcnt lgkmcnt(0)
	v_pk_mul_f32 v[6:7], v[36:37], v[34:35] op_sel:[0,1]
	v_pk_add_f32 v[4:5], v[44:45], 0 op_sel_hi:[1,0]
	v_pk_fma_f32 v[8:9], v[36:37], v[34:35], v[6:7] op_sel:[0,0,1] op_sel_hi:[1,1,0] neg_lo:[0,0,1] neg_hi:[0,0,1]
	v_pk_fma_f32 v[6:7], v[36:37], v[34:35], v[6:7] op_sel:[0,0,1] op_sel_hi:[1,0,0]
	v_pk_add_f32 v[4:5], v[4:5], v[42:43]
	v_mov_b32_e32 v9, v7
	v_pk_mul_f32 v[6:7], v[38:39], v[40:41] op_sel:[0,1]
	v_pk_add_f32 v[4:5], v[4:5], v[8:9]
	v_pk_fma_f32 v[8:9], v[38:39], v[40:41], v[6:7] op_sel:[0,0,1] op_sel_hi:[1,1,0] neg_lo:[0,0,1] neg_hi:[0,0,1]
	v_pk_fma_f32 v[6:7], v[38:39], v[40:41], v[6:7] op_sel:[0,0,1] op_sel_hi:[1,0,0]
	s_mov_b32 s15, s14
	v_mov_b32_e32 v9, v7
	v_add_lshl_u32 v23, v1, v18, 3
	v_pk_add_f32 v[4:5], v[4:5], v[8:9]
	v_cmp_gt_u32_e64 s[2:3], 32, v22
	v_pk_mov_b32 v[32:33], s[14:15], s[14:15] op_sel:[0,1]
	v_lshlrev_b32_e32 v24, 3, v18
	s_barrier
	ds_write_b64 v23, v[4:5]
	s_waitcnt lgkmcnt(0)
	s_barrier
	s_and_saveexec_b64 s[14:15], s[2:3]
	s_cbranch_execz .LBB38_60
; %bb.59:
	ds_read2_b64 v[4:7], v24 offset1:7
	ds_read2_b64 v[32:35], v24 offset0:1 offset1:2
	ds_read2_b64 v[36:39], v24 offset0:3 offset1:4
	s_waitcnt lgkmcnt(1)
	v_add_f32_e32 v4, v32, v4
	v_add_f32_e32 v5, v33, v5
	;; [unrolled: 1-line block ×4, first 2 shown]
	ds_read2_b64 v[32:35], v24 offset0:5 offset1:6
	s_waitcnt lgkmcnt(1)
	v_add_f32_e32 v4, v4, v36
	v_add_f32_e32 v5, v5, v37
	;; [unrolled: 1-line block ×4, first 2 shown]
	s_waitcnt lgkmcnt(0)
	v_add_f32_e32 v4, v4, v32
	v_add_f32_e32 v5, v5, v33
	;; [unrolled: 1-line block ×4, first 2 shown]
	v_pk_add_f32 v[32:33], v[4:5], v[6:7]
.LBB38_60:
	s_or_b64 exec, exec, s[14:15]
	s_lshl_b32 s28, s24, 5
	s_ashr_i32 s29, s28, 31
	s_lshl_b64 s[30:31], s[28:29], 3
	v_mov_b32_e32 v4, s31
	v_add_co_u32_e32 v6, vcc, s30, v2
	v_addc_co_u32_e32 v7, vcc, v3, v4, vcc
	v_add_co_u32_e32 v4, vcc, 0x100, v6
	v_addc_co_u32_e32 v5, vcc, 0, v7, vcc
	s_and_b64 vcc, exec, s[34:35]
	s_barrier
	s_cbranch_vccz .LBB38_76
; %bb.61:
	v_or_b32_e32 v2, 32, v0
	v_lshlrev_b32_e32 v3, 3, v2
	v_sub_co_u32_e32 v3, vcc, v4, v3
	s_ashr_i32 s19, s18, 31
	v_subbrev_co_u32_e32 v8, vcc, 0, v5, vcc
	s_lshl_b64 s[36:37], s[18:19], 3
	v_mov_b32_e32 v9, s37
	v_add_co_u32_e32 v3, vcc, s36, v3
	v_addc_co_u32_e32 v8, vcc, v8, v9, vcc
	v_add_co_u32_e32 v9, vcc, -8, v3
	v_addc_co_u32_e32 v3, vcc, -1, v8, vcc
	v_cmp_gt_i32_e64 s[14:15], s18, v2
	s_sub_i32 s19, s18, 32
	v_mov_b32_e32 v8, 0
	v_cndmask_b32_e64 v3, v3, v5, s[14:15]
	v_cndmask_b32_e64 v2, v9, v4, s[14:15]
	v_cmp_gt_i32_e32 vcc, s19, v1
	v_mov_b32_e32 v9, v8
	s_and_saveexec_b64 s[38:39], vcc
	s_cbranch_execz .LBB38_63
; %bb.62:
	flat_load_dwordx2 v[8:9], v[2:3]
.LBB38_63:
	s_or_b64 exec, exec, s[38:39]
	v_add_lshl_u32 v29, v11, v0, 3
	s_waitcnt vmcnt(0) lgkmcnt(0)
	ds_write_b64 v29, v[8:9]
	v_add_u32_e32 v8, 8, v1
	v_cmp_le_i32_e32 vcc, s19, v8
	s_and_saveexec_b64 s[38:39], vcc
	s_xor_b64 s[38:39], exec, s[38:39]
	s_cbranch_execz .LBB38_65
; %bb.64:
	v_mul_u32_u24_e32 v8, 33, v8
	v_add_lshl_u32 v31, v8, v0, 3
	v_mov_b32_e32 v8, 0
	v_mov_b32_e32 v9, v8
	ds_write_b64 v31, v[8:9]
.LBB38_65:
	s_andn2_saveexec_b64 s[38:39], s[38:39]
	s_cbranch_execz .LBB38_67
; %bb.66:
	s_lshl_b32 s42, s24, 3
	s_ashr_i32 s43, s42, 31
	s_lshl_b64 s[42:43], s[42:43], 3
	v_mov_b32_e32 v9, s43
	v_add_co_u32_e32 v8, vcc, s42, v2
	v_addc_co_u32_e32 v9, vcc, v3, v9, vcc
	flat_load_dwordx2 v[8:9], v[8:9]
	s_waitcnt vmcnt(0) lgkmcnt(0)
	ds_write_b64 v29, v[8:9] offset:2112
.LBB38_67:
	s_or_b64 exec, exec, s[38:39]
	v_add_u32_e32 v8, 16, v1
	v_cmp_le_i32_e32 vcc, s19, v8
	s_and_saveexec_b64 s[38:39], vcc
	s_xor_b64 s[38:39], exec, s[38:39]
	s_cbranch_execz .LBB38_69
; %bb.68:
	v_mul_u32_u24_e32 v8, 33, v8
	v_add_lshl_u32 v31, v8, v0, 3
	v_mov_b32_e32 v8, 0
	v_mov_b32_e32 v9, v8
	ds_write_b64 v31, v[8:9]
.LBB38_69:
	s_andn2_saveexec_b64 s[38:39], s[38:39]
	s_cbranch_execz .LBB38_71
; %bb.70:
	s_lshl_b32 s42, s24, 4
	s_ashr_i32 s43, s42, 31
	s_lshl_b64 s[42:43], s[42:43], 3
	v_mov_b32_e32 v9, s43
	v_add_co_u32_e32 v8, vcc, s42, v2
	v_addc_co_u32_e32 v9, vcc, v3, v9, vcc
	flat_load_dwordx2 v[8:9], v[8:9]
	s_waitcnt vmcnt(0) lgkmcnt(0)
	ds_write_b64 v29, v[8:9] offset:4224
.LBB38_71:
	s_or_b64 exec, exec, s[38:39]
	v_add_u32_e32 v8, 24, v1
	v_cmp_le_i32_e32 vcc, s19, v8
	s_and_saveexec_b64 s[38:39], vcc
	s_xor_b64 s[38:39], exec, s[38:39]
	s_cbranch_execz .LBB38_73
; %bb.72:
	v_mov_b32_e32 v8, 0
	v_mov_b32_e32 v9, v8
	ds_write_b64 v29, v[8:9] offset:6336
                                        ; implicit-def: $vgpr29
.LBB38_73:
	s_andn2_saveexec_b64 s[38:39], s[38:39]
	s_cbranch_execz .LBB38_75
; %bb.74:
	s_mul_i32 s42, s24, 24
	s_ashr_i32 s43, s42, 31
	s_lshl_b64 s[42:43], s[42:43], 3
	v_mov_b32_e32 v9, s43
	v_add_co_u32_e32 v8, vcc, s42, v2
	v_addc_co_u32_e32 v9, vcc, v3, v9, vcc
	flat_load_dwordx2 v[8:9], v[8:9]
	s_waitcnt vmcnt(0) lgkmcnt(0)
	ds_write_b64 v29, v[8:9] offset:6336
.LBB38_75:
	s_or_b64 exec, exec, s[38:39]
	v_add_co_u32_e32 v2, vcc, v2, v10
	v_addc_co_u32_e32 v3, vcc, 0, v3, vcc
	v_mov_b32_e32 v8, s37
	v_subrev_co_u32_e32 v2, vcc, s36, v2
	v_subb_co_u32_e32 v3, vcc, v3, v8, vcc
	v_add_co_u32_e32 v2, vcc, 0x108, v2
	v_addc_co_u32_e32 v3, vcc, 0, v3, vcc
	v_cndmask_b32_e64 v3, v3, v5, s[14:15]
	v_cndmask_b32_e64 v2, v2, v4, s[14:15]
	s_branch .LBB38_78
.LBB38_76:
                                        ; implicit-def: $vgpr2_vgpr3
	s_cbranch_execz .LBB38_78
; %bb.77:
	flat_load_dwordx2 v[2:3], v[6:7] offset:256
	s_lshl_b32 s14, s24, 3
	s_ashr_i32 s15, s14, 31
	s_lshl_b64 s[14:15], s[14:15], 3
	v_add_lshl_u32 v8, v11, v0, 3
	v_mov_b32_e32 v9, s15
	v_add_co_u32_e32 v6, vcc, s14, v6
	v_addc_co_u32_e32 v7, vcc, v7, v9, vcc
	s_ashr_i32 s25, s24, 31
	s_lshl_b64 s[14:15], s[24:25], 6
	v_mov_b32_e32 v9, s15
	s_waitcnt vmcnt(0) lgkmcnt(0)
	ds_write_b64 v8, v[2:3]
	flat_load_dwordx2 v[2:3], v[6:7] offset:256
	v_add_co_u32_e32 v6, vcc, s14, v6
	v_addc_co_u32_e32 v7, vcc, v7, v9, vcc
	s_waitcnt vmcnt(0) lgkmcnt(0)
	ds_write_b64 v8, v[2:3] offset:2112
	flat_load_dwordx2 v[2:3], v[6:7] offset:256
	v_add_co_u32_e32 v6, vcc, s14, v6
	v_addc_co_u32_e32 v7, vcc, v7, v9, vcc
	s_waitcnt vmcnt(0) lgkmcnt(0)
	ds_write_b64 v8, v[2:3] offset:4224
	flat_load_dwordx2 v[2:3], v[6:7] offset:256
	s_waitcnt vmcnt(0) lgkmcnt(0)
	ds_write_b64 v8, v[2:3] offset:6336
	v_pk_mov_b32 v[2:3], v[4:5], v[4:5] op_sel:[0,1]
.LBB38_78:
	s_waitcnt lgkmcnt(0)
	s_barrier
	s_and_saveexec_b64 s[14:15], s[16:17]
	s_xor_b64 s[14:15], exec, s[14:15]
	s_cbranch_execnz .LBB38_105
; %bb.79:
	s_andn2_saveexec_b64 s[14:15], s[14:15]
	s_cbranch_execnz .LBB38_108
.LBB38_80:
	s_or_b64 exec, exec, s[14:15]
	s_and_saveexec_b64 s[14:15], s[8:9]
	s_xor_b64 s[8:9], exec, s[14:15]
	s_cbranch_execnz .LBB38_109
.LBB38_81:
	s_andn2_saveexec_b64 s[8:9], s[8:9]
	s_cbranch_execnz .LBB38_110
.LBB38_82:
	s_or_b64 exec, exec, s[8:9]
	s_and_saveexec_b64 s[8:9], s[10:11]
	s_xor_b64 s[8:9], exec, s[8:9]
	s_cbranch_execnz .LBB38_113
.LBB38_83:
	s_andn2_saveexec_b64 s[8:9], s[8:9]
	s_cbranch_execnz .LBB38_116
.LBB38_84:
	s_or_b64 exec, exec, s[8:9]
	s_and_saveexec_b64 s[8:9], s[12:13]
	s_xor_b64 s[8:9], exec, s[8:9]
	s_cbranch_execnz .LBB38_117
.LBB38_85:
	s_or_saveexec_b64 s[8:9], s[8:9]
	v_add_u32_e32 v25, 0x2380, v27
	s_xor_b64 exec, exec, s[8:9]
	s_cbranch_execz .LBB38_87
.LBB38_86:
	ds_read_b64 v[4:5], v19 offset:528
	s_waitcnt lgkmcnt(0)
	v_xor_b32_e32 v5, 0x80000000, v5
	ds_write_b64 v16, v[4:5] offset:24
.LBB38_87:
	s_or_b64 exec, exec, s[8:9]
	s_waitcnt lgkmcnt(0)
	s_barrier
	ds_read_b64 v[8:9], v20
	ds_read_b128 v[4:7], v25 offset:256
	ds_read2_b64 v[34:37], v19 offset1:33
	ds_read_b64 v[16:17], v19 offset:528
	ds_read_b128 v[38:41], v25 offset:272
	v_cmp_eq_u32_e64 s[8:9], 1, v1
	s_waitcnt lgkmcnt(3)
	v_pk_mul_f32 v[26:27], v[4:5], v[8:9] op_sel:[0,1]
	v_pk_fma_f32 v[42:43], v[4:5], v[8:9], v[26:27] op_sel:[0,0,1] op_sel_hi:[1,1,0] neg_lo:[0,0,1] neg_hi:[0,0,1]
	v_pk_fma_f32 v[4:5], v[4:5], v[8:9], v[26:27] op_sel:[0,0,1] op_sel_hi:[1,0,0]
	s_waitcnt lgkmcnt(2)
	v_pk_mul_f32 v[8:9], v[6:7], v[34:35] op_sel:[0,1]
	v_pk_fma_f32 v[26:27], v[6:7], v[34:35], v[8:9] op_sel:[0,0,1] op_sel_hi:[1,1,0] neg_lo:[0,0,1] neg_hi:[0,0,1]
	v_pk_fma_f32 v[6:7], v[6:7], v[34:35], v[8:9] op_sel:[0,0,1] op_sel_hi:[1,0,0]
	v_mov_b32_e32 v43, v5
	v_mov_b32_e32 v27, v7
	s_waitcnt lgkmcnt(0)
	v_pk_mul_f32 v[6:7], v[38:39], v[36:37] op_sel:[0,1]
	v_pk_add_f32 v[4:5], v[42:43], 0 op_sel_hi:[1,0]
	v_pk_fma_f32 v[8:9], v[38:39], v[36:37], v[6:7] op_sel:[0,0,1] op_sel_hi:[1,1,0] neg_lo:[0,0,1] neg_hi:[0,0,1]
	v_pk_fma_f32 v[6:7], v[38:39], v[36:37], v[6:7] op_sel:[0,0,1] op_sel_hi:[1,0,0]
	v_pk_add_f32 v[4:5], v[4:5], v[26:27]
	v_mov_b32_e32 v9, v7
	v_pk_mul_f32 v[6:7], v[40:41], v[16:17] op_sel:[0,1]
	v_pk_add_f32 v[4:5], v[4:5], v[8:9]
	v_pk_fma_f32 v[8:9], v[40:41], v[16:17], v[6:7] op_sel:[0,0,1] op_sel_hi:[1,1,0] neg_lo:[0,0,1] neg_hi:[0,0,1]
	v_pk_fma_f32 v[6:7], v[40:41], v[16:17], v[6:7] op_sel:[0,0,1] op_sel_hi:[1,0,0]
	v_mov_b32_e32 v9, v7
	v_pk_add_f32 v[4:5], v[4:5], v[8:9]
	s_barrier
	ds_write_b64 v23, v[4:5]
	s_waitcnt lgkmcnt(0)
	s_barrier
	s_and_saveexec_b64 s[10:11], s[8:9]
	s_cbranch_execz .LBB38_89
; %bb.88:
	ds_read2_b64 v[4:7], v24 offset1:7
	ds_read2_b64 v[32:35], v24 offset0:1 offset1:2
	ds_read2_b64 v[36:39], v24 offset0:3 offset1:4
	s_waitcnt lgkmcnt(1)
	v_add_f32_e32 v4, v32, v4
	v_add_f32_e32 v5, v33, v5
	;; [unrolled: 1-line block ×4, first 2 shown]
	ds_read2_b64 v[32:35], v24 offset0:5 offset1:6
	s_waitcnt lgkmcnt(1)
	v_add_f32_e32 v4, v4, v36
	v_add_f32_e32 v5, v5, v37
	;; [unrolled: 1-line block ×4, first 2 shown]
	s_waitcnt lgkmcnt(0)
	v_add_f32_e32 v4, v4, v32
	v_add_f32_e32 v5, v5, v33
	v_pk_add_f32 v[4:5], v[4:5], v[34:35]
	v_pk_add_f32 v[32:33], v[4:5], v[6:7]
.LBB38_89:
	s_or_b64 exec, exec, s[10:11]
	v_add_co_u32_e32 v2, vcc, 0xffffff00, v2
	v_addc_co_u32_e32 v3, vcc, -1, v3, vcc
	s_and_b64 vcc, exec, s[34:35]
	s_barrier
	s_cbranch_vccz .LBB38_120
; %bb.90:
	v_sub_co_u32_e32 v4, vcc, v2, v10
	s_ashr_i32 s19, s18, 31
	v_subbrev_co_u32_e32 v5, vcc, 0, v3, vcc
	s_lshl_b64 s[12:13], s[18:19], 3
	v_mov_b32_e32 v6, s13
	v_add_co_u32_e32 v4, vcc, s12, v4
	v_addc_co_u32_e32 v5, vcc, v5, v6, vcc
	v_add_co_u32_e32 v4, vcc, -8, v4
	v_addc_co_u32_e32 v5, vcc, -1, v5, vcc
	v_cmp_gt_i32_e32 vcc, s18, v0
	s_sub_i32 s16, s18, 32
	v_mov_b32_e32 v6, 0
	v_cndmask_b32_e32 v5, v5, v3, vcc
	v_cndmask_b32_e32 v4, v4, v2, vcc
	v_cmp_gt_i32_e64 s[10:11], s16, v1
	v_mov_b32_e32 v7, v6
	s_and_saveexec_b64 s[14:15], s[10:11]
	s_cbranch_execz .LBB38_92
; %bb.91:
	flat_load_dwordx2 v[6:7], v[4:5]
.LBB38_92:
	s_or_b64 exec, exec, s[14:15]
	v_add_lshl_u32 v8, v11, v0, 3
	s_waitcnt vmcnt(0) lgkmcnt(0)
	ds_write_b64 v8, v[6:7]
	v_add_u32_e32 v6, 8, v1
	v_cmp_le_i32_e64 s[10:11], s16, v6
	s_and_saveexec_b64 s[14:15], s[10:11]
	s_xor_b64 s[10:11], exec, s[14:15]
	s_cbranch_execz .LBB38_94
; %bb.93:
	v_mul_u32_u24_e32 v7, 33, v6
	v_mov_b32_e32 v16, 0
	v_add_lshl_u32 v7, v7, v0, 3
	v_mov_b32_e32 v17, v16
	ds_write_b64 v7, v[16:17]
.LBB38_94:
	s_andn2_saveexec_b64 s[14:15], s[10:11]
	s_cbranch_execz .LBB38_96
; %bb.95:
	s_lshl_b32 s10, s24, 3
	s_ashr_i32 s11, s10, 31
	s_lshl_b64 s[10:11], s[10:11], 3
	v_mov_b32_e32 v7, s11
	v_add_co_u32_e64 v16, s[10:11], s10, v4
	v_addc_co_u32_e64 v17, s[10:11], v5, v7, s[10:11]
	flat_load_dwordx2 v[16:17], v[16:17]
	s_waitcnt vmcnt(0) lgkmcnt(0)
	ds_write_b64 v8, v[16:17] offset:2112
.LBB38_96:
	s_or_b64 exec, exec, s[14:15]
	v_add_u32_e32 v7, 16, v1
	v_cmp_le_i32_e64 s[10:11], s16, v7
	s_and_saveexec_b64 s[14:15], s[10:11]
	s_xor_b64 s[10:11], exec, s[14:15]
	s_cbranch_execz .LBB38_98
; %bb.97:
	v_mov_b32_e32 v16, 0
	v_mov_b32_e32 v17, v16
	ds_write_b64 v8, v[16:17] offset:4224
.LBB38_98:
	s_andn2_saveexec_b64 s[14:15], s[10:11]
	s_cbranch_execz .LBB38_100
; %bb.99:
	s_lshl_b32 s10, s24, 4
	s_ashr_i32 s11, s10, 31
	s_lshl_b64 s[10:11], s[10:11], 3
	v_mov_b32_e32 v9, s11
	v_add_co_u32_e64 v16, s[10:11], s10, v4
	v_addc_co_u32_e64 v17, s[10:11], v5, v9, s[10:11]
	flat_load_dwordx2 v[16:17], v[16:17]
	s_waitcnt vmcnt(0) lgkmcnt(0)
	ds_write_b64 v8, v[16:17] offset:4224
.LBB38_100:
	s_or_b64 exec, exec, s[14:15]
	v_add_u32_e32 v9, 24, v1
	v_cmp_le_i32_e64 s[10:11], s16, v9
	s_and_saveexec_b64 s[14:15], s[10:11]
	s_xor_b64 s[10:11], exec, s[14:15]
	s_cbranch_execz .LBB38_102
; %bb.101:
	v_mov_b32_e32 v16, 0
	v_mov_b32_e32 v17, v16
	ds_write_b64 v8, v[16:17] offset:6336
                                        ; implicit-def: $vgpr8
.LBB38_102:
	s_andn2_saveexec_b64 s[14:15], s[10:11]
	s_cbranch_execz .LBB38_104
; %bb.103:
	s_mul_i32 s10, s24, 24
	s_ashr_i32 s11, s10, 31
	s_lshl_b64 s[10:11], s[10:11], 3
	v_mov_b32_e32 v17, s11
	v_add_co_u32_e64 v16, s[10:11], s10, v4
	v_addc_co_u32_e64 v17, s[10:11], v5, v17, s[10:11]
	flat_load_dwordx2 v[16:17], v[16:17]
	s_waitcnt vmcnt(0) lgkmcnt(0)
	ds_write_b64 v8, v[16:17] offset:6336
.LBB38_104:
	s_or_b64 exec, exec, s[14:15]
	v_add_co_u32_e64 v4, s[10:11], v4, v10
	v_addc_co_u32_e64 v5, s[10:11], 0, v5, s[10:11]
	v_mov_b32_e32 v8, s13
	v_subrev_co_u32_e64 v4, s[10:11], s12, v4
	v_subb_co_u32_e64 v5, s[10:11], v5, v8, s[10:11]
	v_add_co_u32_e64 v4, s[10:11], 8, v4
	v_addc_co_u32_e64 v5, s[10:11], 0, v5, s[10:11]
	v_cndmask_b32_e32 v17, v5, v3, vcc
	v_cndmask_b32_e32 v16, v4, v2, vcc
	s_branch .LBB38_122
.LBB38_105:
	v_cmp_eq_u32_e32 vcc, v21, v0
	s_and_saveexec_b64 s[16:17], vcc
	s_cbranch_execz .LBB38_107
; %bb.106:
	v_mul_u32_u24_e32 v4, 34, v0
	v_lshlrev_b32_e32 v4, 3, v4
	v_mov_b32_e32 v5, 0
	ds_write_b32 v4, v5 offset:4
.LBB38_107:
	s_or_b64 exec, exec, s[16:17]
	s_andn2_saveexec_b64 s[14:15], s[14:15]
	s_cbranch_execz .LBB38_80
.LBB38_108:
	ds_read_b64 v[4:5], v20
	s_waitcnt lgkmcnt(0)
	v_xor_b32_e32 v5, 0x80000000, v5
	ds_write_b64 v16, v[4:5]
	s_or_b64 exec, exec, s[14:15]
	s_and_saveexec_b64 s[14:15], s[8:9]
	s_xor_b64 s[8:9], exec, s[14:15]
	s_cbranch_execz .LBB38_81
.LBB38_109:
	ds_read_b64 v[4:5], v19
                                        ; implicit-def: $vgpr17
	s_waitcnt lgkmcnt(0)
	v_xor_b32_e32 v5, 0x80000000, v5
	ds_write_b64 v16, v[4:5] offset:8
	s_andn2_saveexec_b64 s[8:9], s[8:9]
	s_cbranch_execz .LBB38_82
.LBB38_110:
	v_cmp_eq_u32_e32 vcc, v17, v0
	s_and_saveexec_b64 s[14:15], vcc
	s_cbranch_execz .LBB38_112
; %bb.111:
	v_mul_u32_u24_e32 v4, 34, v0
	v_lshlrev_b32_e32 v4, 3, v4
	v_mov_b32_e32 v5, 0
	ds_write_b32 v4, v5 offset:4
.LBB38_112:
	s_or_b64 exec, exec, s[14:15]
	s_or_b64 exec, exec, s[8:9]
	s_and_saveexec_b64 s[8:9], s[10:11]
	s_xor_b64 s[8:9], exec, s[8:9]
	s_cbranch_execz .LBB38_83
.LBB38_113:
	v_cmp_eq_u32_e32 vcc, v25, v0
	s_and_saveexec_b64 s[10:11], vcc
	s_cbranch_execz .LBB38_115
; %bb.114:
	v_mul_u32_u24_e32 v4, 34, v0
	v_lshlrev_b32_e32 v4, 3, v4
	v_mov_b32_e32 v5, 0
	ds_write_b32 v4, v5 offset:4
.LBB38_115:
	s_or_b64 exec, exec, s[10:11]
	s_andn2_saveexec_b64 s[8:9], s[8:9]
	s_cbranch_execz .LBB38_84
.LBB38_116:
	ds_read_b64 v[4:5], v19 offset:264
	s_waitcnt lgkmcnt(0)
	v_xor_b32_e32 v5, 0x80000000, v5
	ds_write_b64 v16, v[4:5] offset:16
	s_or_b64 exec, exec, s[8:9]
	s_and_saveexec_b64 s[8:9], s[12:13]
	s_xor_b64 s[8:9], exec, s[8:9]
	s_cbranch_execz .LBB38_85
.LBB38_117:
	v_cmp_eq_u32_e32 vcc, v26, v0
	s_and_saveexec_b64 s[10:11], vcc
	s_cbranch_execz .LBB38_119
; %bb.118:
	v_mul_u32_u24_e32 v4, 34, v0
	v_lshlrev_b32_e32 v4, 3, v4
	v_mov_b32_e32 v5, 0
	ds_write_b32 v4, v5 offset:4
.LBB38_119:
	s_or_b64 exec, exec, s[10:11]
                                        ; implicit-def: $vgpr16
	s_or_saveexec_b64 s[8:9], s[8:9]
	v_add_u32_e32 v25, 0x2380, v27
	s_xor_b64 exec, exec, s[8:9]
	s_cbranch_execnz .LBB38_86
	s_branch .LBB38_87
.LBB38_120:
                                        ; implicit-def: $vgpr16_vgpr17
                                        ; implicit-def: $vgpr6
                                        ; implicit-def: $vgpr7
                                        ; implicit-def: $vgpr9
	s_cbranch_execz .LBB38_122
; %bb.121:
	flat_load_dwordx2 v[4:5], v[2:3]
	s_lshl_b32 s10, s24, 3
	s_ashr_i32 s11, s10, 31
	s_lshl_b64 s[10:11], s[10:11], 3
	v_add_lshl_u32 v0, v11, v0, 3
	v_mov_b32_e32 v7, s11
	v_add_co_u32_e32 v6, vcc, s10, v2
	v_addc_co_u32_e32 v7, vcc, v3, v7, vcc
	s_ashr_i32 s25, s24, 31
	s_lshl_b64 s[10:11], s[24:25], 6
	v_mov_b32_e32 v8, s11
	v_add_u32_e32 v9, 24, v1
	v_pk_mov_b32 v[16:17], v[2:3], v[2:3] op_sel:[0,1]
	s_waitcnt vmcnt(0) lgkmcnt(0)
	ds_write_b64 v0, v[4:5]
	flat_load_dwordx2 v[4:5], v[6:7]
	v_add_co_u32_e32 v6, vcc, s10, v6
	v_addc_co_u32_e32 v7, vcc, v7, v8, vcc
	s_waitcnt vmcnt(0) lgkmcnt(0)
	ds_write_b64 v0, v[4:5] offset:2112
	flat_load_dwordx2 v[4:5], v[6:7]
	v_add_co_u32_e32 v6, vcc, s10, v6
	v_addc_co_u32_e32 v7, vcc, v7, v8, vcc
	s_waitcnt vmcnt(0) lgkmcnt(0)
	ds_write_b64 v0, v[4:5] offset:4224
	flat_load_dwordx2 v[4:5], v[6:7]
	v_add_u32_e32 v6, 8, v1
	v_add_u32_e32 v7, 16, v1
	s_waitcnt vmcnt(0) lgkmcnt(0)
	ds_write_b64 v0, v[4:5] offset:6336
.LBB38_122:
	s_waitcnt lgkmcnt(0)
	s_barrier
	ds_read_b64 v[26:27], v23
	v_add_lshl_u32 v0, v7, v18, 3
	ds_read_b64 v[34:35], v0
	v_lshlrev_b32_e32 v4, 3, v1
	v_add_lshl_u32 v5, v6, v18, 3
	v_lshlrev_b32_e32 v6, 3, v6
	v_lshlrev_b32_e32 v7, 3, v7
	v_add_lshl_u32 v18, v9, v18, 3
	v_lshlrev_b32_e32 v29, 3, v9
	ds_read2_b64 v[0:3], v19 offset1:33
	ds_read_b64 v[20:21], v20
	ds_read_b128 v[8:11], v25 offset:256
	ds_read_b64 v[36:37], v6 offset:9088
	ds_read_b64 v[38:39], v5
	ds_read_b64 v[40:41], v4 offset:9088
	ds_read_b64 v[42:43], v29 offset:9088
	ds_read_b64 v[44:45], v18
	ds_read_b64 v[46:47], v7 offset:9088
	ds_read_b64 v[18:19], v19 offset:528
	ds_read_b128 v[4:7], v25 offset:272
	s_waitcnt lgkmcnt(5)
	v_pk_mul_f32 v[48:49], v[26:27], v[40:41] op_sel:[1,0]
	v_pk_mul_f32 v[50:51], v[38:39], v[36:37] op_sel:[1,0]
	v_pk_fma_f32 v[56:57], v[26:27], v[40:41], v[48:49] op_sel:[0,0,1] op_sel_hi:[1,1,0]
	v_pk_fma_f32 v[26:27], v[26:27], v[40:41], v[48:49] op_sel:[0,0,1] op_sel_hi:[0,1,0] neg_lo:[0,0,1] neg_hi:[0,0,1]
	s_waitcnt lgkmcnt(2)
	v_pk_mul_f32 v[52:53], v[34:35], v[46:47] op_sel:[1,0]
	v_mov_b32_e32 v57, v27
	v_pk_fma_f32 v[40:41], v[38:39], v[36:37], v[50:51] op_sel:[0,0,1] op_sel_hi:[1,1,0]
	v_pk_fma_f32 v[36:37], v[38:39], v[36:37], v[50:51] op_sel:[0,0,1] op_sel_hi:[0,1,0] neg_lo:[0,0,1] neg_hi:[0,0,1]
	v_pk_add_f32 v[26:27], v[56:57], 0 op_sel_hi:[1,0]
	v_mov_b32_e32 v41, v37
	v_pk_fma_f32 v[36:37], v[34:35], v[46:47], v[52:53] op_sel:[0,0,1] op_sel_hi:[1,1,0]
	v_pk_fma_f32 v[34:35], v[34:35], v[46:47], v[52:53] op_sel:[0,0,1] op_sel_hi:[0,1,0] neg_lo:[0,0,1] neg_hi:[0,0,1]
	v_pk_mul_f32 v[54:55], v[44:45], v[42:43] op_sel:[1,0]
	v_pk_add_f32 v[26:27], v[26:27], v[40:41]
	v_mov_b32_e32 v37, v35
	v_pk_add_f32 v[26:27], v[26:27], v[36:37]
	v_pk_fma_f32 v[34:35], v[44:45], v[42:43], v[54:55] op_sel:[0,0,1] op_sel_hi:[1,1,0]
	v_pk_fma_f32 v[36:37], v[44:45], v[42:43], v[54:55] op_sel:[0,0,1] op_sel_hi:[0,1,0] neg_lo:[0,0,1] neg_hi:[0,0,1]
	v_mov_b32_e32 v35, v37
	v_pk_add_f32 v[26:27], v[26:27], v[34:35]
	s_waitcnt lgkmcnt(0)
	s_barrier
	ds_write_b64 v23, v[26:27]
	s_waitcnt lgkmcnt(0)
	s_barrier
	s_and_saveexec_b64 s[10:11], s[8:9]
	s_cbranch_execz .LBB38_124
; %bb.123:
	ds_read2_b64 v[34:37], v24 offset1:1
	ds_read2_b64 v[38:41], v24 offset0:2 offset1:3
	ds_read2_b64 v[42:45], v24 offset0:6 offset1:7
	s_waitcnt lgkmcnt(2)
	v_pk_add_f32 v[26:27], v[32:33], v[34:35]
	ds_read2_b64 v[32:35], v24 offset0:4 offset1:5
	v_pk_add_f32 v[26:27], v[26:27], v[36:37]
	s_waitcnt lgkmcnt(2)
	v_pk_add_f32 v[26:27], v[26:27], v[38:39]
	v_pk_add_f32 v[26:27], v[26:27], v[40:41]
	s_waitcnt lgkmcnt(0)
	v_pk_add_f32 v[26:27], v[26:27], v[32:33]
	v_pk_add_f32 v[26:27], v[26:27], v[34:35]
	;; [unrolled: 1-line block ×4, first 2 shown]
.LBB38_124:
	s_or_b64 exec, exec, s[10:11]
	v_pk_mul_f32 v[26:27], v[8:9], v[20:21] op_sel:[0,1]
	v_pk_fma_f32 v[34:35], v[8:9], v[20:21], v[26:27] op_sel:[0,0,1] op_sel_hi:[1,1,0] neg_lo:[0,0,1] neg_hi:[0,0,1]
	v_pk_fma_f32 v[8:9], v[8:9], v[20:21], v[26:27] op_sel:[0,0,1] op_sel_hi:[1,0,0]
	v_pk_mul_f32 v[20:21], v[10:11], v[0:1] op_sel:[0,1]
	v_mov_b32_e32 v35, v9
	v_pk_fma_f32 v[26:27], v[10:11], v[0:1], v[20:21] op_sel:[0,0,1] op_sel_hi:[1,1,0] neg_lo:[0,0,1] neg_hi:[0,0,1]
	v_pk_fma_f32 v[0:1], v[10:11], v[0:1], v[20:21] op_sel:[0,0,1] op_sel_hi:[1,0,0]
	v_pk_add_f32 v[8:9], v[34:35], 0 op_sel_hi:[1,0]
	v_mov_b32_e32 v27, v1
	v_pk_add_f32 v[0:1], v[8:9], v[26:27]
	v_pk_mul_f32 v[8:9], v[4:5], v[2:3] op_sel:[0,1]
	v_pk_fma_f32 v[10:11], v[4:5], v[2:3], v[8:9] op_sel:[0,0,1] op_sel_hi:[1,1,0] neg_lo:[0,0,1] neg_hi:[0,0,1]
	v_pk_fma_f32 v[2:3], v[4:5], v[2:3], v[8:9] op_sel:[0,0,1] op_sel_hi:[1,0,0]
	v_mov_b32_e32 v11, v3
	v_pk_mul_f32 v[2:3], v[6:7], v[18:19] op_sel:[0,1]
	v_pk_fma_f32 v[4:5], v[6:7], v[18:19], v[2:3] op_sel:[0,0,1] op_sel_hi:[1,1,0] neg_lo:[0,0,1] neg_hi:[0,0,1]
	v_pk_fma_f32 v[2:3], v[6:7], v[18:19], v[2:3] op_sel:[0,0,1] op_sel_hi:[1,0,0]
	v_pk_add_f32 v[0:1], v[0:1], v[10:11]
	v_mov_b32_e32 v5, v3
	v_pk_add_f32 v[0:1], v[0:1], v[4:5]
	s_barrier
	ds_write_b64 v23, v[0:1]
	s_waitcnt lgkmcnt(0)
	s_barrier
	s_and_saveexec_b64 s[8:9], s[2:3]
	s_cbranch_execz .LBB38_126
; %bb.125:
	ds_read2_b64 v[0:3], v24 offset1:1
	ds_read2_b64 v[4:7], v24 offset0:2 offset1:3
	ds_read2_b64 v[8:11], v24 offset0:4 offset1:5
	s_waitcnt lgkmcnt(2)
	v_pk_add_f32 v[0:1], v[32:33], v[0:1]
	v_pk_add_f32 v[18:19], v[0:1], v[2:3]
	ds_read2_b64 v[0:3], v24 offset0:6 offset1:7
	s_waitcnt lgkmcnt(2)
	v_pk_add_f32 v[4:5], v[18:19], v[4:5]
	v_pk_add_f32 v[4:5], v[4:5], v[6:7]
	s_waitcnt lgkmcnt(1)
	v_pk_add_f32 v[4:5], v[4:5], v[8:9]
	v_pk_add_f32 v[4:5], v[4:5], v[10:11]
	;; [unrolled: 3-line block ×3, first 2 shown]
.LBB38_126:
	s_or_b64 exec, exec, s[8:9]
	s_load_dwordx2 s[2:3], s[4:5], 0x68
	s_mul_hi_u32 s4, s40, s26
	s_mul_i32 s41, s41, s26
	s_add_i32 s4, s4, s41
	s_mul_i32 s8, s40, s26
	s_mul_i32 s4, s4, s7
	s_mul_hi_u32 s5, s8, s7
	s_add_i32 s5, s5, s4
	s_mul_i32 s4, s8, s7
	s_lshl_b64 s[4:5], s[4:5], 3
	s_waitcnt lgkmcnt(0)
	s_add_u32 s4, s2, s4
	s_addc_u32 s5, s3, s5
	s_mul_hi_i32 s3, s40, s6
	s_mul_i32 s2, s40, s6
	s_lshl_b64 s[2:3], s[2:3], 3
	s_add_u32 s19, s4, s2
	s_addc_u32 s26, s5, s3
	s_add_i32 s8, s6, 1
	s_cmp_ge_u32 s8, s7
	v_lshlrev_b32_e32 v73, 3, v30
	s_barrier
	s_cbranch_scc1 .LBB38_184
; %bb.127:
	s_mul_i32 s2, s22, s33
	s_ashr_i32 s3, s2, 31
	s_lshl_b64 s[2:3], s[2:3], 3
	v_lshlrev_b32_e32 v119, 2, v71
	v_mov_b32_e32 v0, s3
	v_subrev_co_u32_e32 v133, vcc, s2, v14
	v_subb_co_u32_e32 v134, vcc, v15, v0, vcc
	v_mad_u64_u32 v[0:1], s[2:3], v119, s24, v[30:31]
	v_ashrrev_i32_e32 v1, 31, v0
	v_sub_co_u32_e32 v135, vcc, 0, v12
	s_lshl_b32 s2, s24, 4
	v_subb_co_u32_e32 v136, vcc, 0, v13, vcc
	v_lshlrev_b64 v[2:3], 3, v[0:1]
	s_lshl_b32 s35, s33, 6
	s_ashr_i32 s3, s2, 31
	s_ashr_i32 s25, s24, 31
	s_lshl_b32 s14, s24, 1
	s_mul_i32 s16, s24, 3
	s_mul_i32 s33, s33, s8
	v_mov_b32_e32 v4, s31
	v_add_co_u32_e32 v5, vcc, s30, v2
	s_add_i32 s34, s7, -2
	s_ashr_i32 s15, s14, 31
	s_ashr_i32 s17, s16, 31
	s_lshl_b64 s[4:5], s[24:25], 3
	s_lshl_b32 s10, s33, 6
	v_addc_co_u32_e32 v4, vcc, v4, v3, vcc
	s_lshl_b64 s[12:13], s[2:3], 5
	s_lshl_b64 s[8:9], s[24:25], 4
	v_add_co_u32_e32 v34, vcc, v16, v5
	s_add_u32 s11, s8, s30
	v_addc_co_u32_e32 v29, vcc, v17, v4, vcc
	s_addc_u32 s23, s9, s31
	v_mov_b32_e32 v4, s23
	v_add_co_u32_e32 v5, vcc, s11, v2
	v_addc_co_u32_e32 v4, vcc, v4, v3, vcc
	v_add_co_u32_e32 v36, vcc, v16, v5
	s_add_u32 s25, s4, s30
	v_addc_co_u32_e32 v31, vcc, v17, v4, vcc
	s_addc_u32 s33, s5, s31
	v_mov_b32_e32 v4, s33
	v_add_co_u32_e32 v5, vcc, s25, v2
	v_addc_co_u32_e32 v4, vcc, v4, v3, vcc
	s_lshl_b64 s[14:15], s[14:15], 3
	v_add_co_u32_e32 v38, vcc, v16, v5
	s_add_u32 s36, s30, s14
	v_addc_co_u32_e32 v35, vcc, v17, v4, vcc
	s_addc_u32 s37, s31, s15
	v_mov_b32_e32 v4, s37
	v_add_co_u32_e32 v5, vcc, s36, v2
	v_addc_co_u32_e32 v4, vcc, v4, v3, vcc
	s_lshl_b64 s[16:17], s[16:17], 3
	;; [unrolled: 8-line block ×3, first 2 shown]
	v_add_co_u32_e32 v42, vcc, v16, v5
	s_add_u32 s38, s30, s36
	v_addc_co_u32_e32 v39, vcc, v17, v4, vcc
	s_addc_u32 s39, s31, s37
	v_mov_b32_e32 v4, s39
	v_add_co_u32_e32 v5, vcc, s38, v2
	v_addc_co_u32_e32 v4, vcc, v4, v3, vcc
	v_add_co_u32_e32 v44, vcc, v16, v5
	s_add_u32 s40, s11, s36
	v_addc_co_u32_e32 v41, vcc, v17, v4, vcc
	s_addc_u32 s41, s23, s37
	v_mov_b32_e32 v4, s41
	v_add_co_u32_e32 v5, vcc, s40, v2
	v_addc_co_u32_e32 v4, vcc, v4, v3, vcc
	;; [unrolled: 7-line block ×5, first 2 shown]
	s_lshl_b64 s[36:37], s[2:3], 4
	v_add_co_u32_e32 v52, vcc, v16, v5
	s_add_u32 s3, s36, s30
	v_addc_co_u32_e32 v49, vcc, v17, v4, vcc
	s_addc_u32 s25, s37, s31
	v_mov_b32_e32 v4, s25
	v_add_co_u32_e32 v5, vcc, s3, v2
	v_addc_co_u32_e32 v4, vcc, v4, v3, vcc
	v_add_co_u32_e32 v54, vcc, v16, v5
	s_add_u32 s11, s11, s36
	v_addc_co_u32_e32 v51, vcc, v17, v4, vcc
	s_addc_u32 s23, s23, s37
	v_mov_b32_e32 v4, s23
	v_add_co_u32_e32 v5, vcc, s11, v2
	s_add_u32 s11, s3, s4
	v_addc_co_u32_e32 v4, vcc, v4, v3, vcc
	s_addc_u32 s23, s25, s5
	v_mov_b32_e32 v6, s23
	;; [unrolled: 5-line block ×4, first 2 shown]
	v_add_co_u32_e32 v11, vcc, s3, v2
	v_addc_co_u32_e32 v10, vcc, v10, v3, vcc
	v_mov_b32_e32 v2, s29
	v_add_co_u32_e32 v0, vcc, s28, v0
	v_addc_co_u32_e32 v1, vcc, v2, v1, vcc
	v_lshlrev_b64 v[0:1], 3, v[0:1]
	s_mul_i32 s11, s24, 0x180
	s_mul_hi_i32 s23, s2, 24
	v_mad_i64_i32 v[2:3], s[2:3], s2, 24, v[0:1]
	s_add_u32 s2, s11, s8
	s_addc_u32 s3, s23, s9
	v_mov_b32_e32 v12, s3
	v_add_co_u32_e32 v0, vcc, s2, v0
	v_addc_co_u32_e32 v1, vcc, v12, v1, vcc
	v_mov_b32_e32 v12, s5
	v_add_co_u32_e32 v13, vcc, s4, v2
	v_addc_co_u32_e32 v12, vcc, v3, v12, vcc
	;; [unrolled: 3-line block ×4, first 2 shown]
	v_add_co_u32_e32 v56, vcc, v16, v2
	v_addc_co_u32_e32 v53, vcc, v17, v3, vcc
	v_add_co_u32_e32 v58, vcc, v16, v5
	v_addc_co_u32_e32 v55, vcc, v17, v4, vcc
	;; [unrolled: 2-line block ×6, first 2 shown]
	v_add_co_u32_e32 v68, vcc, v16, v13
	v_and_b32_e32 v2, 48, v30
	v_addc_co_u32_e32 v65, vcc, v17, v12, vcc
	s_movk_i32 s4, 0x218
	v_and_b32_e32 v1, 15, v30
	v_lshlrev_b32_e32 v3, 3, v2
	v_add_co_u32_e32 v70, vcc, v16, v15
	v_lshrrev_b32_e32 v0, 4, v22
	v_mad_u32_u24 v137, v1, s4, v3
	v_or_b32_e32 v3, 0x78, v73
	v_addc_co_u32_e32 v67, vcc, v17, v14, vcc
	v_mad_u32_u24 v138, v1, s4, v3
	v_lshlrev_b32_e32 v3, 5, v0
	v_add_co_u32_e32 v72, vcc, v16, v19
	v_mad_u32_u24 v139, v1, s4, v3
	v_mov_b32_e32 v3, 0x2180
	s_movk_i32 s4, 0x860
	v_mul_i32_i24_e32 v0, 0xffffffe8, v0
	v_add_u32_e32 v2, s22, v2
	v_addc_co_u32_e32 v69, vcc, v17, v18, vcc
	v_cmp_gt_u32_e64 s[2:3], 64, v22
	v_lshl_add_u32 v140, v71, 5, v3
	v_add3_u32 v74, v2, v1, 64
	s_mov_b32 s14, 0
	v_add_u32_e32 v141, v139, v0
	v_add_u32_e32 v142, 0x2180, v73
	;; [unrolled: 1-line block ×3, first 2 shown]
	v_or_b32_e32 v144, 1, v119
	v_or_b32_e32 v145, 2, v119
	;; [unrolled: 1-line block ×3, first 2 shown]
	v_mad_u32_u24 v147, v71, s4, v73
	v_add_u32_e32 v148, 16, v119
	v_add_u32_e32 v149, 17, v119
	;; [unrolled: 1-line block ×12, first 2 shown]
	v_mov_b32_e32 v76, 0
	s_branch .LBB38_129
.LBB38_128:                             ;   in Loop: Header=BB38_129 Depth=1
	s_or_b64 exec, exec, s[4:5]
	v_mul_f32_e32 v0, v79, v87
	v_fma_f32 v0, v78, v86, -v0
	v_mul_f32_e32 v2, v81, v89
	v_add_f32_e32 v0, v32, v0
	v_fma_f32 v2, v80, v88, -v2
	v_add_f32_e32 v0, v0, v2
	v_mul_f32_e32 v2, v83, v91
	v_fma_f32 v2, v82, v90, -v2
	v_mul_f32_e32 v1, v78, v87
	v_add_f32_e32 v0, v0, v2
	v_mul_f32_e32 v2, v85, v93
	v_mul_f32_e32 v3, v80, v89
	v_fma_f32 v2, v84, v92, -v2
	v_fmac_f32_e32 v1, v79, v86
	v_mul_f32_e32 v4, v82, v91
	v_add_f32_e32 v0, v0, v2
	v_add_f32_e32 v1, v33, v1
	v_fmac_f32_e32 v3, v81, v88
	v_mul_f32_e32 v2, v95, v103
	v_mul_f32_e32 v5, v84, v93
	v_add_f32_e32 v1, v1, v3
	v_fmac_f32_e32 v4, v83, v90
	v_fma_f32 v2, v94, v102, -v2
	v_add_f32_e32 v1, v1, v4
	v_fmac_f32_e32 v5, v85, v92
	v_mul_f32_e32 v6, v94, v103
	v_add_f32_e32 v0, v0, v2
	v_mul_f32_e32 v2, v97, v105
	v_add_f32_e32 v1, v1, v5
	v_fma_f32 v2, v96, v104, -v2
	v_mul_f32_e32 v7, v96, v105
	v_fmac_f32_e32 v6, v95, v102
	v_add_f32_e32 v0, v0, v2
	v_mul_f32_e32 v2, v99, v107
	v_mul_f32_e32 v3, v98, v107
	v_add_f32_e32 v1, v1, v6
	v_fmac_f32_e32 v7, v97, v104
	v_fma_f32 v2, v98, v106, -v2
	v_mul_f32_e32 v4, v101, v109
	v_mul_f32_e32 v5, v100, v109
	v_add_f32_e32 v1, v1, v7
	v_fmac_f32_e32 v3, v99, v106
	v_fma_f32 v4, v100, v108, -v4
	v_pk_add_f32 v[0:1], v[0:1], v[2:3]
	v_fmac_f32_e32 v5, v101, v108
	v_pk_mul_f32 v[2:3], v[110:111], v[120:121] op_sel:[1,0]
	v_pk_add_f32 v[0:1], v[0:1], v[4:5]
	v_pk_fma_f32 v[4:5], v[110:111], v[120:121], v[2:3] op_sel:[0,0,1] op_sel_hi:[1,1,0] neg_lo:[0,0,1] neg_hi:[0,0,1]
	v_pk_fma_f32 v[2:3], v[110:111], v[120:121], v[2:3] op_sel:[0,0,1] op_sel_hi:[0,1,0]
	v_mov_b32_e32 v5, v3
	v_pk_mul_f32 v[2:3], v[112:113], v[8:9] op_sel:[1,0]
	v_pk_add_f32 v[0:1], v[0:1], v[4:5]
	v_pk_fma_f32 v[4:5], v[112:113], v[8:9], v[2:3] op_sel:[0,0,1] op_sel_hi:[1,1,0] neg_lo:[0,0,1] neg_hi:[0,0,1]
	v_pk_fma_f32 v[2:3], v[112:113], v[8:9], v[2:3] op_sel:[0,0,1] op_sel_hi:[0,1,0]
	v_mov_b32_e32 v5, v3
	;; [unrolled: 5-line block ×3, first 2 shown]
	v_pk_mul_f32 v[2:3], v[118:119], v[122:123] op_sel_hi:[0,1]
	v_pk_add_f32 v[0:1], v[0:1], v[4:5]
	v_pk_fma_f32 v[4:5], v[116:117], v[122:123], v[2:3] op_sel:[0,0,1] op_sel_hi:[1,1,0] neg_lo:[0,0,1] neg_hi:[0,0,1]
	v_pk_fma_f32 v[2:3], v[116:117], v[122:123], v[2:3] op_sel:[0,0,1] op_sel_hi:[0,1,0]
	v_mov_b32_e32 v5, v3
	v_pk_mul_f32 v[2:3], v[124:125], v[16:17] op_sel:[1,0]
	v_pk_add_f32 v[0:1], v[0:1], v[4:5]
	v_pk_fma_f32 v[4:5], v[124:125], v[16:17], v[2:3] op_sel:[0,0,1] op_sel_hi:[1,1,0] neg_lo:[0,0,1] neg_hi:[0,0,1]
	v_pk_fma_f32 v[2:3], v[124:125], v[16:17], v[2:3] op_sel:[0,0,1] op_sel_hi:[0,1,0]
	v_mov_b32_e32 v5, v3
	v_pk_mul_f32 v[2:3], v[126:127], v[18:19] op_sel:[1,0]
	v_pk_fma_f32 v[6:7], v[126:127], v[18:19], v[2:3] op_sel:[0,0,1] op_sel_hi:[1,1,0] neg_lo:[0,0,1] neg_hi:[0,0,1]
	v_pk_fma_f32 v[2:3], v[126:127], v[18:19], v[2:3] op_sel:[0,0,1] op_sel_hi:[0,1,0]
	v_mov_b32_e32 v7, v3
	v_pk_mul_f32 v[2:3], v[128:129], v[12:13] op_sel:[1,0]
	v_pk_fma_f32 v[8:9], v[128:129], v[12:13], v[2:3] op_sel:[0,0,1] op_sel_hi:[1,1,0] neg_lo:[0,0,1] neg_hi:[0,0,1]
	v_pk_fma_f32 v[2:3], v[128:129], v[12:13], v[2:3] op_sel:[0,0,1] op_sel_hi:[0,1,0]
	v_mov_b32_e32 v9, v3
	v_pk_mul_f32 v[2:3], v[132:133], v[14:15] op_sel_hi:[0,1]
	v_pk_add_f32 v[0:1], v[0:1], v[4:5]
	v_pk_fma_f32 v[10:11], v[130:131], v[14:15], v[2:3] op_sel:[0,0,1] op_sel_hi:[1,1,0] neg_lo:[0,0,1] neg_hi:[0,0,1]
	v_pk_fma_f32 v[2:3], v[130:131], v[14:15], v[2:3] op_sel:[0,0,1] op_sel_hi:[0,1,0]
	v_pk_add_f32 v[0:1], v[0:1], v[6:7]
	v_mov_b32_e32 v11, v3
	v_pk_add_f32 v[0:1], v[0:1], v[8:9]
	v_pk_add_f32 v[32:33], v[0:1], v[10:11]
	v_mov_b32_e32 v0, s13
	v_add_co_u32_e32 v34, vcc, s12, v34
	v_addc_co_u32_e32 v29, vcc, v29, v0, vcc
	v_add_co_u32_e32 v36, vcc, s12, v36
	v_addc_co_u32_e32 v31, vcc, v31, v0, vcc
	v_add_co_u32_e32 v38, vcc, s12, v38
	v_addc_co_u32_e32 v35, vcc, v35, v0, vcc
	v_add_co_u32_e32 v40, vcc, s12, v40
	v_addc_co_u32_e32 v37, vcc, v37, v0, vcc
	v_add_co_u32_e32 v42, vcc, s12, v42
	v_addc_co_u32_e32 v39, vcc, v39, v0, vcc
	v_add_co_u32_e32 v44, vcc, s12, v44
	v_addc_co_u32_e32 v41, vcc, v41, v0, vcc
	v_add_co_u32_e32 v46, vcc, s12, v46
	v_addc_co_u32_e32 v43, vcc, v43, v0, vcc
	v_add_co_u32_e32 v48, vcc, s12, v48
	v_addc_co_u32_e32 v45, vcc, v45, v0, vcc
	v_add_co_u32_e32 v50, vcc, s12, v50
	v_addc_co_u32_e32 v47, vcc, v47, v0, vcc
	v_add_co_u32_e32 v52, vcc, s12, v52
	v_addc_co_u32_e32 v49, vcc, v49, v0, vcc
	v_add_co_u32_e32 v54, vcc, s12, v54
	v_addc_co_u32_e32 v51, vcc, v51, v0, vcc
	v_add_co_u32_e32 v58, vcc, s12, v58
	v_addc_co_u32_e32 v55, vcc, v55, v0, vcc
	v_add_co_u32_e32 v60, vcc, s12, v60
	v_addc_co_u32_e32 v57, vcc, v57, v0, vcc
	v_add_co_u32_e32 v62, vcc, s12, v62
	v_addc_co_u32_e32 v59, vcc, v59, v0, vcc
	v_add_co_u32_e32 v64, vcc, s12, v64
	v_addc_co_u32_e32 v61, vcc, v61, v0, vcc
	v_add_co_u32_e32 v56, vcc, s12, v56
	v_addc_co_u32_e32 v53, vcc, v53, v0, vcc
	v_add_co_u32_e32 v66, vcc, s12, v66
	v_addc_co_u32_e32 v63, vcc, v63, v0, vcc
	v_add_co_u32_e32 v68, vcc, s12, v68
	v_addc_co_u32_e32 v65, vcc, v65, v0, vcc
	v_add_co_u32_e32 v70, vcc, s12, v70
	v_addc_co_u32_e32 v67, vcc, v67, v0, vcc
	s_add_i32 s4, s6, 1
	s_add_i32 s10, s10, s35
	;; [unrolled: 1-line block ×3, first 2 shown]
	v_add_co_u32_e32 v72, vcc, s12, v72
	v_add_u32_e32 v74, 64, v74
	v_addc_co_u32_e32 v69, vcc, v69, v0, vcc
	s_cmp_ge_u32 s5, s7
	s_mov_b32 s6, s4
	s_barrier
	s_cbranch_scc1 .LBB38_184
.LBB38_129:                             ; =>This Inner Loop Header: Depth=1
	s_cmp_eq_u32 s34, s6
	s_cselect_b32 s24, s27, 0
	s_and_saveexec_b64 s[4:5], s[0:1]
	s_cbranch_execz .LBB38_134
; %bb.130:                              ;   in Loop: Header=BB38_129 Depth=1
	s_cmp_lg_u32 s24, 0
	s_cselect_b64 s[8:9], -1, 0
	v_cmp_le_i32_e32 vcc, s24, v30
	s_and_b64 s[8:9], s[8:9], vcc
	s_and_saveexec_b64 s[16:17], s[8:9]
	s_xor_b64 s[8:9], exec, s[16:17]
	s_cbranch_execz .LBB38_132
; %bb.131:                              ;   in Loop: Header=BB38_129 Depth=1
	v_mov_b32_e32 v77, v76
	ds_write_b64 v142, v[76:77]
.LBB38_132:                             ;   in Loop: Header=BB38_129 Depth=1
	s_andn2_saveexec_b64 s[8:9], s[8:9]
	s_cbranch_execz .LBB38_134
; %bb.133:                              ;   in Loop: Header=BB38_129 Depth=1
	s_ashr_i32 s11, s10, 31
	s_lshl_b64 s[8:9], s[10:11], 3
	v_mov_b32_e32 v1, s9
	v_add_co_u32_e32 v0, vcc, s8, v133
	v_addc_co_u32_e32 v1, vcc, v134, v1, vcc
	flat_load_dwordx2 v[0:1], v[0:1]
	s_waitcnt vmcnt(0) lgkmcnt(0)
	ds_write_b64 v142, v[0:1]
.LBB38_134:                             ;   in Loop: Header=BB38_129 Depth=1
	s_or_b64 exec, exec, s[4:5]
	s_cmp_eq_u32 s24, 0
	v_add_co_u32_e32 v0, vcc, v34, v135
	s_cselect_b64 s[16:17], -1, 0
	s_cmp_lg_u32 s24, 0
	v_addc_co_u32_e32 v1, vcc, v29, v136, vcc
	s_cselect_b64 s[8:9], -1, 0
	s_and_b64 vcc, exec, s[8:9]
	s_waitcnt lgkmcnt(0)
	s_barrier
	s_cbranch_vccz .LBB38_142
; %bb.135:                              ;   in Loop: Header=BB38_129 Depth=1
	s_mov_b32 s15, s14
	v_cmp_gt_i32_e32 vcc, s24, v119
	v_pk_mov_b32 v[78:79], s[14:15], s[14:15] op_sel:[0,1]
	s_and_saveexec_b64 s[4:5], vcc
	s_cbranch_execz .LBB38_137
; %bb.136:                              ;   in Loop: Header=BB38_129 Depth=1
	flat_load_dwordx2 v[78:79], v[0:1]
.LBB38_137:                             ;   in Loop: Header=BB38_129 Depth=1
	s_or_b64 exec, exec, s[4:5]
	v_cmp_gt_i32_e32 vcc, s24, v144
	v_pk_mov_b32 v[80:81], s[14:15], s[14:15] op_sel:[0,1]
	s_and_saveexec_b64 s[4:5], vcc
	s_cbranch_execz .LBB38_139
; %bb.138:                              ;   in Loop: Header=BB38_129 Depth=1
	v_add_co_u32_e32 v2, vcc, v38, v135
	v_addc_co_u32_e32 v3, vcc, v35, v136, vcc
	flat_load_dwordx2 v[80:81], v[2:3]
.LBB38_139:                             ;   in Loop: Header=BB38_129 Depth=1
	s_or_b64 exec, exec, s[4:5]
	s_mov_b32 s15, s14
	v_cmp_gt_i32_e32 vcc, s24, v145
	v_pk_mov_b32 v[82:83], s[14:15], s[14:15] op_sel:[0,1]
	s_and_saveexec_b64 s[4:5], vcc
	s_cbranch_execz .LBB38_141
; %bb.140:                              ;   in Loop: Header=BB38_129 Depth=1
	v_add_co_u32_e32 v2, vcc, v40, v135
	v_addc_co_u32_e32 v3, vcc, v37, v136, vcc
	flat_load_dwordx2 v[82:83], v[2:3]
.LBB38_141:                             ;   in Loop: Header=BB38_129 Depth=1
	s_or_b64 exec, exec, s[4:5]
	v_cmp_gt_i32_e64 s[4:5], s24, v146
	s_mov_b32 s11, 0
	s_branch .LBB38_144
.LBB38_142:                             ;   in Loop: Header=BB38_129 Depth=1
	s_mov_b64 s[4:5], 0
                                        ; implicit-def: $sgpr11
                                        ; implicit-def: $vgpr82_vgpr83
                                        ; implicit-def: $vgpr80_vgpr81
                                        ; implicit-def: $vgpr78_vgpr79
	s_cbranch_execz .LBB38_144
; %bb.143:                              ;   in Loop: Header=BB38_129 Depth=1
	s_waitcnt vmcnt(0) lgkmcnt(0)
	flat_load_dwordx2 v[78:79], v[0:1]
	v_add_co_u32_e32 v0, vcc, v38, v135
	v_addc_co_u32_e32 v1, vcc, v35, v136, vcc
	flat_load_dwordx2 v[80:81], v[0:1]
	v_add_co_u32_e32 v0, vcc, v36, v135
	v_addc_co_u32_e32 v1, vcc, v31, v136, vcc
	flat_load_dwordx2 v[82:83], v[0:1]
	s_or_b64 s[4:5], s[4:5], exec
                                        ; implicit-def: $sgpr11
.LBB38_144:                             ;   in Loop: Header=BB38_129 Depth=1
	v_mov_b32_e32 v84, s11
	v_mov_b32_e32 v85, s11
	s_and_saveexec_b64 s[22:23], s[4:5]
	s_cbranch_execz .LBB38_146
; %bb.145:                              ;   in Loop: Header=BB38_129 Depth=1
	v_add_co_u32_e32 v0, vcc, v42, v135
	v_addc_co_u32_e32 v1, vcc, v39, v136, vcc
	flat_load_dwordx2 v[84:85], v[0:1]
.LBB38_146:                             ;   in Loop: Header=BB38_129 Depth=1
	s_or_b64 exec, exec, s[22:23]
	ds_read_b64 v[0:1], v143
	ds_read_b64 v[86:87], v140
	v_cndmask_b32_e64 v8, 0, 1, s[8:9]
	v_cmp_ne_u32_e64 s[4:5], 1, v8
	s_andn2_b64 vcc, exec, s[8:9]
	s_waitcnt vmcnt(0) lgkmcnt(0)
	v_mul_f32_e32 v2, v79, v1
	v_mul_f32_e32 v3, v79, v0
	v_fmac_f32_e32 v2, v78, v0
	v_fma_f32 v3, v78, v1, -v3
	v_mul_f32_e32 v4, v81, v1
	ds_write_b64 v147, v[2:3]
	v_mul_f32_e32 v2, v81, v0
	v_fmac_f32_e32 v4, v80, v0
	v_fma_f32 v5, v80, v1, -v2
	v_mul_f32_e32 v2, v83, v1
	v_mul_f32_e32 v3, v83, v0
	ds_read_b64 v[88:89], v140 offset:8
	ds_write_b64 v147, v[4:5] offset:536
	v_fmac_f32_e32 v2, v82, v0
	v_fma_f32 v3, v82, v1, -v3
	ds_read_b64 v[90:91], v140 offset:16
	ds_write_b64 v147, v[2:3] offset:1072
	v_mul_f32_e32 v2, v85, v1
	v_fmac_f32_e32 v2, v84, v0
	v_mul_f32_e32 v0, v85, v0
	v_fma_f32 v3, v84, v1, -v0
	ds_read_b64 v[92:93], v140 offset:24
	ds_write_b64 v147, v[2:3] offset:1608
	s_waitcnt lgkmcnt(0)
	s_barrier
	ds_read2_b64 v[4:7], v139 offset1:1
	ds_read2_b64 v[0:3], v139 offset0:2 offset1:3
	v_add_co_u32_e64 v8, s[8:9], v44, v135
	v_addc_co_u32_e64 v9, s[8:9], v41, v136, s[8:9]
	s_waitcnt lgkmcnt(0)
	s_barrier
	s_cbranch_vccnz .LBB38_154
; %bb.147:                              ;   in Loop: Header=BB38_129 Depth=1
	s_mov_b32 s15, s14
	v_cmp_gt_i32_e32 vcc, s24, v148
	v_pk_mov_b32 v[94:95], s[14:15], s[14:15] op_sel:[0,1]
	s_and_saveexec_b64 s[8:9], vcc
	s_cbranch_execz .LBB38_149
; %bb.148:                              ;   in Loop: Header=BB38_129 Depth=1
	flat_load_dwordx2 v[94:95], v[8:9]
.LBB38_149:                             ;   in Loop: Header=BB38_129 Depth=1
	s_or_b64 exec, exec, s[8:9]
	v_cmp_gt_i32_e32 vcc, s24, v149
	v_pk_mov_b32 v[96:97], s[14:15], s[14:15] op_sel:[0,1]
	s_and_saveexec_b64 s[8:9], vcc
	s_cbranch_execz .LBB38_151
; %bb.150:                              ;   in Loop: Header=BB38_129 Depth=1
	v_add_co_u32_e32 v10, vcc, v48, v135
	v_addc_co_u32_e32 v11, vcc, v45, v136, vcc
	flat_load_dwordx2 v[96:97], v[10:11]
.LBB38_151:                             ;   in Loop: Header=BB38_129 Depth=1
	s_or_b64 exec, exec, s[8:9]
	s_mov_b32 s15, s14
	v_cmp_gt_i32_e32 vcc, s24, v150
	v_pk_mov_b32 v[98:99], s[14:15], s[14:15] op_sel:[0,1]
	s_and_saveexec_b64 s[8:9], vcc
	s_cbranch_execz .LBB38_153
; %bb.152:                              ;   in Loop: Header=BB38_129 Depth=1
	v_add_co_u32_e32 v10, vcc, v50, v135
	v_addc_co_u32_e32 v11, vcc, v47, v136, vcc
	flat_load_dwordx2 v[98:99], v[10:11]
.LBB38_153:                             ;   in Loop: Header=BB38_129 Depth=1
	s_or_b64 exec, exec, s[8:9]
	v_cmp_gt_i32_e64 s[8:9], s24, v151
	s_mov_b32 s11, 0
	s_branch .LBB38_156
.LBB38_154:                             ;   in Loop: Header=BB38_129 Depth=1
	s_mov_b64 s[8:9], 0
                                        ; implicit-def: $sgpr11
                                        ; implicit-def: $vgpr98_vgpr99
                                        ; implicit-def: $vgpr96_vgpr97
                                        ; implicit-def: $vgpr94_vgpr95
	s_cbranch_execz .LBB38_156
; %bb.155:                              ;   in Loop: Header=BB38_129 Depth=1
	s_waitcnt vmcnt(0) lgkmcnt(0)
	flat_load_dwordx2 v[94:95], v[8:9]
	v_add_co_u32_e32 v8, vcc, v48, v135
	v_addc_co_u32_e32 v9, vcc, v45, v136, vcc
	flat_load_dwordx2 v[96:97], v[8:9]
	v_add_co_u32_e32 v8, vcc, v46, v135
	v_addc_co_u32_e32 v9, vcc, v43, v136, vcc
	flat_load_dwordx2 v[98:99], v[8:9]
	s_or_b64 s[8:9], s[8:9], exec
                                        ; implicit-def: $sgpr11
.LBB38_156:                             ;   in Loop: Header=BB38_129 Depth=1
	v_mov_b32_e32 v100, s11
	v_mov_b32_e32 v101, s11
	s_and_saveexec_b64 s[22:23], s[8:9]
	s_cbranch_execz .LBB38_158
; %bb.157:                              ;   in Loop: Header=BB38_129 Depth=1
	v_add_co_u32_e32 v8, vcc, v52, v135
	v_addc_co_u32_e32 v9, vcc, v49, v136, vcc
	flat_load_dwordx2 v[100:101], v[8:9]
.LBB38_158:                             ;   in Loop: Header=BB38_129 Depth=1
	s_or_b64 exec, exec, s[22:23]
	ds_read_b64 v[8:9], v143
	ds_read_b64 v[102:103], v140 offset:128
	s_and_b64 vcc, exec, s[4:5]
	s_waitcnt vmcnt(0) lgkmcnt(0)
	v_mul_f32_e32 v10, v95, v9
	v_mul_f32_e32 v11, v95, v8
	v_fmac_f32_e32 v10, v94, v8
	v_fma_f32 v11, v94, v9, -v11
	v_mul_f32_e32 v12, v97, v9
	ds_write_b64 v147, v[10:11]
	v_mul_f32_e32 v10, v97, v8
	v_fmac_f32_e32 v12, v96, v8
	v_fma_f32 v13, v96, v9, -v10
	v_mul_f32_e32 v10, v99, v9
	v_mul_f32_e32 v11, v99, v8
	ds_read_b64 v[104:105], v140 offset:136
	ds_write_b64 v147, v[12:13] offset:536
	v_fmac_f32_e32 v10, v98, v8
	v_fma_f32 v11, v98, v9, -v11
	ds_read_b64 v[106:107], v140 offset:144
	ds_write_b64 v147, v[10:11] offset:1072
	v_mul_f32_e32 v10, v101, v9
	v_fmac_f32_e32 v10, v100, v8
	v_mul_f32_e32 v8, v101, v8
	v_fma_f32 v11, v100, v9, -v8
	ds_read_b64 v[108:109], v140 offset:152
	ds_write_b64 v147, v[10:11] offset:1608
	s_waitcnt lgkmcnt(0)
	s_barrier
	ds_read2_b64 v[16:19], v139 offset1:1
	ds_read2_b64 v[12:15], v139 offset0:2 offset1:3
	v_add_co_u32_e64 v8, s[8:9], v54, v135
	v_addc_co_u32_e64 v9, s[8:9], v51, v136, s[8:9]
	s_waitcnt lgkmcnt(0)
	s_barrier
	s_cbranch_vccnz .LBB38_166
; %bb.159:                              ;   in Loop: Header=BB38_129 Depth=1
	s_mov_b32 s15, s14
	v_cmp_gt_i32_e32 vcc, s24, v152
	v_pk_mov_b32 v[110:111], s[14:15], s[14:15] op_sel:[0,1]
	s_and_saveexec_b64 s[8:9], vcc
	s_cbranch_execz .LBB38_161
; %bb.160:                              ;   in Loop: Header=BB38_129 Depth=1
	flat_load_dwordx2 v[110:111], v[8:9]
.LBB38_161:                             ;   in Loop: Header=BB38_129 Depth=1
	s_or_b64 exec, exec, s[8:9]
	v_cmp_gt_i32_e32 vcc, s24, v153
	v_pk_mov_b32 v[112:113], s[14:15], s[14:15] op_sel:[0,1]
	s_and_saveexec_b64 s[8:9], vcc
	s_cbranch_execz .LBB38_163
; %bb.162:                              ;   in Loop: Header=BB38_129 Depth=1
	v_add_co_u32_e32 v10, vcc, v60, v135
	v_addc_co_u32_e32 v11, vcc, v57, v136, vcc
	flat_load_dwordx2 v[112:113], v[10:11]
.LBB38_163:                             ;   in Loop: Header=BB38_129 Depth=1
	s_or_b64 exec, exec, s[8:9]
	s_mov_b32 s15, s14
	v_cmp_gt_i32_e32 vcc, s24, v154
	v_pk_mov_b32 v[114:115], s[14:15], s[14:15] op_sel:[0,1]
	s_and_saveexec_b64 s[8:9], vcc
	s_cbranch_execz .LBB38_165
; %bb.164:                              ;   in Loop: Header=BB38_129 Depth=1
	v_add_co_u32_e32 v10, vcc, v62, v135
	v_addc_co_u32_e32 v11, vcc, v59, v136, vcc
	flat_load_dwordx2 v[114:115], v[10:11]
.LBB38_165:                             ;   in Loop: Header=BB38_129 Depth=1
	s_or_b64 exec, exec, s[8:9]
	v_cmp_gt_i32_e64 s[8:9], s24, v155
	s_mov_b32 s11, 0
	s_branch .LBB38_168
.LBB38_166:                             ;   in Loop: Header=BB38_129 Depth=1
	s_mov_b64 s[8:9], 0
                                        ; implicit-def: $sgpr11
                                        ; implicit-def: $vgpr114_vgpr115
                                        ; implicit-def: $vgpr112_vgpr113
                                        ; implicit-def: $vgpr110_vgpr111
	s_cbranch_execz .LBB38_168
; %bb.167:                              ;   in Loop: Header=BB38_129 Depth=1
	s_waitcnt vmcnt(0) lgkmcnt(0)
	flat_load_dwordx2 v[110:111], v[8:9]
	v_add_co_u32_e32 v8, vcc, v60, v135
	v_addc_co_u32_e32 v9, vcc, v57, v136, vcc
	flat_load_dwordx2 v[112:113], v[8:9]
	v_add_co_u32_e32 v8, vcc, v58, v135
	v_addc_co_u32_e32 v9, vcc, v55, v136, vcc
	flat_load_dwordx2 v[114:115], v[8:9]
	s_or_b64 s[8:9], s[8:9], exec
                                        ; implicit-def: $sgpr11
.LBB38_168:                             ;   in Loop: Header=BB38_129 Depth=1
	v_mov_b32_e32 v116, s11
	v_mov_b32_e32 v118, s11
	s_and_saveexec_b64 s[22:23], s[8:9]
	s_cbranch_execz .LBB38_170
; %bb.169:                              ;   in Loop: Header=BB38_129 Depth=1
	v_add_co_u32_e32 v8, vcc, v64, v135
	v_addc_co_u32_e32 v9, vcc, v61, v136, vcc
	flat_load_dwordx2 v[116:117], v[8:9]
	s_waitcnt vmcnt(0) lgkmcnt(0)
	v_mov_b32_e32 v118, v117
.LBB38_170:                             ;   in Loop: Header=BB38_129 Depth=1
	s_or_b64 exec, exec, s[22:23]
	ds_read_b64 v[8:9], v143
	ds_read_b64 v[120:121], v140 offset:256
	s_and_b64 vcc, exec, s[4:5]
	v_add_co_u32_e64 v130, s[4:5], v56, v135
	s_waitcnt vmcnt(0) lgkmcnt(0)
	v_mul_f32_e32 v10, v111, v9
	v_mul_f32_e32 v11, v111, v8
	;; [unrolled: 1-line block ×4, first 2 shown]
	v_fmac_f32_e32 v10, v110, v8
	v_fma_f32 v11, v110, v9, -v11
	v_fmac_f32_e32 v20, v112, v8
	v_fma_f32 v21, v112, v9, -v21
	ds_write2_b64 v147, v[10:11], v[20:21] offset1:67
	v_mul_f32_e32 v10, v115, v9
	v_mul_f32_e32 v20, v118, v9
	v_fmac_f32_e32 v10, v114, v8
	v_mul_f32_e32 v11, v115, v8
	v_fmac_f32_e32 v20, v116, v8
	v_mul_f32_e32 v8, v118, v8
	v_fma_f32 v11, v114, v9, -v11
	v_fma_f32 v21, v116, v9, -v8
	ds_write2_b64 v147, v[10:11], v[20:21] offset0:134 offset1:201
	ds_read2_b64 v[8:11], v140 offset0:33 offset1:34
	ds_read_b64 v[122:123], v140 offset:280
	s_waitcnt lgkmcnt(0)
	s_barrier
	ds_read2_b64 v[24:27], v139 offset1:1
	ds_read2_b64 v[20:23], v139 offset0:2 offset1:3
	v_addc_co_u32_e64 v131, s[4:5], v53, v136, s[4:5]
	s_waitcnt lgkmcnt(0)
	s_barrier
	s_cbranch_vccnz .LBB38_178
; %bb.171:                              ;   in Loop: Header=BB38_129 Depth=1
	s_mov_b32 s15, s14
	v_cmp_gt_i32_e32 vcc, s24, v156
	v_pk_mov_b32 v[124:125], s[14:15], s[14:15] op_sel:[0,1]
	s_and_saveexec_b64 s[4:5], vcc
	s_cbranch_execz .LBB38_173
; %bb.172:                              ;   in Loop: Header=BB38_129 Depth=1
	flat_load_dwordx2 v[124:125], v[130:131]
.LBB38_173:                             ;   in Loop: Header=BB38_129 Depth=1
	s_or_b64 exec, exec, s[4:5]
	v_cmp_gt_i32_e32 vcc, s24, v157
	v_pk_mov_b32 v[126:127], s[14:15], s[14:15] op_sel:[0,1]
	s_and_saveexec_b64 s[4:5], vcc
	s_cbranch_execz .LBB38_175
; %bb.174:                              ;   in Loop: Header=BB38_129 Depth=1
	v_add_co_u32_e32 v126, vcc, v68, v135
	v_addc_co_u32_e32 v127, vcc, v65, v136, vcc
	flat_load_dwordx2 v[126:127], v[126:127]
.LBB38_175:                             ;   in Loop: Header=BB38_129 Depth=1
	s_or_b64 exec, exec, s[4:5]
	s_mov_b32 s15, s14
	v_cmp_gt_i32_e32 vcc, s24, v158
	v_pk_mov_b32 v[128:129], s[14:15], s[14:15] op_sel:[0,1]
	s_and_saveexec_b64 s[4:5], vcc
	s_cbranch_execz .LBB38_177
; %bb.176:                              ;   in Loop: Header=BB38_129 Depth=1
	v_add_co_u32_e32 v128, vcc, v70, v135
	v_addc_co_u32_e32 v129, vcc, v67, v136, vcc
	flat_load_dwordx2 v[128:129], v[128:129]
.LBB38_177:                             ;   in Loop: Header=BB38_129 Depth=1
	s_or_b64 exec, exec, s[4:5]
	v_cmp_gt_i32_e64 s[4:5], s24, v159
	s_mov_b32 s11, 0
	s_branch .LBB38_180
.LBB38_178:                             ;   in Loop: Header=BB38_129 Depth=1
	s_mov_b64 s[4:5], 0
                                        ; implicit-def: $sgpr11
                                        ; implicit-def: $vgpr128_vgpr129
                                        ; implicit-def: $vgpr126_vgpr127
                                        ; implicit-def: $vgpr124_vgpr125
	s_cbranch_execz .LBB38_180
; %bb.179:                              ;   in Loop: Header=BB38_129 Depth=1
	s_waitcnt vmcnt(0) lgkmcnt(0)
	v_add_co_u32_e32 v126, vcc, v68, v135
	v_addc_co_u32_e32 v127, vcc, v65, v136, vcc
	v_add_co_u32_e32 v128, vcc, v66, v135
	v_addc_co_u32_e32 v129, vcc, v63, v136, vcc
	flat_load_dwordx2 v[124:125], v[130:131]
	s_or_b64 s[4:5], s[4:5], exec
	flat_load_dwordx2 v[126:127], v[126:127]
                                        ; implicit-def: $sgpr11
	s_nop 0
	flat_load_dwordx2 v[128:129], v[128:129]
.LBB38_180:                             ;   in Loop: Header=BB38_129 Depth=1
	v_mov_b32_e32 v130, s11
	v_mov_b32_e32 v132, s11
	s_and_saveexec_b64 s[8:9], s[4:5]
	s_cbranch_execz .LBB38_182
; %bb.181:                              ;   in Loop: Header=BB38_129 Depth=1
	v_add_co_u32_e32 v130, vcc, v72, v135
	v_addc_co_u32_e32 v131, vcc, v69, v136, vcc
	flat_load_dwordx2 v[130:131], v[130:131]
	s_waitcnt vmcnt(0) lgkmcnt(0)
	v_mov_b32_e32 v132, v131
.LBB38_182:                             ;   in Loop: Header=BB38_129 Depth=1
	s_or_b64 exec, exec, s[8:9]
	v_pk_add_f32 v[24:25], v[24:25], 0 op_sel_hi:[1,0]
	v_pk_add_f32 v[24:25], v[24:25], v[26:27]
	v_pk_add_f32 v[20:21], v[24:25], v[20:21]
	;; [unrolled: 1-line block ×3, first 2 shown]
	ds_read_b64 v[20:21], v143
	v_pk_add_f32 v[16:17], v[16:17], 0 op_sel_hi:[1,0]
	v_pk_add_f32 v[16:17], v[16:17], v[18:19]
	v_pk_add_f32 v[12:13], v[16:17], v[12:13]
	v_pk_add_f32 v[26:27], v[12:13], v[14:15]
	s_waitcnt vmcnt(0) lgkmcnt(0)
	v_mul_f32_e32 v12, v125, v21
	v_mul_f32_e32 v13, v125, v20
	;; [unrolled: 1-line block ×4, first 2 shown]
	v_fmac_f32_e32 v12, v124, v20
	v_fma_f32 v13, v124, v21, -v13
	v_fmac_f32_e32 v14, v126, v20
	v_fma_f32 v15, v126, v21, -v15
	ds_write2_b64 v147, v[12:13], v[14:15] offset1:67
	v_mul_f32_e32 v12, v129, v21
	v_mul_f32_e32 v13, v129, v20
	;; [unrolled: 1-line block ×4, first 2 shown]
	v_fmac_f32_e32 v12, v128, v20
	v_fma_f32 v13, v128, v21, -v13
	v_fmac_f32_e32 v14, v130, v20
	v_fma_f32 v15, v130, v21, -v15
	ds_write2_b64 v147, v[12:13], v[14:15] offset0:134 offset1:201
	ds_read_b128 v[16:19], v140 offset:384
	ds_read_b128 v[12:15], v140 offset:400
	s_waitcnt lgkmcnt(0)
	s_barrier
	ds_read2_b64 v[20:23], v139 offset1:1
	v_pk_add_f32 v[4:5], v[4:5], 0 op_sel_hi:[1,0]
	v_pk_add_f32 v[160:161], v[4:5], v[6:7]
	ds_read2_b64 v[4:7], v139 offset0:2 offset1:3
	v_pk_add_f32 v[0:1], v[160:161], v[0:1]
	v_pk_add_f32 v[0:1], v[0:1], v[2:3]
	s_waitcnt lgkmcnt(1)
	v_pk_add_f32 v[2:3], v[20:21], 0 op_sel_hi:[1,0]
	v_cmp_gt_i32_e32 vcc, s24, v30
	v_pk_add_f32 v[2:3], v[2:3], v[22:23]
	s_or_b64 s[4:5], s[16:17], vcc
	s_waitcnt lgkmcnt(0)
	v_pk_add_f32 v[2:3], v[2:3], v[4:5]
	s_and_b64 s[8:9], s[2:3], s[4:5]
	v_pk_add_f32 v[2:3], v[2:3], v[6:7]
	s_barrier
	ds_write2_b64 v141, v[0:1], v[26:27] offset1:16
	ds_write2_b64 v141, v[24:25], v[2:3] offset0:32 offset1:48
	s_waitcnt lgkmcnt(0)
	s_barrier
	s_and_saveexec_b64 s[4:5], s[8:9]
	s_cbranch_execz .LBB38_128
; %bb.183:                              ;   in Loop: Header=BB38_129 Depth=1
	ds_read_b64 v[20:21], v137
	ds_read2_b64 v[0:3], v137 offset0:1 offset1:2
	ds_read2_b64 v[4:7], v137 offset0:3 offset1:4
	v_ashrrev_i32_e32 v75, 31, v74
	v_lshlrev_b64 v[22:23], 3, v[74:75]
	v_mov_b32_e32 v25, s26
	s_waitcnt lgkmcnt(1)
	v_add_f32_e32 v0, v0, v20
	v_add_f32_e32 v1, v1, v21
	;; [unrolled: 1-line block ×4, first 2 shown]
	ds_read2_b64 v[0:3], v137 offset0:5 offset1:6
	s_waitcnt lgkmcnt(1)
	v_add_f32_e32 v4, v20, v4
	v_add_f32_e32 v5, v21, v5
	;; [unrolled: 1-line block ×4, first 2 shown]
	ds_read2_b64 v[4:7], v137 offset0:7 offset1:8
	v_add_co_u32_e32 v24, vcc, s19, v22
	v_addc_co_u32_e32 v25, vcc, v25, v23, vcc
	s_waitcnt lgkmcnt(1)
	v_pk_add_f32 v[0:1], v[20:21], v[0:1]
	ds_read2_b64 v[20:23], v137 offset0:9 offset1:10
	v_pk_add_f32 v[0:1], v[0:1], v[2:3]
	s_waitcnt lgkmcnt(1)
	v_pk_add_f32 v[0:1], v[0:1], v[4:5]
	v_pk_add_f32 v[4:5], v[0:1], v[6:7]
	ds_read2_b64 v[0:3], v137 offset0:11 offset1:12
	s_waitcnt lgkmcnt(1)
	v_pk_add_f32 v[20:21], v[4:5], v[20:21]
	ds_read2_b64 v[4:7], v137 offset0:13 offset1:14
	v_pk_add_f32 v[20:21], v[20:21], v[22:23]
	ds_read_b64 v[22:23], v138
	s_waitcnt lgkmcnt(2)
	v_pk_add_f32 v[0:1], v[20:21], v[0:1]
	v_pk_add_f32 v[0:1], v[0:1], v[2:3]
	s_waitcnt lgkmcnt(1)
	v_pk_add_f32 v[0:1], v[0:1], v[4:5]
	v_pk_add_f32 v[0:1], v[0:1], v[6:7]
	s_waitcnt lgkmcnt(0)
	v_pk_add_f32 v[0:1], v[0:1], v[22:23]
	global_store_dwordx2 v[24:25], v[0:1], off
	s_branch .LBB38_128
.LBB38_184:
	s_movk_i32 s2, 0x218
	v_cmp_gt_i32_e32 vcc, s18, v30
	v_mad_u32_u24 v0, v71, s2, v73
	s_or_b64 s[2:3], s[20:21], vcc
	s_and_b64 s[0:1], s[0:1], s[2:3]
	ds_write_b64 v0, v[32:33]
	s_waitcnt lgkmcnt(0)
	s_barrier
	s_and_saveexec_b64 s[2:3], s[0:1]
	s_cbranch_execz .LBB38_186
; %bb.185:
	ds_read2_b64 v[0:3], v73 offset1:67
	ds_read2_b64 v[4:7], v73 offset0:134 offset1:201
	v_ashrrev_i32_e32 v29, 31, v28
	v_lshlrev_b64 v[8:9], 3, v[28:29]
	v_mov_b32_e32 v10, s26
	s_waitcnt lgkmcnt(1)
	v_pk_add_f32 v[0:1], v[2:3], v[0:1]
	v_add_co_u32_e32 v8, vcc, s19, v8
	s_waitcnt lgkmcnt(0)
	v_pk_add_f32 v[0:1], v[0:1], v[4:5]
	v_addc_co_u32_e32 v9, vcc, v10, v9, vcc
	v_pk_add_f32 v[0:1], v[0:1], v[6:7]
	global_store_dwordx2 v[8:9], v[0:1], off
.LBB38_186:
	s_endpgm
	.section	.rodata,"a",@progbits
	.p2align	6, 0x0
	.amdhsa_kernel _ZL26rocblas_hemvn_kernel_upperILb1ELi64ELi4ELi33ELi32ELi16Ei19rocblas_complex_numIfEPKPKS1_PS1_EviT6_lT7_lT5_lS8_lS9_lS7_lT8_i
		.amdhsa_group_segment_fixed_size 9600
		.amdhsa_private_segment_fixed_size 0
		.amdhsa_kernarg_size 376
		.amdhsa_user_sgpr_count 6
		.amdhsa_user_sgpr_private_segment_buffer 1
		.amdhsa_user_sgpr_dispatch_ptr 0
		.amdhsa_user_sgpr_queue_ptr 0
		.amdhsa_user_sgpr_kernarg_segment_ptr 1
		.amdhsa_user_sgpr_dispatch_id 0
		.amdhsa_user_sgpr_flat_scratch_init 0
		.amdhsa_user_sgpr_kernarg_preload_length 0
		.amdhsa_user_sgpr_kernarg_preload_offset 0
		.amdhsa_user_sgpr_private_segment_size 0
		.amdhsa_uses_dynamic_stack 0
		.amdhsa_system_sgpr_private_segment_wavefront_offset 0
		.amdhsa_system_sgpr_workgroup_id_x 1
		.amdhsa_system_sgpr_workgroup_id_y 0
		.amdhsa_system_sgpr_workgroup_id_z 1
		.amdhsa_system_sgpr_workgroup_info 0
		.amdhsa_system_vgpr_workitem_id 1
		.amdhsa_next_free_vgpr 162
		.amdhsa_next_free_sgpr 44
		.amdhsa_accum_offset 164
		.amdhsa_reserve_vcc 1
		.amdhsa_reserve_flat_scratch 0
		.amdhsa_float_round_mode_32 0
		.amdhsa_float_round_mode_16_64 0
		.amdhsa_float_denorm_mode_32 3
		.amdhsa_float_denorm_mode_16_64 3
		.amdhsa_dx10_clamp 1
		.amdhsa_ieee_mode 1
		.amdhsa_fp16_overflow 0
		.amdhsa_tg_split 0
		.amdhsa_exception_fp_ieee_invalid_op 0
		.amdhsa_exception_fp_denorm_src 0
		.amdhsa_exception_fp_ieee_div_zero 0
		.amdhsa_exception_fp_ieee_overflow 0
		.amdhsa_exception_fp_ieee_underflow 0
		.amdhsa_exception_fp_ieee_inexact 0
		.amdhsa_exception_int_div_zero 0
	.end_amdhsa_kernel
	.section	.text._ZL26rocblas_hemvn_kernel_upperILb1ELi64ELi4ELi33ELi32ELi16Ei19rocblas_complex_numIfEPKPKS1_PS1_EviT6_lT7_lT5_lS8_lS9_lS7_lT8_i,"axG",@progbits,_ZL26rocblas_hemvn_kernel_upperILb1ELi64ELi4ELi33ELi32ELi16Ei19rocblas_complex_numIfEPKPKS1_PS1_EviT6_lT7_lT5_lS8_lS9_lS7_lT8_i,comdat
.Lfunc_end38:
	.size	_ZL26rocblas_hemvn_kernel_upperILb1ELi64ELi4ELi33ELi32ELi16Ei19rocblas_complex_numIfEPKPKS1_PS1_EviT6_lT7_lT5_lS8_lS9_lS7_lT8_i, .Lfunc_end38-_ZL26rocblas_hemvn_kernel_upperILb1ELi64ELi4ELi33ELi32ELi16Ei19rocblas_complex_numIfEPKPKS1_PS1_EviT6_lT7_lT5_lS8_lS9_lS7_lT8_i
                                        ; -- End function
	.section	.AMDGPU.csdata,"",@progbits
; Kernel info:
; codeLenInByte = 9192
; NumSgprs: 48
; NumVgprs: 162
; NumAgprs: 0
; TotalNumVgprs: 162
; ScratchSize: 0
; MemoryBound: 1
; FloatMode: 240
; IeeeMode: 1
; LDSByteSize: 9600 bytes/workgroup (compile time only)
; SGPRBlocks: 5
; VGPRBlocks: 20
; NumSGPRsForWavesPerEU: 48
; NumVGPRsForWavesPerEU: 162
; AccumOffset: 164
; Occupancy: 3
; WaveLimiterHint : 1
; COMPUTE_PGM_RSRC2:SCRATCH_EN: 0
; COMPUTE_PGM_RSRC2:USER_SGPR: 6
; COMPUTE_PGM_RSRC2:TRAP_HANDLER: 0
; COMPUTE_PGM_RSRC2:TGID_X_EN: 1
; COMPUTE_PGM_RSRC2:TGID_Y_EN: 0
; COMPUTE_PGM_RSRC2:TGID_Z_EN: 1
; COMPUTE_PGM_RSRC2:TIDIG_COMP_CNT: 1
; COMPUTE_PGM_RSRC3_GFX90A:ACCUM_OFFSET: 40
; COMPUTE_PGM_RSRC3_GFX90A:TG_SPLIT: 0
	.section	.text._ZL36rocblas_hemvn_kernel_upper_block_sumILi64Ei19rocblas_complex_numIfEPKPS1_S1_EviT1_lS5_lT2_lT0_lPT3_i,"axG",@progbits,_ZL36rocblas_hemvn_kernel_upper_block_sumILi64Ei19rocblas_complex_numIfEPKPS1_S1_EviT1_lS5_lT2_lT0_lPT3_i,comdat
	.globl	_ZL36rocblas_hemvn_kernel_upper_block_sumILi64Ei19rocblas_complex_numIfEPKPS1_S1_EviT1_lS5_lT2_lT0_lPT3_i ; -- Begin function _ZL36rocblas_hemvn_kernel_upper_block_sumILi64Ei19rocblas_complex_numIfEPKPS1_S1_EviT1_lS5_lT2_lT0_lPT3_i
	.p2align	8
	.type	_ZL36rocblas_hemvn_kernel_upper_block_sumILi64Ei19rocblas_complex_numIfEPKPS1_S1_EviT1_lS5_lT2_lT0_lPT3_i,@function
_ZL36rocblas_hemvn_kernel_upper_block_sumILi64Ei19rocblas_complex_numIfEPKPS1_S1_EviT1_lS5_lT2_lT0_lPT3_i: ; @_ZL36rocblas_hemvn_kernel_upper_block_sumILi64Ei19rocblas_complex_numIfEPKPS1_S1_EviT1_lS5_lT2_lT0_lPT3_i
; %bb.0:
	s_load_dwordx4 s[8:11], s[4:5], 0x0
	s_load_dwordx2 s[2:3], s[4:5], 0x18
	s_mov_b32 s15, 0
	s_waitcnt lgkmcnt(0)
	s_or_b32 s0, s9, s10
	s_bitset0_b32 s0, 31
	s_mov_b32 s13, s10
	s_cmp_eq_u32 s0, 0
	v_cmp_eq_f32_e64 s[10:11], s2, 1.0
	v_cmp_eq_f32_e64 s[16:17], s3, 0
	s_cselect_b64 s[0:1], -1, 0
	s_and_b64 s[10:11], s[10:11], s[16:17]
	s_and_b64 s[10:11], s[0:1], s[10:11]
	s_and_b64 vcc, exec, s[10:11]
	s_cbranch_vccnz .LBB39_17
; %bb.1:
	s_load_dwordx4 s[20:23], s[4:5], 0x28
	s_load_dword s16, s[4:5], 0x38
	s_mov_b32 s14, s7
	s_lshl_b64 s[10:11], s[14:15], 3
	v_lshl_or_b32 v0, s6, 6, v0
	s_waitcnt lgkmcnt(0)
	s_add_u32 s10, s20, s10
	s_addc_u32 s11, s21, s11
	s_load_dwordx2 s[18:19], s[10:11], 0x0
	s_lshl_b64 s[20:21], s[22:23], 3
	s_mov_b32 s12, s9
	s_mov_b64 s[10:11], -1
	s_waitcnt lgkmcnt(0)
	s_add_u32 s7, s18, s20
	s_addc_u32 s15, s19, s21
	s_andn2_b64 vcc, exec, s[0:1]
	v_cmp_gt_i32_e64 s[0:1], s8, v0
	s_cbranch_vccnz .LBB39_7
; %bb.2:
	s_and_saveexec_b64 s[10:11], s[0:1]
	s_cbranch_execz .LBB39_6
; %bb.3:
	v_cmp_neq_f32_e64 s[0:1], s2, 0
	v_cmp_neq_f32_e64 s[18:19], s3, 0
	v_mul_lo_u32 v2, v0, s16
	v_ashrrev_i32_e32 v3, 31, v2
	s_or_b64 s[0:1], s[0:1], s[18:19]
	s_andn2_b64 vcc, exec, s[0:1]
	v_mov_b32_e32 v4, 0
	v_lshlrev_b64 v[2:3], 3, v[2:3]
	v_mov_b32_e32 v5, 0
	s_cbranch_vccnz .LBB39_5
; %bb.4:
	v_mov_b32_e32 v1, s15
	v_add_co_u32_e32 v4, vcc, s7, v2
	v_addc_co_u32_e32 v5, vcc, v1, v3, vcc
	global_load_dwordx2 v[6:7], v[4:5], off
	s_waitcnt vmcnt(0)
	v_pk_mul_f32 v[8:9], v[6:7], s[2:3] op_sel:[1,0]
	v_pk_fma_f32 v[4:5], v[6:7], s[2:3], v[8:9] op_sel:[0,0,1] op_sel_hi:[1,1,0] neg_lo:[0,0,1] neg_hi:[0,0,1]
	v_pk_fma_f32 v[6:7], v[6:7], s[2:3], v[8:9] op_sel:[0,0,1] op_sel_hi:[0,1,0]
	v_mov_b32_e32 v5, v7
.LBB39_5:
	v_mov_b32_e32 v1, s15
	v_add_co_u32_e32 v2, vcc, s7, v2
	v_addc_co_u32_e32 v3, vcc, v1, v3, vcc
	global_store_dwordx2 v[2:3], v[4:5], off
.LBB39_6:
	s_or_b64 exec, exec, s[10:11]
	s_mov_b64 s[10:11], 0
.LBB39_7:
	s_andn2_b64 vcc, exec, s[10:11]
	s_cbranch_vccnz .LBB39_17
; %bb.8:
	v_cmp_gt_i32_e32 vcc, s8, v0
	s_and_saveexec_b64 s[0:1], vcc
	s_cbranch_execz .LBB39_17
; %bb.9:
	v_mov_b32_e32 v3, 0
	s_cmp_lt_i32 s6, 0
	v_mov_b32_e32 v2, v3
	s_cbranch_scc1 .LBB39_12
; %bb.10:
	s_load_dwordx2 s[0:1], s[4:5], 0x48
	s_load_dword s10, s[4:5], 0x58
	s_ashr_i32 s9, s8, 31
	s_mul_hi_u32 s4, s8, s14
	s_mul_i32 s5, s9, s14
	s_add_i32 s4, s4, s5
	s_mul_i32 s11, s8, s14
	s_waitcnt lgkmcnt(0)
	s_mul_i32 s4, s4, s10
	s_mul_hi_u32 s5, s11, s10
	s_add_i32 s5, s5, s4
	s_mul_i32 s4, s11, s10
	s_lshl_b64 s[4:5], s[4:5], 3
	s_add_u32 s0, s0, s4
	v_mov_b32_e32 v1, 0
	s_addc_u32 s1, s1, s5
	v_lshlrev_b64 v[2:3], 3, v[0:1]
	v_mov_b32_e32 v5, s1
	v_add_co_u32_e32 v4, vcc, s0, v2
	s_lshl_b64 s[0:1], s[8:9], 3
	v_addc_co_u32_e32 v5, vcc, v5, v3, vcc
	s_add_i32 s4, s6, 1
	v_mov_b32_e32 v6, s1
	v_mov_b32_e32 v2, v1
	;; [unrolled: 1-line block ×3, first 2 shown]
.LBB39_11:                              ; =>This Inner Loop Header: Depth=1
	global_load_dwordx2 v[8:9], v[4:5], off
	s_add_i32 s4, s4, -1
	v_add_co_u32_e32 v4, vcc, s0, v4
	v_addc_co_u32_e32 v5, vcc, v5, v6, vcc
	s_cmp_eq_u32 s4, 0
	s_waitcnt vmcnt(0)
	v_pk_add_f32 v[2:3], v[2:3], v[8:9]
	s_cbranch_scc0 .LBB39_11
.LBB39_12:
	v_cmp_neq_f32_e64 s[0:1], s2, 0
	v_cmp_neq_f32_e64 s[4:5], s3, 0
	s_or_b64 s[0:1], s[0:1], s[4:5]
	v_pk_mul_f32 v[6:7], v[2:3], s[12:13] op_sel:[1,0]
	v_mul_lo_u32 v4, v0, s16
	s_andn2_b64 vcc, exec, s[0:1]
	v_pk_fma_f32 v[0:1], v[2:3], s[12:13], v[6:7] op_sel:[0,0,1] op_sel_hi:[0,1,0]
	v_ashrrev_i32_e32 v5, 31, v4
	s_cbranch_vccz .LBB39_14
; %bb.13:
	v_pk_mul_f32 v[8:9], v[2:3], s[12:13] op_sel_hi:[0,1]
	v_sub_f32_e32 v0, v8, v7
	s_cbranch_execz .LBB39_15
	s_branch .LBB39_16
.LBB39_14:
.LBB39_15:
	v_lshlrev_b64 v[8:9], 3, v[4:5]
	v_mov_b32_e32 v0, s15
	v_add_co_u32_e32 v8, vcc, s7, v8
	v_addc_co_u32_e32 v9, vcc, v0, v9, vcc
	global_load_dwordx2 v[8:9], v[8:9], off
	v_pk_fma_f32 v[2:3], v[2:3], s[12:13], v[6:7] op_sel:[0,0,1] op_sel_hi:[1,1,0] neg_lo:[0,0,1] neg_hi:[0,0,1]
	v_mov_b32_e32 v3, v1
	s_waitcnt vmcnt(0)
	v_pk_mul_f32 v[6:7], v[8:9], s[2:3] op_sel:[1,0]
	v_pk_fma_f32 v[10:11], v[8:9], s[2:3], v[6:7] op_sel:[0,0,1] op_sel_hi:[1,1,0] neg_lo:[0,0,1] neg_hi:[0,0,1]
	v_pk_fma_f32 v[6:7], v[8:9], s[2:3], v[6:7] op_sel:[0,0,1] op_sel_hi:[0,1,0]
	v_mov_b32_e32 v11, v7
	v_pk_add_f32 v[0:1], v[2:3], v[10:11]
.LBB39_16:
	v_lshlrev_b64 v[2:3], 3, v[4:5]
	v_mov_b32_e32 v4, s15
	v_add_co_u32_e32 v2, vcc, s7, v2
	v_addc_co_u32_e32 v3, vcc, v4, v3, vcc
	global_store_dwordx2 v[2:3], v[0:1], off
.LBB39_17:
	s_endpgm
	.section	.rodata,"a",@progbits
	.p2align	6, 0x0
	.amdhsa_kernel _ZL36rocblas_hemvn_kernel_upper_block_sumILi64Ei19rocblas_complex_numIfEPKPS1_S1_EviT1_lS5_lT2_lT0_lPT3_i
		.amdhsa_group_segment_fixed_size 0
		.amdhsa_private_segment_fixed_size 0
		.amdhsa_kernarg_size 344
		.amdhsa_user_sgpr_count 6
		.amdhsa_user_sgpr_private_segment_buffer 1
		.amdhsa_user_sgpr_dispatch_ptr 0
		.amdhsa_user_sgpr_queue_ptr 0
		.amdhsa_user_sgpr_kernarg_segment_ptr 1
		.amdhsa_user_sgpr_dispatch_id 0
		.amdhsa_user_sgpr_flat_scratch_init 0
		.amdhsa_user_sgpr_kernarg_preload_length 0
		.amdhsa_user_sgpr_kernarg_preload_offset 0
		.amdhsa_user_sgpr_private_segment_size 0
		.amdhsa_uses_dynamic_stack 0
		.amdhsa_system_sgpr_private_segment_wavefront_offset 0
		.amdhsa_system_sgpr_workgroup_id_x 1
		.amdhsa_system_sgpr_workgroup_id_y 0
		.amdhsa_system_sgpr_workgroup_id_z 1
		.amdhsa_system_sgpr_workgroup_info 0
		.amdhsa_system_vgpr_workitem_id 0
		.amdhsa_next_free_vgpr 12
		.amdhsa_next_free_sgpr 24
		.amdhsa_accum_offset 12
		.amdhsa_reserve_vcc 1
		.amdhsa_reserve_flat_scratch 0
		.amdhsa_float_round_mode_32 0
		.amdhsa_float_round_mode_16_64 0
		.amdhsa_float_denorm_mode_32 3
		.amdhsa_float_denorm_mode_16_64 3
		.amdhsa_dx10_clamp 1
		.amdhsa_ieee_mode 1
		.amdhsa_fp16_overflow 0
		.amdhsa_tg_split 0
		.amdhsa_exception_fp_ieee_invalid_op 0
		.amdhsa_exception_fp_denorm_src 0
		.amdhsa_exception_fp_ieee_div_zero 0
		.amdhsa_exception_fp_ieee_overflow 0
		.amdhsa_exception_fp_ieee_underflow 0
		.amdhsa_exception_fp_ieee_inexact 0
		.amdhsa_exception_int_div_zero 0
	.end_amdhsa_kernel
	.section	.text._ZL36rocblas_hemvn_kernel_upper_block_sumILi64Ei19rocblas_complex_numIfEPKPS1_S1_EviT1_lS5_lT2_lT0_lPT3_i,"axG",@progbits,_ZL36rocblas_hemvn_kernel_upper_block_sumILi64Ei19rocblas_complex_numIfEPKPS1_S1_EviT1_lS5_lT2_lT0_lPT3_i,comdat
.Lfunc_end39:
	.size	_ZL36rocblas_hemvn_kernel_upper_block_sumILi64Ei19rocblas_complex_numIfEPKPS1_S1_EviT1_lS5_lT2_lT0_lPT3_i, .Lfunc_end39-_ZL36rocblas_hemvn_kernel_upper_block_sumILi64Ei19rocblas_complex_numIfEPKPS1_S1_EviT1_lS5_lT2_lT0_lPT3_i
                                        ; -- End function
	.section	.AMDGPU.csdata,"",@progbits
; Kernel info:
; codeLenInByte = 688
; NumSgprs: 28
; NumVgprs: 12
; NumAgprs: 0
; TotalNumVgprs: 12
; ScratchSize: 0
; MemoryBound: 0
; FloatMode: 240
; IeeeMode: 1
; LDSByteSize: 0 bytes/workgroup (compile time only)
; SGPRBlocks: 3
; VGPRBlocks: 1
; NumSGPRsForWavesPerEU: 28
; NumVGPRsForWavesPerEU: 12
; AccumOffset: 12
; Occupancy: 8
; WaveLimiterHint : 1
; COMPUTE_PGM_RSRC2:SCRATCH_EN: 0
; COMPUTE_PGM_RSRC2:USER_SGPR: 6
; COMPUTE_PGM_RSRC2:TRAP_HANDLER: 0
; COMPUTE_PGM_RSRC2:TGID_X_EN: 1
; COMPUTE_PGM_RSRC2:TGID_Y_EN: 0
; COMPUTE_PGM_RSRC2:TGID_Z_EN: 1
; COMPUTE_PGM_RSRC2:TIDIG_COMP_CNT: 0
; COMPUTE_PGM_RSRC3_GFX90A:ACCUM_OFFSET: 2
; COMPUTE_PGM_RSRC3_GFX90A:TG_SPLIT: 0
	.section	.text._ZL26rocblas_hemvn_kernel_lowerILb1ELi64ELi4ELi33ELi32ELi16ElPK19rocblas_complex_numIfEPKS3_PS1_EviT6_lT7_lT5_lS8_lS9_lS7_lT8_i,"axG",@progbits,_ZL26rocblas_hemvn_kernel_lowerILb1ELi64ELi4ELi33ELi32ELi16ElPK19rocblas_complex_numIfEPKS3_PS1_EviT6_lT7_lT5_lS8_lS9_lS7_lT8_i,comdat
	.globl	_ZL26rocblas_hemvn_kernel_lowerILb1ELi64ELi4ELi33ELi32ELi16ElPK19rocblas_complex_numIfEPKS3_PS1_EviT6_lT7_lT5_lS8_lS9_lS7_lT8_i ; -- Begin function _ZL26rocblas_hemvn_kernel_lowerILb1ELi64ELi4ELi33ELi32ELi16ElPK19rocblas_complex_numIfEPKS3_PS1_EviT6_lT7_lT5_lS8_lS9_lS7_lT8_i
	.p2align	8
	.type	_ZL26rocblas_hemvn_kernel_lowerILb1ELi64ELi4ELi33ELi32ELi16ElPK19rocblas_complex_numIfEPKS3_PS1_EviT6_lT7_lT5_lS8_lS9_lS7_lT8_i,@function
_ZL26rocblas_hemvn_kernel_lowerILb1ELi64ELi4ELi33ELi32ELi16ElPK19rocblas_complex_numIfEPKS3_PS1_EviT6_lT7_lT5_lS8_lS9_lS7_lT8_i: ; @_ZL26rocblas_hemvn_kernel_lowerILb1ELi64ELi4ELi33ELi32ELi16ElPK19rocblas_complex_numIfEPKS3_PS1_EviT6_lT7_lT5_lS8_lS9_lS7_lT8_i
; %bb.0:
	s_load_dwordx2 s[0:1], s[4:5], 0x84
	s_add_u32 s18, s4, 0x78
	s_addc_u32 s19, s5, 0
	s_waitcnt lgkmcnt(0)
	s_lshr_b32 s2, s0, 16
	s_and_b32 s0, s0, 0xffff
	s_and_b32 s1, s1, 0xffff
	s_mul_i32 s0, s2, s0
	s_mul_i32 s0, s0, s1
	s_cmpk_lg_i32 s0, 0x100
	s_cbranch_scc1 .LBB40_135
; %bb.1:
	s_load_dwordx8 s[8:15], s[4:5], 0x8
	s_mov_b32 s26, s7
	s_mov_b32 s27, 0
	s_waitcnt lgkmcnt(0)
	s_mul_i32 s0, s7, s11
	s_mul_hi_u32 s1, s7, s10
	s_add_i32 s1, s1, s0
	s_mul_i32 s0, s7, s10
	s_lshl_b64 s[0:1], s[0:1], 3
	s_add_u32 s8, s8, s0
	s_addc_u32 s9, s9, s1
	s_load_dwordx2 s[10:11], s[8:9], 0x0
	s_load_dwordx2 s[28:29], s[4:5], 0x68
	;; [unrolled: 1-line block ×3, first 2 shown]
	s_load_dwordx4 s[0:3], s[4:5], 0x58
	s_waitcnt lgkmcnt(0)
	s_or_b32 s7, s10, s11
	s_bitset0_b32 s7, 31
	s_cmp_lg_u32 s7, 0
	s_cselect_b64 s[22:23], -1, 0
	s_and_b64 vcc, exec, s[22:23]
	s_cbranch_vccnz .LBB40_4
; %bb.2:
	s_mul_i32 s3, s26, s3
	s_mul_hi_u32 s7, s26, s2
	s_add_i32 s3, s7, s3
	s_mul_i32 s2, s26, s2
	s_lshl_b64 s[2:3], s[2:3], 3
	s_add_u32 s0, s0, s2
	s_addc_u32 s1, s1, s3
	s_load_dwordx2 s[0:1], s[0:1], 0x0
                                        ; implicit-def: $sgpr16_sgpr17
	s_waitcnt lgkmcnt(0)
	v_cmp_eq_f32_e64 s[2:3], s0, 1.0
	v_cmp_eq_f32_e64 s[0:1], s1, 0
	s_and_b64 s[0:1], s[2:3], s[0:1]
	s_mov_b64 s[2:3], 0
	s_andn2_b64 vcc, exec, s[0:1]
	s_mov_b64 s[0:1], 0
	s_cbranch_vccz .LBB40_5
; %bb.3:
	s_mov_b64 s[0:1], -1
	s_mov_b64 s[16:17], 0
	s_branch .LBB40_5
.LBB40_4:
	s_mov_b64 s[2:3], -1
	s_mov_b64 s[0:1], 0
                                        ; implicit-def: $sgpr16_sgpr17
.LBB40_5:
	s_and_b64 vcc, exec, s[2:3]
	s_cbranch_vccz .LBB40_7
; %bb.6:
	s_lshl_b64 s[0:1], s[26:27], 3
	s_add_u32 s0, s12, s0
	s_addc_u32 s1, s13, s1
	s_load_dwordx2 s[0:1], s[0:1], 0x0
	s_lshl_b64 s[2:3], s[14:15], 3
	s_waitcnt lgkmcnt(0)
	s_add_u32 s16, s0, s2
	s_addc_u32 s17, s1, s3
	s_mov_b64 s[0:1], -1
.LBB40_7:
	s_andn2_b64 vcc, exec, s[0:1]
	s_cbranch_vccnz .LBB40_135
; %bb.8:
	s_load_dwordx4 s[8:11], s[4:5], 0x38
	s_load_dwordx2 s[20:21], s[4:5], 0x48
	v_cndmask_b32_e64 v1, 0, 1, s[22:23]
	v_cmp_ne_u32_e64 s[0:1], 1, v1
	s_andn2_b64 vcc, exec, s[22:23]
	s_mov_b64 s[2:3], 0
	s_cbranch_vccnz .LBB40_10
; %bb.9:
	s_lshl_b64 s[2:3], s[26:27], 3
	s_waitcnt lgkmcnt(0)
	s_add_u32 s2, s8, s2
	s_addc_u32 s3, s9, s3
	s_load_dwordx2 s[2:3], s[2:3], 0x0
	s_lshl_b64 s[8:9], s[10:11], 3
	s_waitcnt lgkmcnt(0)
	s_add_u32 s2, s2, s8
	s_addc_u32 s3, s3, s9
.LBB40_10:
	s_and_b64 vcc, exec, s[0:1]
	s_cbranch_vccnz .LBB40_135
; %bb.11:
	s_load_dword s27, s[18:19], 0x0
	s_load_dword s7, s[4:5], 0x0
	v_and_b32_e32 v26, 0x3ff, v0
	s_lshl_b32 s34, s6, 6
	v_add_u32_e32 v16, s34, v26
	s_waitcnt lgkmcnt(0)
	s_add_i32 s0, s27, -1
	s_ashr_i32 s33, s7, 31
	s_lshr_b32 s1, s33, 26
	s_add_i32 s1, s7, s1
	s_andn2_b32 s1, s1, 63
	s_sub_i32 s1, s7, s1
	s_cmp_eq_u32 s6, s0
	v_ashrrev_i32_e32 v17, 31, v16
	v_bfe_u32 v72, v0, 10, 10
	s_cselect_b32 s30, s1, 0
	v_mul_lo_u32 v2, v17, s20
	v_mul_lo_u32 v3, v16, s21
	v_mad_u64_u32 v[0:1], s[0:1], v16, s20, 0
	v_add3_u32 v1, v1, v3, v2
	v_lshlrev_b64 v[0:1], 3, v[0:1]
	v_mov_b32_e32 v2, s3
	v_add_co_u32_e32 v20, vcc, s2, v0
	v_addc_co_u32_e32 v21, vcc, v2, v1, vcc
	v_cmp_ne_u32_e64 s[0:1], 0, v72
	v_cmp_eq_u32_e64 s[2:3], 0, v72
	s_and_saveexec_b64 s[4:5], s[2:3]
	s_cbranch_execz .LBB40_16
; %bb.12:
	s_cmp_lg_u32 s30, 0
	s_cselect_b64 s[8:9], -1, 0
	v_cmp_le_i32_e32 vcc, s30, v26
	v_mov_b32_e32 v0, 0x2380
	s_and_b64 s[8:9], s[8:9], vcc
	v_lshl_add_u32 v0, v26, 3, v0
	s_and_saveexec_b64 s[10:11], s[8:9]
	s_xor_b64 s[8:9], exec, s[10:11]
	s_cbranch_execz .LBB40_14
; %bb.13:
	v_mov_b32_e32 v2, 0
	v_mov_b32_e32 v3, v2
	ds_write_b64 v0, v[2:3]
                                        ; implicit-def: $vgpr0
.LBB40_14:
	s_andn2_saveexec_b64 s[8:9], s[8:9]
	s_cbranch_execz .LBB40_16
; %bb.15:
	flat_load_dwordx2 v[2:3], v[20:21]
	s_waitcnt vmcnt(0) lgkmcnt(0)
	ds_write_b64 v0, v[2:3]
.LBB40_16:
	s_or_b64 exec, exec, s[4:5]
	s_ashr_i32 s35, s34, 31
	v_lshl_add_u32 v27, v72, 6, v26
	s_lshl_b64 s[4:5], s[34:35], 3
	v_and_b32_e32 v0, 31, v26
	v_lshrrev_b32_e32 v8, 5, v27
	s_add_u32 s8, s16, s4
	v_mov_b32_e32 v1, 0
	s_addc_u32 s9, s17, s5
	v_mad_u64_u32 v[2:3], s[4:5], v8, s24, v[0:1]
	v_mov_b32_e32 v4, v3
	v_mad_u64_u32 v[4:5], s[4:5], v8, s25, v[4:5]
	s_mul_i32 s4, s34, s25
	s_mul_hi_u32 s5, s34, s24
	s_add_i32 s4, s5, s4
	s_mul_i32 s5, s35, s24
	s_add_i32 s5, s4, s5
	s_mul_i32 s4, s34, s24
	s_lshl_b64 s[36:37], s[4:5], 3
	v_mov_b32_e32 v3, v4
	s_add_u32 s4, s36, s8
	v_lshlrev_b64 v[22:23], 3, v[2:3]
	s_addc_u32 s5, s37, s9
	v_mov_b32_e32 v1, s5
	v_add_co_u32_e32 v2, vcc, s4, v22
	s_cmp_lg_u32 s30, 0
	v_addc_co_u32_e32 v3, vcc, v1, v23, vcc
	s_cselect_b64 s[38:39], -1, 0
	s_cmp_eq_u32 s30, 0
	s_cselect_b64 s[40:41], -1, 0
	s_and_b64 vcc, exec, s[38:39]
	s_cbranch_vccnz .LBB40_18
; %bb.17:
	flat_load_dwordx2 v[4:5], v[2:3]
	v_mul_u32_u24_e32 v1, 33, v8
	s_lshl_b64 s[4:5], s[24:25], 6
	v_add_lshl_u32 v1, v1, v0, 3
	v_mov_b32_e32 v9, s5
	v_add_co_u32_e32 v6, vcc, s4, v2
	v_addc_co_u32_e32 v7, vcc, v3, v9, vcc
	s_mul_i32 s8, s25, 0xc0
	s_waitcnt vmcnt(0) lgkmcnt(0)
	ds_write_b64 v1, v[4:5]
	flat_load_dwordx2 v[4:5], v[6:7]
	v_add_co_u32_e32 v6, vcc, s4, v6
	v_addc_co_u32_e32 v7, vcc, v7, v9, vcc
	s_waitcnt vmcnt(0) lgkmcnt(0)
	ds_write_b64 v1, v[4:5] offset:2112
	flat_load_dwordx2 v[4:5], v[6:7]
	v_mov_b32_e32 v6, 0xc0
	v_mad_u64_u32 v[6:7], s[4:5], s24, v6, v[2:3]
	v_add_u32_e32 v7, s8, v7
	s_waitcnt vmcnt(0) lgkmcnt(0)
	ds_write_b64 v1, v[4:5] offset:4224
	flat_load_dwordx2 v[4:5], v[6:7]
	s_waitcnt vmcnt(0) lgkmcnt(0)
	ds_write_b64 v1, v[4:5] offset:6336
	s_cbranch_execz .LBB40_19
	s_branch .LBB40_34
.LBB40_18:
.LBB40_19:
	v_lshlrev_b32_e32 v1, 3, v0
	v_sub_co_u32_e32 v4, vcc, v2, v1
	s_ashr_i32 s31, s30, 31
	v_subbrev_co_u32_e32 v5, vcc, 0, v3, vcc
	s_lshl_b64 s[8:9], s[30:31], 3
	v_mov_b32_e32 v6, s9
	v_add_co_u32_e32 v4, vcc, s8, v4
	v_addc_co_u32_e32 v5, vcc, v5, v6, vcc
	v_add_co_u32_e32 v4, vcc, -8, v4
	v_addc_co_u32_e32 v5, vcc, -1, v5, vcc
	v_cmp_gt_i32_e32 vcc, s30, v0
	v_mov_b32_e32 v6, 0
	v_cndmask_b32_e32 v5, v5, v3, vcc
	v_cndmask_b32_e32 v4, v4, v2, vcc
	v_cmp_gt_i32_e64 s[4:5], s30, v8
	v_mov_b32_e32 v7, v6
	s_and_saveexec_b64 s[10:11], s[4:5]
	s_cbranch_execz .LBB40_21
; %bb.20:
	flat_load_dwordx2 v[6:7], v[4:5]
.LBB40_21:
	s_or_b64 exec, exec, s[10:11]
	v_mul_u32_u24_e32 v9, 33, v8
	v_add_lshl_u32 v9, v9, v0, 3
	s_waitcnt vmcnt(0) lgkmcnt(0)
	ds_write_b64 v9, v[6:7]
	v_add_u32_e32 v6, 8, v8
	v_cmp_le_i32_e64 s[4:5], s30, v6
	s_and_saveexec_b64 s[10:11], s[4:5]
	s_xor_b64 s[4:5], exec, s[10:11]
	s_cbranch_execz .LBB40_23
; %bb.22:
	v_mul_u32_u24_e32 v6, 33, v6
	v_add_lshl_u32 v10, v6, v0, 3
	v_mov_b32_e32 v6, 0
	v_mov_b32_e32 v7, v6
	ds_write_b64 v10, v[6:7]
.LBB40_23:
	s_andn2_saveexec_b64 s[10:11], s[4:5]
	s_cbranch_execz .LBB40_25
; %bb.24:
	s_lshl_b64 s[4:5], s[24:25], 6
	v_mov_b32_e32 v7, s5
	v_add_co_u32_e64 v6, s[4:5], s4, v4
	v_addc_co_u32_e64 v7, s[4:5], v5, v7, s[4:5]
	flat_load_dwordx2 v[6:7], v[6:7]
	s_waitcnt vmcnt(0) lgkmcnt(0)
	ds_write_b64 v9, v[6:7] offset:2112
.LBB40_25:
	s_or_b64 exec, exec, s[10:11]
	v_add_u32_e32 v6, 16, v8
	v_cmp_le_i32_e64 s[4:5], s30, v6
	s_and_saveexec_b64 s[10:11], s[4:5]
	s_xor_b64 s[4:5], exec, s[10:11]
	s_cbranch_execz .LBB40_27
; %bb.26:
	v_mov_b32_e32 v6, 0
	v_mov_b32_e32 v7, v6
	ds_write_b64 v9, v[6:7] offset:4224
.LBB40_27:
	s_andn2_saveexec_b64 s[10:11], s[4:5]
	s_cbranch_execz .LBB40_29
; %bb.28:
	s_lshl_b64 s[4:5], s[24:25], 7
	v_mov_b32_e32 v7, s5
	v_add_co_u32_e64 v6, s[4:5], s4, v4
	v_addc_co_u32_e64 v7, s[4:5], v5, v7, s[4:5]
	flat_load_dwordx2 v[6:7], v[6:7]
	s_waitcnt vmcnt(0) lgkmcnt(0)
	ds_write_b64 v9, v[6:7] offset:4224
.LBB40_29:
	s_or_b64 exec, exec, s[10:11]
	v_add_u32_e32 v6, 24, v8
	v_cmp_le_i32_e64 s[4:5], s30, v6
	s_and_saveexec_b64 s[10:11], s[4:5]
	s_xor_b64 s[4:5], exec, s[10:11]
	s_cbranch_execz .LBB40_31
; %bb.30:
	v_mov_b32_e32 v6, 0
	v_mov_b32_e32 v7, v6
	ds_write_b64 v9, v[6:7] offset:6336
                                        ; implicit-def: $vgpr9
.LBB40_31:
	s_andn2_saveexec_b64 s[4:5], s[4:5]
	s_cbranch_execz .LBB40_33
; %bb.32:
	v_mov_b32_e32 v6, 0xc0
	v_mad_u64_u32 v[6:7], s[10:11], s24, v6, v[4:5]
	s_mul_i32 s10, s25, 0xc0
	v_add_u32_e32 v7, s10, v7
	flat_load_dwordx2 v[6:7], v[6:7]
	s_waitcnt vmcnt(0) lgkmcnt(0)
	ds_write_b64 v9, v[6:7] offset:6336
.LBB40_33:
	s_or_b64 exec, exec, s[4:5]
	v_add_co_u32_e64 v1, s[4:5], v4, v1
	v_addc_co_u32_e64 v4, s[4:5], 0, v5, s[4:5]
	v_mov_b32_e32 v5, s9
	v_subrev_co_u32_e64 v1, s[4:5], s8, v1
	v_subb_co_u32_e64 v4, s[4:5], v4, v5, s[4:5]
	v_add_co_u32_e64 v1, s[4:5], 8, v1
	v_addc_co_u32_e64 v4, s[4:5], 0, v4, s[4:5]
	v_cndmask_b32_e32 v3, v4, v3, vcc
	v_cndmask_b32_e32 v2, v1, v2, vcc
.LBB40_34:
	v_lshlrev_b32_e32 v9, 2, v8
	v_cmp_ge_u32_e64 s[18:19], v9, v0
	s_waitcnt lgkmcnt(0)
	s_barrier
	s_and_saveexec_b64 s[4:5], s[18:19]
	s_xor_b64 s[4:5], exec, s[4:5]
	s_cbranch_execz .LBB40_38
; %bb.35:
	v_cmp_eq_u32_e32 vcc, v9, v0
	s_and_saveexec_b64 s[8:9], vcc
	s_cbranch_execz .LBB40_37
; %bb.36:
	v_mul_u32_u24_e32 v1, 34, v0
	v_lshlrev_b32_e32 v1, 3, v1
	v_mov_b32_e32 v4, 0
	ds_write_b32 v1, v4 offset:4
.LBB40_37:
	s_or_b64 exec, exec, s[8:9]
.LBB40_38:
	s_or_saveexec_b64 s[4:5], s[4:5]
	v_mul_u32_u24_e32 v28, 33, v0
	v_add_lshl_u32 v12, v9, v28, 3
	s_xor_b64 exec, exec, s[4:5]
	s_cbranch_execz .LBB40_40
; %bb.39:
	v_mul_u32_u24_e32 v1, 0x84, v8
	v_add_lshl_u32 v1, v1, v0, 3
	ds_read_b64 v[4:5], v1
	s_waitcnt lgkmcnt(0)
	v_xor_b32_e32 v5, 0x80000000, v5
	ds_write_b64 v12, v[4:5]
.LBB40_40:
	s_or_b64 exec, exec, s[4:5]
	v_or_b32_e32 v10, 1, v9
	v_cmp_ge_u32_e64 s[8:9], v10, v0
	s_and_saveexec_b64 s[4:5], s[8:9]
	s_xor_b64 s[4:5], exec, s[4:5]
	s_cbranch_execz .LBB40_44
; %bb.41:
	v_cmp_eq_u32_e32 vcc, v10, v0
	s_and_saveexec_b64 s[10:11], vcc
	s_cbranch_execz .LBB40_43
; %bb.42:
	v_mul_u32_u24_e32 v1, 34, v0
	v_lshlrev_b32_e32 v1, 3, v1
	v_mov_b32_e32 v4, 0
	ds_write_b32 v1, v4 offset:4
.LBB40_43:
	s_or_b64 exec, exec, s[10:11]
.LBB40_44:
	s_or_saveexec_b64 s[4:5], s[4:5]
	v_mul_u32_u24_e32 v1, 33, v10
	s_xor_b64 exec, exec, s[4:5]
	s_cbranch_execz .LBB40_46
; %bb.45:
	v_add_lshl_u32 v4, v1, v0, 3
	ds_read_b64 v[4:5], v4
	s_waitcnt lgkmcnt(0)
	v_xor_b32_e32 v5, 0x80000000, v5
	ds_write_b64 v12, v[4:5] offset:8
.LBB40_46:
	s_or_b64 exec, exec, s[4:5]
	v_or_b32_e32 v11, 2, v9
	v_cmp_ge_u32_e64 s[10:11], v11, v0
	s_and_saveexec_b64 s[4:5], s[10:11]
	s_xor_b64 s[4:5], exec, s[4:5]
	s_cbranch_execz .LBB40_50
; %bb.47:
	v_cmp_eq_u32_e32 vcc, v11, v0
	s_and_saveexec_b64 s[12:13], vcc
	s_cbranch_execz .LBB40_49
; %bb.48:
	v_mul_u32_u24_e32 v4, 34, v0
	v_lshlrev_b32_e32 v4, 3, v4
	v_mov_b32_e32 v5, 0
	ds_write_b32 v4, v5 offset:4
.LBB40_49:
	s_or_b64 exec, exec, s[12:13]
.LBB40_50:
	s_andn2_saveexec_b64 s[4:5], s[4:5]
	s_cbranch_execz .LBB40_52
; %bb.51:
	v_mul_u32_u24_e32 v4, 33, v11
	v_add_lshl_u32 v4, v4, v0, 3
	ds_read_b64 v[4:5], v4
	s_waitcnt lgkmcnt(0)
	v_xor_b32_e32 v5, 0x80000000, v5
	ds_write_b64 v12, v[4:5] offset:16
.LBB40_52:
	s_or_b64 exec, exec, s[4:5]
	v_or_b32_e32 v13, 3, v9
	v_cmp_ge_u32_e64 s[12:13], v13, v0
	s_and_saveexec_b64 s[4:5], s[12:13]
	s_xor_b64 s[4:5], exec, s[4:5]
	s_cbranch_execz .LBB40_56
; %bb.53:
	v_cmp_eq_u32_e32 vcc, v13, v0
	s_and_saveexec_b64 s[14:15], vcc
	s_cbranch_execz .LBB40_55
; %bb.54:
	v_mul_u32_u24_e32 v4, 34, v0
	v_lshlrev_b32_e32 v4, 3, v4
	v_mov_b32_e32 v5, 0
	ds_write_b32 v4, v5 offset:4
.LBB40_55:
	s_or_b64 exec, exec, s[14:15]
.LBB40_56:
	s_andn2_saveexec_b64 s[4:5], s[4:5]
	s_cbranch_execz .LBB40_58
; %bb.57:
	v_mul_u32_u24_e32 v4, 33, v13
	v_add_lshl_u32 v4, v4, v0, 3
	ds_read_b64 v[4:5], v4
	s_waitcnt lgkmcnt(0)
	v_xor_b32_e32 v5, 0x80000000, v5
	ds_write_b64 v12, v[4:5] offset:24
.LBB40_58:
	s_or_b64 exec, exec, s[4:5]
	v_mul_u32_u24_e32 v4, 0x84, v8
	v_lshlrev_b32_e32 v24, 3, v9
	s_waitcnt lgkmcnt(0)
	s_barrier
	v_add_lshl_u32 v15, v4, v0, 3
	v_add_lshl_u32 v14, v1, v0, 3
	ds_read_b128 v[4:7], v24 offset:9088
	ds_read_b64 v[18:19], v15
	ds_read2_b64 v[30:33], v14 offset1:33
	ds_read_b64 v[38:39], v14 offset:528
	ds_read_b128 v[34:37], v24 offset:9104
	s_mov_b32 s14, 0
	s_waitcnt lgkmcnt(3)
	v_pk_mul_f32 v[40:41], v[4:5], v[18:19] op_sel:[0,1]
	v_pk_fma_f32 v[42:43], v[4:5], v[18:19], v[40:41] op_sel:[0,0,1] op_sel_hi:[1,1,0] neg_lo:[0,0,1] neg_hi:[0,0,1]
	v_pk_fma_f32 v[4:5], v[4:5], v[18:19], v[40:41] op_sel:[0,0,1] op_sel_hi:[1,0,0]
	s_waitcnt lgkmcnt(2)
	v_pk_mul_f32 v[18:19], v[6:7], v[30:31] op_sel:[0,1]
	v_pk_fma_f32 v[40:41], v[6:7], v[30:31], v[18:19] op_sel:[0,0,1] op_sel_hi:[1,1,0] neg_lo:[0,0,1] neg_hi:[0,0,1]
	v_pk_fma_f32 v[6:7], v[6:7], v[30:31], v[18:19] op_sel:[0,0,1] op_sel_hi:[1,0,0]
	v_mov_b32_e32 v43, v5
	v_mov_b32_e32 v41, v7
	s_waitcnt lgkmcnt(0)
	v_pk_mul_f32 v[6:7], v[34:35], v[32:33] op_sel:[0,1]
	v_pk_add_f32 v[4:5], v[42:43], 0 op_sel_hi:[1,0]
	v_pk_fma_f32 v[18:19], v[34:35], v[32:33], v[6:7] op_sel:[0,0,1] op_sel_hi:[1,1,0] neg_lo:[0,0,1] neg_hi:[0,0,1]
	v_pk_fma_f32 v[6:7], v[34:35], v[32:33], v[6:7] op_sel:[0,0,1] op_sel_hi:[1,0,0]
	v_pk_add_f32 v[4:5], v[4:5], v[40:41]
	v_mov_b32_e32 v19, v7
	v_pk_mul_f32 v[6:7], v[36:37], v[38:39] op_sel:[0,1]
	v_pk_add_f32 v[4:5], v[4:5], v[18:19]
	v_pk_fma_f32 v[18:19], v[36:37], v[38:39], v[6:7] op_sel:[0,0,1] op_sel_hi:[1,1,0] neg_lo:[0,0,1] neg_hi:[0,0,1]
	v_pk_fma_f32 v[6:7], v[36:37], v[38:39], v[6:7] op_sel:[0,0,1] op_sel_hi:[1,0,0]
	s_mov_b32 s15, s14
	v_mov_b32_e32 v19, v7
	v_add_lshl_u32 v29, v8, v28, 3
	v_pk_add_f32 v[4:5], v[4:5], v[18:19]
	v_cmp_gt_u32_e64 s[4:5], 32, v27
	v_pk_mov_b32 v[18:19], s[14:15], s[14:15] op_sel:[0,1]
	s_barrier
	ds_write_b64 v29, v[4:5]
	s_waitcnt lgkmcnt(0)
	s_barrier
	s_and_saveexec_b64 s[14:15], s[4:5]
	s_cbranch_execz .LBB40_60
; %bb.59:
	v_lshlrev_b32_e32 v1, 3, v28
	ds_read2_b64 v[4:7], v1 offset1:7
	ds_read2_b64 v[30:33], v1 offset0:1 offset1:2
	ds_read2_b64 v[34:37], v1 offset0:3 offset1:4
	s_waitcnt lgkmcnt(1)
	v_add_f32_e32 v4, v30, v4
	v_add_f32_e32 v5, v31, v5
	;; [unrolled: 1-line block ×4, first 2 shown]
	ds_read2_b64 v[30:33], v1 offset0:5 offset1:6
	s_waitcnt lgkmcnt(1)
	v_add_f32_e32 v1, v4, v34
	v_add_f32_e32 v4, v5, v35
	;; [unrolled: 1-line block ×4, first 2 shown]
	s_waitcnt lgkmcnt(0)
	v_add_f32_e32 v1, v1, v30
	v_add_f32_e32 v5, v4, v31
	;; [unrolled: 1-line block ×4, first 2 shown]
	v_pk_add_f32 v[18:19], v[4:5], v[6:7]
.LBB40_60:
	s_or_b64 exec, exec, s[14:15]
	s_lshl_b64 s[22:23], s[24:25], 8
	v_mov_b32_e32 v1, s23
	v_add_co_u32_e32 v4, vcc, s22, v2
	v_addc_co_u32_e32 v5, vcc, v3, v1, vcc
	v_add_co_u32_e32 v2, vcc, 0x100, v4
	v_cndmask_b32_e64 v1, 0, 1, s[40:41]
	s_mov_b64 s[16:17], vcc
	v_cmp_ne_u32_e64 s[14:15], 1, v1
	s_andn2_b64 vcc, exec, s[40:41]
	v_addc_co_u32_e64 v1, s[16:17], 0, v5, s[16:17]
	s_barrier
	s_cbranch_vccnz .LBB40_62
; %bb.61:
	flat_load_dwordx2 v[6:7], v[4:5] offset:256
	v_mul_u32_u24_e32 v3, 33, v8
	s_lshl_b64 s[16:17], s[24:25], 6
	v_add_lshl_u32 v3, v3, v0, 3
	v_mov_b32_e32 v25, s17
	v_add_co_u32_e32 v30, vcc, s16, v4
	v_addc_co_u32_e32 v31, vcc, v5, v25, vcc
	s_mul_i32 s31, s25, 0xc0
	s_waitcnt vmcnt(0) lgkmcnt(0)
	ds_write_b64 v3, v[6:7]
	flat_load_dwordx2 v[6:7], v[30:31] offset:256
	v_add_co_u32_e32 v30, vcc, s16, v30
	v_addc_co_u32_e32 v31, vcc, v31, v25, vcc
	v_mov_b32_e32 v25, 0xc0
	v_mad_u64_u32 v[4:5], s[16:17], s24, v25, v[4:5]
	v_add_u32_e32 v5, s31, v5
	s_waitcnt vmcnt(0) lgkmcnt(0)
	ds_write_b64 v3, v[6:7] offset:2112
	flat_load_dwordx2 v[6:7], v[30:31] offset:256
	s_waitcnt vmcnt(0) lgkmcnt(0)
	ds_write_b64 v3, v[6:7] offset:4224
	flat_load_dwordx2 v[4:5], v[4:5] offset:256
	s_waitcnt vmcnt(0) lgkmcnt(0)
	ds_write_b64 v3, v[4:5] offset:6336
	s_cbranch_execz .LBB40_63
	s_branch .LBB40_78
.LBB40_62:
.LBB40_63:
	v_or_b32_e32 v3, 32, v0
	v_lshlrev_b32_e32 v4, 3, v3
	v_sub_co_u32_e32 v4, vcc, v2, v4
	s_ashr_i32 s31, s30, 31
	v_subbrev_co_u32_e32 v5, vcc, 0, v1, vcc
	s_lshl_b64 s[40:41], s[30:31], 3
	v_mov_b32_e32 v6, s41
	v_add_co_u32_e32 v4, vcc, s40, v4
	v_addc_co_u32_e32 v5, vcc, v5, v6, vcc
	v_add_co_u32_e32 v4, vcc, -8, v4
	v_addc_co_u32_e32 v5, vcc, -1, v5, vcc
	v_cmp_gt_i32_e64 s[16:17], s30, v3
	s_sub_i32 s31, s30, 32
	v_mov_b32_e32 v6, 0
	v_cndmask_b32_e64 v5, v5, v1, s[16:17]
	v_cndmask_b32_e64 v4, v4, v2, s[16:17]
	v_cmp_gt_i32_e32 vcc, s31, v8
	v_mov_b32_e32 v7, v6
	s_and_saveexec_b64 s[42:43], vcc
	s_cbranch_execz .LBB40_65
; %bb.64:
	flat_load_dwordx2 v[6:7], v[4:5]
.LBB40_65:
	s_or_b64 exec, exec, s[42:43]
	v_mul_u32_u24_e32 v3, 33, v8
	v_add_lshl_u32 v3, v3, v0, 3
	s_waitcnt vmcnt(0) lgkmcnt(0)
	ds_write_b64 v3, v[6:7]
	v_add_u32_e32 v6, 8, v8
	v_cmp_le_i32_e32 vcc, s31, v6
	s_and_saveexec_b64 s[42:43], vcc
	s_xor_b64 s[42:43], exec, s[42:43]
	s_cbranch_execz .LBB40_67
; %bb.66:
	v_mul_u32_u24_e32 v6, 33, v6
	v_add_lshl_u32 v25, v6, v0, 3
	v_mov_b32_e32 v6, 0
	v_mov_b32_e32 v7, v6
	ds_write_b64 v25, v[6:7]
.LBB40_67:
	s_andn2_saveexec_b64 s[42:43], s[42:43]
	s_cbranch_execz .LBB40_69
; %bb.68:
	s_lshl_b64 s[44:45], s[24:25], 6
	v_mov_b32_e32 v7, s45
	v_add_co_u32_e32 v6, vcc, s44, v4
	v_addc_co_u32_e32 v7, vcc, v5, v7, vcc
	flat_load_dwordx2 v[6:7], v[6:7]
	s_waitcnt vmcnt(0) lgkmcnt(0)
	ds_write_b64 v3, v[6:7] offset:2112
.LBB40_69:
	s_or_b64 exec, exec, s[42:43]
	v_add_u32_e32 v6, 16, v8
	v_cmp_le_i32_e32 vcc, s31, v6
	s_and_saveexec_b64 s[42:43], vcc
	s_xor_b64 s[42:43], exec, s[42:43]
	s_cbranch_execz .LBB40_71
; %bb.70:
	v_mov_b32_e32 v6, 0
	v_mov_b32_e32 v7, v6
	ds_write_b64 v3, v[6:7] offset:4224
.LBB40_71:
	s_andn2_saveexec_b64 s[42:43], s[42:43]
	s_cbranch_execz .LBB40_73
; %bb.72:
	s_lshl_b64 s[44:45], s[24:25], 7
	v_mov_b32_e32 v7, s45
	v_add_co_u32_e32 v6, vcc, s44, v4
	v_addc_co_u32_e32 v7, vcc, v5, v7, vcc
	flat_load_dwordx2 v[6:7], v[6:7]
	s_waitcnt vmcnt(0) lgkmcnt(0)
	ds_write_b64 v3, v[6:7] offset:4224
.LBB40_73:
	s_or_b64 exec, exec, s[42:43]
	v_add_u32_e32 v6, 24, v8
	v_cmp_le_i32_e32 vcc, s31, v6
	s_and_saveexec_b64 s[42:43], vcc
	s_xor_b64 s[42:43], exec, s[42:43]
	s_cbranch_execz .LBB40_75
; %bb.74:
	v_mov_b32_e32 v6, 0
	v_mov_b32_e32 v7, v6
	ds_write_b64 v3, v[6:7] offset:6336
                                        ; implicit-def: $vgpr3
.LBB40_75:
	s_andn2_saveexec_b64 s[42:43], s[42:43]
	s_cbranch_execz .LBB40_77
; %bb.76:
	v_mov_b32_e32 v6, 0xc0
	v_mad_u64_u32 v[6:7], s[44:45], s24, v6, v[4:5]
	s_mul_i32 s31, s25, 0xc0
	v_add_u32_e32 v7, s31, v7
	flat_load_dwordx2 v[6:7], v[6:7]
	s_waitcnt vmcnt(0) lgkmcnt(0)
	ds_write_b64 v3, v[6:7] offset:6336
.LBB40_77:
	s_or_b64 exec, exec, s[42:43]
	v_lshlrev_b32_e32 v3, 3, v0
	v_add_co_u32_e32 v3, vcc, v4, v3
	v_addc_co_u32_e32 v4, vcc, 0, v5, vcc
	v_mov_b32_e32 v5, s41
	v_subrev_co_u32_e32 v3, vcc, s40, v3
	v_subb_co_u32_e32 v4, vcc, v4, v5, vcc
	v_add_co_u32_e32 v3, vcc, 0x108, v3
	v_addc_co_u32_e32 v4, vcc, 0, v4, vcc
	v_cndmask_b32_e64 v1, v4, v1, s[16:17]
	v_cndmask_b32_e64 v2, v3, v2, s[16:17]
.LBB40_78:
	v_add_u32_e32 v6, 0x2380, v24
	s_lshl_b64 s[16:17], s[24:25], 5
	s_waitcnt lgkmcnt(0)
	s_barrier
	s_and_saveexec_b64 s[40:41], s[18:19]
	s_xor_b64 s[18:19], exec, s[40:41]
	s_cbranch_execnz .LBB40_91
; %bb.79:
	s_andn2_saveexec_b64 s[18:19], s[18:19]
	s_cbranch_execnz .LBB40_94
.LBB40_80:
	s_or_b64 exec, exec, s[18:19]
	s_and_saveexec_b64 s[18:19], s[8:9]
	s_xor_b64 s[8:9], exec, s[18:19]
	s_cbranch_execnz .LBB40_95
.LBB40_81:
	s_andn2_saveexec_b64 s[8:9], s[8:9]
	s_cbranch_execnz .LBB40_98
.LBB40_82:
	s_or_b64 exec, exec, s[8:9]
	s_and_saveexec_b64 s[8:9], s[10:11]
	s_xor_b64 s[8:9], exec, s[8:9]
	s_cbranch_execnz .LBB40_99
.LBB40_83:
	s_andn2_saveexec_b64 s[8:9], s[8:9]
	s_cbranch_execnz .LBB40_102
.LBB40_84:
	s_or_b64 exec, exec, s[8:9]
	s_and_saveexec_b64 s[8:9], s[12:13]
	s_xor_b64 s[8:9], exec, s[8:9]
	s_cbranch_execnz .LBB40_103
.LBB40_85:
	s_andn2_saveexec_b64 s[8:9], s[8:9]
	s_cbranch_execz .LBB40_87
.LBB40_86:
	ds_read_b64 v[4:5], v14 offset:528
	s_waitcnt lgkmcnt(0)
	v_xor_b32_e32 v5, 0x80000000, v5
	ds_write_b64 v12, v[4:5] offset:24
.LBB40_87:
	s_or_b64 exec, exec, s[8:9]
	s_waitcnt lgkmcnt(0)
	s_barrier
	ds_read_b64 v[4:5], v15
	ds_read_b128 v[30:33], v6 offset:256
	ds_read2_b64 v[34:37], v14 offset1:33
	ds_read_b64 v[10:11], v14 offset:528
	ds_read_b128 v[38:41], v6 offset:272
	v_cmp_eq_u32_e64 s[10:11], 1, v8
	s_waitcnt lgkmcnt(3)
	v_pk_mul_f32 v[14:15], v[30:31], v[4:5] op_sel:[0,1]
	v_pk_fma_f32 v[24:25], v[30:31], v[4:5], v[14:15] op_sel:[0,0,1] op_sel_hi:[1,1,0] neg_lo:[0,0,1] neg_hi:[0,0,1]
	v_pk_fma_f32 v[4:5], v[30:31], v[4:5], v[14:15] op_sel:[0,0,1] op_sel_hi:[1,0,0]
	v_mov_b32_e32 v25, v5
	s_waitcnt lgkmcnt(2)
	v_pk_mul_f32 v[14:15], v[32:33], v[34:35] op_sel:[0,1]
	v_pk_add_f32 v[4:5], v[24:25], 0 op_sel_hi:[1,0]
	v_pk_fma_f32 v[24:25], v[32:33], v[34:35], v[14:15] op_sel:[0,0,1] op_sel_hi:[1,1,0] neg_lo:[0,0,1] neg_hi:[0,0,1]
	v_pk_fma_f32 v[14:15], v[32:33], v[34:35], v[14:15] op_sel:[0,0,1] op_sel_hi:[1,0,0]
	v_mov_b32_e32 v25, v15
	s_waitcnt lgkmcnt(0)
	v_pk_mul_f32 v[14:15], v[38:39], v[36:37] op_sel:[0,1]
	v_pk_add_f32 v[4:5], v[4:5], v[24:25]
	v_pk_fma_f32 v[24:25], v[38:39], v[36:37], v[14:15] op_sel:[0,0,1] op_sel_hi:[1,1,0] neg_lo:[0,0,1] neg_hi:[0,0,1]
	v_pk_fma_f32 v[14:15], v[38:39], v[36:37], v[14:15] op_sel:[0,0,1] op_sel_hi:[1,0,0]
	v_mov_b32_e32 v25, v15
	v_pk_mul_f32 v[14:15], v[40:41], v[10:11] op_sel:[0,1]
	v_pk_add_f32 v[4:5], v[4:5], v[24:25]
	v_pk_fma_f32 v[24:25], v[40:41], v[10:11], v[14:15] op_sel:[0,0,1] op_sel_hi:[1,1,0] neg_lo:[0,0,1] neg_hi:[0,0,1]
	v_pk_fma_f32 v[10:11], v[40:41], v[10:11], v[14:15] op_sel:[0,0,1] op_sel_hi:[1,0,0]
	v_mov_b32_e32 v25, v11
	v_pk_add_f32 v[4:5], v[4:5], v[24:25]
	s_barrier
	ds_write_b64 v29, v[4:5]
	s_waitcnt lgkmcnt(0)
	s_barrier
	s_and_saveexec_b64 s[8:9], s[10:11]
	s_cbranch_execz .LBB40_89
; %bb.88:
	v_lshlrev_b32_e32 v3, 3, v28
	ds_read2_b64 v[30:33], v3 offset1:7
	ds_read2_b64 v[34:37], v3 offset0:1 offset1:2
	ds_read2_b64 v[38:41], v3 offset0:3 offset1:4
	s_waitcnt lgkmcnt(1)
	v_add_f32_e32 v4, v34, v30
	v_add_f32_e32 v5, v35, v31
	;; [unrolled: 1-line block ×4, first 2 shown]
	ds_read2_b64 v[34:37], v3 offset0:5 offset1:6
	s_waitcnt lgkmcnt(1)
	v_add_f32_e32 v3, v4, v38
	v_add_f32_e32 v4, v5, v39
	;; [unrolled: 1-line block ×4, first 2 shown]
	s_waitcnt lgkmcnt(0)
	v_add_f32_e32 v4, v3, v34
	v_add_f32_e32 v5, v5, v35
	v_pk_add_f32 v[4:5], v[4:5], v[36:37]
	v_pk_add_f32 v[18:19], v[4:5], v[32:33]
.LBB40_89:
	s_or_b64 exec, exec, s[8:9]
	s_lshl_b64 s[8:9], s[16:17], 3
	v_mov_b32_e32 v3, s9
	v_subrev_co_u32_e64 v24, s[8:9], s8, v2
	s_and_b64 vcc, exec, s[14:15]
	v_subb_co_u32_e64 v25, s[8:9], v1, v3, s[8:9]
	s_barrier
	s_cbranch_vccnz .LBB40_106
; %bb.90:
	flat_load_dwordx2 v[2:3], v[24:25]
	v_mad_u32_u24 v1, v8, 33, v0
	s_lshl_b64 s[8:9], s[24:25], 6
	v_lshlrev_b32_e32 v13, 3, v1
	v_mov_b32_e32 v7, s9
	v_add_co_u32_e32 v4, vcc, s8, v24
	v_addc_co_u32_e32 v5, vcc, v25, v7, vcc
	s_mul_i32 s12, s25, 0xc0
	v_add_u32_e32 v9, 0x318, v1
	s_waitcnt vmcnt(0) lgkmcnt(0)
	ds_write_b64 v13, v[2:3]
	flat_load_dwordx2 v[2:3], v[4:5]
	v_add_co_u32_e32 v4, vcc, s8, v4
	v_addc_co_u32_e32 v5, vcc, v5, v7, vcc
	v_add_u32_e32 v7, 24, v8
	s_waitcnt vmcnt(0) lgkmcnt(0)
	ds_write_b64 v13, v[2:3] offset:2112
	flat_load_dwordx2 v[2:3], v[4:5]
	v_mov_b32_e32 v4, 0xc0
	v_mad_u64_u32 v[4:5], s[8:9], s24, v4, v[24:25]
	v_add_u32_e32 v5, s12, v5
	s_waitcnt vmcnt(0) lgkmcnt(0)
	ds_write_b64 v13, v[2:3] offset:4224
	flat_load_dwordx2 v[10:11], v[4:5]
	v_add_u32_e32 v4, 8, v8
	v_add_u32_e32 v5, 16, v8
	;; [unrolled: 1-line block ×4, first 2 shown]
	s_waitcnt vmcnt(0) lgkmcnt(0)
	ds_write_b64 v13, v[10:11] offset:6336
	s_cbranch_execz .LBB40_107
	s_branch .LBB40_122
.LBB40_91:
	v_cmp_eq_u32_e32 vcc, v9, v0
	s_and_saveexec_b64 s[40:41], vcc
	s_cbranch_execz .LBB40_93
; %bb.92:
	v_mul_u32_u24_e32 v3, 34, v0
	v_lshlrev_b32_e32 v3, 3, v3
	v_mov_b32_e32 v4, 0
	ds_write_b32 v3, v4 offset:4
.LBB40_93:
	s_or_b64 exec, exec, s[40:41]
	s_andn2_saveexec_b64 s[18:19], s[18:19]
	s_cbranch_execz .LBB40_80
.LBB40_94:
	ds_read_b64 v[4:5], v15
	s_waitcnt lgkmcnt(0)
	v_xor_b32_e32 v5, 0x80000000, v5
	ds_write_b64 v12, v[4:5]
	s_or_b64 exec, exec, s[18:19]
	s_and_saveexec_b64 s[18:19], s[8:9]
	s_xor_b64 s[8:9], exec, s[18:19]
	s_cbranch_execz .LBB40_81
.LBB40_95:
	v_cmp_eq_u32_e32 vcc, v10, v0
	s_and_saveexec_b64 s[18:19], vcc
	s_cbranch_execz .LBB40_97
; %bb.96:
	v_mul_u32_u24_e32 v3, 34, v0
	v_lshlrev_b32_e32 v3, 3, v3
	v_mov_b32_e32 v4, 0
	ds_write_b32 v3, v4 offset:4
.LBB40_97:
	s_or_b64 exec, exec, s[18:19]
	s_andn2_saveexec_b64 s[8:9], s[8:9]
	s_cbranch_execz .LBB40_82
.LBB40_98:
	ds_read_b64 v[4:5], v14
	s_waitcnt lgkmcnt(0)
	v_xor_b32_e32 v5, 0x80000000, v5
	ds_write_b64 v12, v[4:5] offset:8
	s_or_b64 exec, exec, s[8:9]
	s_and_saveexec_b64 s[8:9], s[10:11]
	s_xor_b64 s[8:9], exec, s[8:9]
	s_cbranch_execz .LBB40_83
.LBB40_99:
	v_cmp_eq_u32_e32 vcc, v11, v0
	s_and_saveexec_b64 s[10:11], vcc
	s_cbranch_execz .LBB40_101
; %bb.100:
	v_mul_u32_u24_e32 v3, 34, v0
	v_lshlrev_b32_e32 v3, 3, v3
	v_mov_b32_e32 v4, 0
	ds_write_b32 v3, v4 offset:4
.LBB40_101:
	s_or_b64 exec, exec, s[10:11]
	s_andn2_saveexec_b64 s[8:9], s[8:9]
	s_cbranch_execz .LBB40_84
.LBB40_102:
	ds_read_b64 v[4:5], v14 offset:264
	s_waitcnt lgkmcnt(0)
	v_xor_b32_e32 v5, 0x80000000, v5
	ds_write_b64 v12, v[4:5] offset:16
	s_or_b64 exec, exec, s[8:9]
	s_and_saveexec_b64 s[8:9], s[12:13]
	s_xor_b64 s[8:9], exec, s[8:9]
	s_cbranch_execz .LBB40_85
.LBB40_103:
	v_cmp_eq_u32_e32 vcc, v13, v0
	s_and_saveexec_b64 s[10:11], vcc
	s_cbranch_execz .LBB40_105
; %bb.104:
	v_mul_u32_u24_e32 v3, 34, v0
	v_lshlrev_b32_e32 v3, 3, v3
	v_mov_b32_e32 v4, 0
	ds_write_b32 v3, v4 offset:4
.LBB40_105:
	s_or_b64 exec, exec, s[10:11]
	s_andn2_saveexec_b64 s[8:9], s[8:9]
	s_cbranch_execnz .LBB40_86
	s_branch .LBB40_87
.LBB40_106:
                                        ; implicit-def: $vgpr1
                                        ; implicit-def: $vgpr4
                                        ; implicit-def: $vgpr2
                                        ; implicit-def: $vgpr5
                                        ; implicit-def: $vgpr3
                                        ; implicit-def: $vgpr7
                                        ; implicit-def: $vgpr9
.LBB40_107:
	v_or_b32_e32 v1, 32, v0
	v_lshlrev_b32_e32 v2, 3, v1
	v_sub_co_u32_e32 v2, vcc, v24, v2
	s_ashr_i32 s31, s30, 31
	v_subbrev_co_u32_e32 v3, vcc, 0, v25, vcc
	s_lshl_b64 s[12:13], s[30:31], 3
	v_mov_b32_e32 v4, s13
	v_add_co_u32_e32 v2, vcc, s12, v2
	v_addc_co_u32_e32 v3, vcc, v3, v4, vcc
	v_add_co_u32_e32 v2, vcc, -8, v2
	v_addc_co_u32_e32 v3, vcc, -1, v3, vcc
	v_cmp_gt_i32_e64 s[8:9], s30, v1
	v_mov_b32_e32 v4, 0
	v_cndmask_b32_e64 v3, v3, v25, s[8:9]
	v_cndmask_b32_e64 v2, v2, v24, s[8:9]
	v_cmp_gt_i32_e32 vcc, s30, v8
	v_mov_b32_e32 v5, v4
	s_and_saveexec_b64 s[14:15], vcc
	s_cbranch_execz .LBB40_109
; %bb.108:
	flat_load_dwordx2 v[4:5], v[2:3]
.LBB40_109:
	s_or_b64 exec, exec, s[14:15]
	v_mad_u32_u24 v1, v8, 33, v0
	v_lshlrev_b32_e32 v10, 3, v1
	s_waitcnt vmcnt(0) lgkmcnt(0)
	ds_write_b64 v10, v[4:5]
	v_add_u32_e32 v4, 8, v8
	v_cmp_le_i32_e32 vcc, s30, v4
	s_and_saveexec_b64 s[14:15], vcc
	s_xor_b64 s[14:15], exec, s[14:15]
	s_cbranch_execz .LBB40_111
; %bb.110:
	v_mul_u32_u24_e32 v5, 33, v4
	v_mov_b32_e32 v14, 0
	v_add_lshl_u32 v5, v5, v0, 3
	v_mov_b32_e32 v15, v14
	ds_write_b64 v5, v[14:15]
.LBB40_111:
	s_andn2_saveexec_b64 s[14:15], s[14:15]
	s_cbranch_execz .LBB40_113
; %bb.112:
	s_lshl_b64 s[16:17], s[24:25], 6
	v_mov_b32_e32 v5, s17
	v_add_co_u32_e32 v14, vcc, s16, v2
	v_addc_co_u32_e32 v15, vcc, v3, v5, vcc
	flat_load_dwordx2 v[14:15], v[14:15]
	s_waitcnt vmcnt(0) lgkmcnt(0)
	ds_write_b64 v10, v[14:15] offset:2112
.LBB40_113:
	s_or_b64 exec, exec, s[14:15]
	v_add_u32_e32 v5, 16, v8
	v_cmp_le_i32_e32 vcc, s30, v5
	s_and_saveexec_b64 s[14:15], vcc
	s_xor_b64 s[14:15], exec, s[14:15]
	s_cbranch_execz .LBB40_115
; %bb.114:
	v_mul_u32_u24_e32 v7, 33, v5
	v_mov_b32_e32 v14, 0
	v_add_lshl_u32 v7, v7, v0, 3
	v_mov_b32_e32 v15, v14
	ds_write_b64 v7, v[14:15]
.LBB40_115:
	s_andn2_saveexec_b64 s[14:15], s[14:15]
	s_cbranch_execz .LBB40_117
; %bb.116:
	s_lshl_b64 s[16:17], s[24:25], 7
	v_mov_b32_e32 v7, s17
	v_add_co_u32_e32 v14, vcc, s16, v2
	v_addc_co_u32_e32 v15, vcc, v3, v7, vcc
	flat_load_dwordx2 v[14:15], v[14:15]
	s_waitcnt vmcnt(0) lgkmcnt(0)
	ds_write_b64 v10, v[14:15] offset:4224
.LBB40_117:
	s_or_b64 exec, exec, s[14:15]
	v_add_u32_e32 v7, 24, v8
	v_cmp_le_i32_e32 vcc, s30, v7
                                        ; implicit-def: $vgpr9
	s_and_saveexec_b64 s[14:15], vcc
	s_xor_b64 s[14:15], exec, s[14:15]
	s_cbranch_execz .LBB40_119
; %bb.118:
	v_mov_b32_e32 v14, 0
	v_add_u32_e32 v9, 0x318, v1
	v_mov_b32_e32 v15, v14
	ds_write_b64 v10, v[14:15] offset:6336
                                        ; implicit-def: $vgpr10
.LBB40_119:
	s_andn2_saveexec_b64 s[14:15], s[14:15]
	s_cbranch_execz .LBB40_121
; %bb.120:
	v_mov_b32_e32 v9, 0xc0
	v_mad_u64_u32 v[14:15], s[16:17], s24, v9, v[2:3]
	s_mul_i32 s16, s25, 0xc0
	v_add_u32_e32 v15, s16, v15
	flat_load_dwordx2 v[14:15], v[14:15]
	v_add_u32_e32 v9, 0x318, v1
	s_waitcnt vmcnt(0) lgkmcnt(0)
	ds_write_b64 v10, v[14:15] offset:6336
.LBB40_121:
	s_or_b64 exec, exec, s[14:15]
	v_lshlrev_b32_e32 v0, 3, v0
	v_add_co_u32_e32 v0, vcc, v2, v0
	v_addc_co_u32_e32 v2, vcc, 0, v3, vcc
	v_mov_b32_e32 v3, s13
	v_subrev_co_u32_e32 v0, vcc, s12, v0
	v_subb_co_u32_e32 v2, vcc, v2, v3, vcc
	v_add_co_u32_e32 v0, vcc, 0x108, v0
	v_addc_co_u32_e32 v2, vcc, 0, v2, vcc
	v_cndmask_b32_e64 v25, v2, v25, s[8:9]
	v_cndmask_b32_e64 v24, v0, v24, s[8:9]
	v_add_u32_e32 v2, 0x108, v1
	v_add_u32_e32 v3, 0x210, v1
.LBB40_122:
	v_lshlrev_b32_e32 v0, 3, v1
	s_waitcnt lgkmcnt(0)
	s_barrier
	ds_read_b64 v[30:31], v0
	v_lshlrev_b32_e32 v13, 3, v8
	v_lshlrev_b32_e32 v14, 3, v2
	;; [unrolled: 1-line block ×7, first 2 shown]
	ds_read_b64 v[32:33], v0
	ds_read2_b64 v[8:11], v12 offset1:1
	ds_read2_b64 v[0:3], v12 offset0:2 offset1:3
	ds_read_b64 v[34:35], v4 offset:9088
	ds_read_b64 v[36:37], v14
	ds_read_b64 v[38:39], v13 offset:9088
	ds_read_b128 v[12:15], v6 offset:256
	ds_read_b128 v[4:7], v6 offset:272
	ds_read_b64 v[40:41], v40 offset:9088
	ds_read_b64 v[42:43], v42
	ds_read_b64 v[44:45], v44 offset:9088
	s_waitcnt lgkmcnt(5)
	v_pk_mul_f32 v[46:47], v[38:39], v[30:31] op_sel:[0,1]
	v_pk_fma_f32 v[48:49], v[38:39], v[30:31], v[46:47] op_sel:[0,0,1] op_sel_hi:[1,1,0] neg_lo:[0,0,1] neg_hi:[0,0,1]
	v_pk_fma_f32 v[30:31], v[38:39], v[30:31], v[46:47] op_sel:[0,0,1] op_sel_hi:[1,0,0]
	v_pk_mul_f32 v[38:39], v[34:35], v[36:37] op_sel:[0,1]
	v_pk_fma_f32 v[46:47], v[34:35], v[36:37], v[38:39] op_sel:[0,0,1] op_sel_hi:[1,1,0] neg_lo:[0,0,1] neg_hi:[0,0,1]
	v_pk_fma_f32 v[34:35], v[34:35], v[36:37], v[38:39] op_sel:[0,0,1] op_sel_hi:[1,0,0]
	v_mov_b32_e32 v47, v35
	s_waitcnt lgkmcnt(0)
	v_pk_mul_f32 v[34:35], v[44:45], v[32:33] op_sel:[0,1]
	v_mov_b32_e32 v49, v31
	v_pk_fma_f32 v[36:37], v[44:45], v[32:33], v[34:35] op_sel:[0,0,1] op_sel_hi:[1,1,0] neg_lo:[0,0,1] neg_hi:[0,0,1]
	v_pk_fma_f32 v[32:33], v[44:45], v[32:33], v[34:35] op_sel:[0,0,1] op_sel_hi:[1,0,0]
	v_pk_add_f32 v[30:31], v[48:49], 0 op_sel_hi:[1,0]
	v_mov_b32_e32 v37, v33
	v_pk_mul_f32 v[32:33], v[40:41], v[42:43] op_sel:[0,1]
	v_pk_add_f32 v[30:31], v[30:31], v[46:47]
	v_pk_fma_f32 v[34:35], v[40:41], v[42:43], v[32:33] op_sel:[0,0,1] op_sel_hi:[1,1,0] neg_lo:[0,0,1] neg_hi:[0,0,1]
	v_pk_fma_f32 v[32:33], v[40:41], v[42:43], v[32:33] op_sel:[0,0,1] op_sel_hi:[1,0,0]
	v_pk_add_f32 v[30:31], v[30:31], v[36:37]
	v_mov_b32_e32 v35, v33
	v_pk_add_f32 v[30:31], v[30:31], v[34:35]
	s_barrier
	ds_write_b64 v29, v[30:31]
	s_waitcnt lgkmcnt(0)
	s_barrier
	s_and_saveexec_b64 s[8:9], s[10:11]
	s_cbranch_execz .LBB40_124
; %bb.123:
	v_lshlrev_b32_e32 v42, 3, v28
	ds_read2_b64 v[30:33], v42 offset1:1
	ds_read2_b64 v[34:37], v42 offset0:2 offset1:3
	ds_read2_b64 v[38:41], v42 offset0:4 offset1:5
	s_waitcnt lgkmcnt(2)
	v_pk_add_f32 v[18:19], v[18:19], v[30:31]
	v_pk_add_f32 v[18:19], v[18:19], v[32:33]
	ds_read2_b64 v[30:33], v42 offset0:6 offset1:7
	s_waitcnt lgkmcnt(2)
	v_pk_add_f32 v[18:19], v[18:19], v[34:35]
	v_pk_add_f32 v[18:19], v[18:19], v[36:37]
	s_waitcnt lgkmcnt(1)
	v_pk_add_f32 v[18:19], v[18:19], v[38:39]
	v_pk_add_f32 v[18:19], v[18:19], v[40:41]
	;; [unrolled: 3-line block ×3, first 2 shown]
.LBB40_124:
	s_or_b64 exec, exec, s[8:9]
	v_pk_mul_f32 v[30:31], v[8:9], v[12:13] op_sel:[1,0]
	v_pk_fma_f32 v[32:33], v[8:9], v[12:13], v[30:31] op_sel:[0,0,1] op_sel_hi:[1,1,0]
	v_pk_fma_f32 v[8:9], v[8:9], v[12:13], v[30:31] op_sel:[0,0,1] op_sel_hi:[0,1,0] neg_lo:[0,0,1] neg_hi:[0,0,1]
	v_mov_b32_e32 v12, v11
	v_pk_mul_f32 v[12:13], v[12:13], v[14:15] op_sel_hi:[0,1]
	v_pk_fma_f32 v[30:31], v[10:11], v[14:15], v[12:13] op_sel:[0,0,1] op_sel_hi:[1,1,0]
	v_pk_fma_f32 v[10:11], v[10:11], v[14:15], v[12:13] op_sel:[0,0,1] op_sel_hi:[0,1,0] neg_lo:[0,0,1] neg_hi:[0,0,1]
	v_mov_b32_e32 v33, v9
	v_mov_b32_e32 v31, v11
	v_pk_mul_f32 v[10:11], v[0:1], v[4:5] op_sel:[1,0]
	v_pk_add_f32 v[8:9], v[32:33], 0 op_sel_hi:[1,0]
	v_pk_fma_f32 v[12:13], v[0:1], v[4:5], v[10:11] op_sel:[0,0,1] op_sel_hi:[1,1,0]
	v_pk_fma_f32 v[0:1], v[0:1], v[4:5], v[10:11] op_sel:[0,0,1] op_sel_hi:[0,1,0] neg_lo:[0,0,1] neg_hi:[0,0,1]
	v_mov_b32_e32 v4, v3
	v_pk_add_f32 v[8:9], v[8:9], v[30:31]
	v_mov_b32_e32 v13, v1
	v_pk_mul_f32 v[4:5], v[4:5], v[6:7] op_sel_hi:[0,1]
	v_pk_add_f32 v[0:1], v[8:9], v[12:13]
	v_pk_fma_f32 v[8:9], v[2:3], v[6:7], v[4:5] op_sel:[0,0,1] op_sel_hi:[1,1,0]
	v_pk_fma_f32 v[2:3], v[2:3], v[6:7], v[4:5] op_sel:[0,0,1] op_sel_hi:[0,1,0] neg_lo:[0,0,1] neg_hi:[0,0,1]
	v_mov_b32_e32 v9, v3
	v_pk_add_f32 v[0:1], v[0:1], v[8:9]
	s_barrier
	ds_write_b64 v29, v[0:1]
	s_waitcnt lgkmcnt(0)
	s_barrier
	s_and_saveexec_b64 s[8:9], s[4:5]
	s_cbranch_execz .LBB40_126
; %bb.125:
	v_lshlrev_b32_e32 v14, 3, v28
	ds_read2_b64 v[0:3], v14 offset1:1
	ds_read2_b64 v[4:7], v14 offset0:2 offset1:3
	ds_read2_b64 v[8:11], v14 offset0:4 offset1:5
	s_waitcnt lgkmcnt(2)
	v_pk_add_f32 v[0:1], v[18:19], v[0:1]
	v_pk_add_f32 v[12:13], v[0:1], v[2:3]
	ds_read2_b64 v[0:3], v14 offset0:6 offset1:7
	s_waitcnt lgkmcnt(2)
	v_pk_add_f32 v[4:5], v[12:13], v[4:5]
	v_pk_add_f32 v[4:5], v[4:5], v[6:7]
	s_waitcnt lgkmcnt(1)
	v_pk_add_f32 v[4:5], v[4:5], v[8:9]
	v_pk_add_f32 v[4:5], v[4:5], v[10:11]
	;; [unrolled: 3-line block ×3, first 2 shown]
.LBB40_126:
	s_or_b64 exec, exec, s[8:9]
	s_mul_hi_u32 s4, s7, s26
	s_mul_i32 s33, s33, s26
	s_add_i32 s4, s4, s33
	s_mul_i32 s8, s7, s26
	s_mul_i32 s4, s4, s27
	s_mul_hi_u32 s5, s8, s27
	s_add_i32 s5, s5, s4
	s_mul_i32 s4, s8, s27
	s_lshl_b64 s[4:5], s[4:5], 3
	s_add_u32 s8, s28, s4
	s_mul_i32 s4, s6, s7
	s_addc_u32 s9, s29, s5
	s_ashr_i32 s5, s4, 31
	s_lshl_b64 s[4:5], s[4:5], 3
	s_add_u32 s7, s8, s4
	v_cmp_le_i32_e32 vcc, s30, v26
	s_addc_u32 s26, s9, s5
	s_and_b64 vcc, s[38:39], vcc
	s_cmp_lt_i32 s6, 1
	v_lshlrev_b32_e32 v73, 3, v26
	s_barrier
	s_cbranch_scc1 .LBB40_133
; %bb.127:
	s_mul_i32 s4, s34, s21
	s_mul_hi_u32 s5, s34, s20
	s_add_i32 s4, s5, s4
	s_mul_i32 s5, s35, s20
	s_add_i32 s5, s4, s5
	s_mul_i32 s4, s34, s20
	s_lshl_b64 s[4:5], s[4:5], 3
	v_mov_b32_e32 v0, s5
	v_subrev_co_u32_e64 v74, s[4:5], s4, v20
	v_subb_co_u32_e64 v75, s[4:5], v21, v0, s[4:5]
	v_mov_b32_e32 v0, s37
	v_subrev_co_u32_e64 v1, s[4:5], s36, v24
	v_subb_co_u32_e64 v0, s[4:5], v25, v0, s[4:5]
	v_lshlrev_b32_e32 v3, 2, v72
	v_sub_co_u32_e64 v6, s[4:5], v1, v22
	v_subb_co_u32_e64 v7, s[4:5], v0, v23, s[4:5]
	v_mad_u64_u32 v[0:1], s[4:5], v3, s24, 0
	v_mov_b32_e32 v2, v1
	v_mad_u64_u32 v[2:3], s[4:5], v3, s25, v[2:3]
	v_mov_b32_e32 v1, v2
	v_lshlrev_b64 v[0:1], 3, v[0:1]
	v_add_co_u32_e64 v0, s[4:5], v6, v0
	v_addc_co_u32_e64 v1, s[4:5], v7, v1, s[4:5]
	s_movk_i32 s4, 0xff00
	v_add_co_u32_e64 v0, s[4:5], s4, v0
	v_addc_co_u32_e64 v1, s[4:5], -1, v1, s[4:5]
	s_ashr_i32 s31, s30, 31
	s_lshl_b64 s[4:5], s[30:31], 3
	v_mov_b32_e32 v2, s5
	v_add_co_u32_e64 v3, s[4:5], s4, v0
	v_addc_co_u32_e64 v2, s[4:5], v1, v2, s[4:5]
	v_add_co_u32_e64 v3, s[4:5], -8, v3
	v_addc_co_u32_e64 v2, s[4:5], -1, v2, s[4:5]
	v_add_co_u32_e64 v0, s[4:5], v0, v73
	v_addc_co_u32_e64 v1, s[4:5], 0, v1, s[4:5]
	v_cndmask_b32_e32 v14, v0, v3, vcc
	v_and_b32_e32 v0, 48, v26
	v_and_b32_e32 v4, 15, v26
	v_cndmask_b32_e32 v15, v1, v2, vcc
	v_lshlrev_b32_e32 v1, 3, v0
	s_movk_i32 s8, 0x218
	v_lshrrev_b32_e32 v5, 4, v27
	v_mad_u32_u24 v78, v4, s8, v1
	v_or_b32_e32 v1, 0x78, v73
	v_mad_u32_u24 v79, v4, s8, v1
	v_lshlrev_b32_e32 v1, 5, v5
	v_mad_u32_u24 v80, v4, s8, v1
	v_mov_b32_e32 v1, 0x2180
	v_lshl_add_u32 v81, v72, 5, v1
	s_movk_i32 s9, 0x860
	v_lshlrev_b32_e32 v1, 3, v5
	v_mad_u32_u24 v82, v72, s9, v73
	v_mad_u32_u24 v83, v4, s8, v1
	s_mul_i32 s8, s25, 24
	s_mul_hi_u32 s9, s24, 24
	s_add_i32 s8, s9, s8
	s_mul_i32 s9, s25, 0x90
	s_mul_hi_u32 s16, s24, 0x90
	s_add_i32 s9, s16, s9
	;; [unrolled: 3-line block ×10, first 2 shown]
	s_mul_i32 s16, s25, 0x88
	s_mul_hi_u32 s17, s24, 0x88
	s_lshl_b64 s[10:11], s[24:25], 3
	s_lshl_b64 s[14:15], s[24:25], 4
	s_add_i32 s45, s17, s16
	s_lshl_b64 s[16:17], s[24:25], 7
	v_mov_b32_e32 v13, 0
	v_add_u32_e32 v76, 0x2180, v73
	v_add_u32_e32 v77, 0x2380, v73
	v_cmp_gt_u32_e64 s[4:5], 64, v27
	s_lshl_b64 s[12:13], s[24:25], 9
	s_mul_i32 s27, s24, 24
	s_mul_i32 s28, s24, 0x90
	;; [unrolled: 1-line block ×11, first 2 shown]
	v_or_b32_e32 v84, v0, v4
	s_mov_b32 s24, 0
	v_mov_b32_e32 v85, s11
	v_mov_b32_e32 v86, s15
	;; [unrolled: 1-line block ×15, first 2 shown]
	s_branch .LBB40_129
.LBB40_128:                             ;   in Loop: Header=BB40_129 Depth=1
	s_or_b64 exec, exec, s[18:19]
	v_mul_f32_e32 v12, v20, v22
	v_fma_f32 v12, -v21, v23, v12
	v_pk_mul_f32 v[20:21], v[20:21], v[22:23] op_sel:[1,0] op_sel_hi:[0,1]
	v_add_f32_e32 v12, v18, v12
	v_add_f32_e32 v18, v20, v21
	;; [unrolled: 1-line block ×3, first 2 shown]
	v_mul_f32_e32 v18, v24, v26
	v_fma_f32 v18, -v25, v27, v18
	v_add_f32_e32 v12, v12, v18
	v_pk_mul_f32 v[18:19], v[24:25], v[26:27] op_sel:[1,0] op_sel_hi:[0,1]
	v_add_f32_e32 v18, v18, v19
	v_add_f32_e32 v20, v20, v18
	v_mul_f32_e32 v18, v28, v30
	v_fma_f32 v18, -v29, v31, v18
	v_add_f32_e32 v12, v12, v18
	v_pk_mul_f32 v[18:19], v[28:29], v[30:31] op_sel:[1,0] op_sel_hi:[0,1]
	v_add_f32_e32 v18, v18, v19
	v_add_f32_e32 v20, v20, v18
	;; [unrolled: 6-line block ×4, first 2 shown]
	v_mul_f32_e32 v18, v40, v42
	v_fma_f32 v18, -v41, v43, v18
	v_pk_mul_f32 v[20:21], v[40:41], v[42:43] op_sel:[1,0] op_sel_hi:[0,1]
	v_add_f32_e32 v18, v12, v18
	v_add_f32_e32 v12, v20, v21
	;; [unrolled: 1-line block ×3, first 2 shown]
	v_mov_b32_e32 v12, v47
	v_pk_mul_f32 v[20:21], v[44:45], v[12:13] op_sel:[1,0] op_sel_hi:[0,1]
	v_pk_fma_f32 v[20:21], v[44:45], v[46:47], v[20:21] neg_lo:[0,0,1] neg_hi:[0,0,1]
	v_pk_mul_f32 v[22:23], v[44:45], v[46:47] op_sel:[1,0] op_sel_hi:[0,1]
	v_mov_b32_e32 v21, v22
	v_pk_mul_f32 v[26:27], v[48:49], v[50:51] op_sel:[1,0] op_sel_hi:[0,1]
	v_pk_fma_f32 v[22:23], v[44:45], v[46:47], v[20:21] op_sel:[1,0,0] op_sel_hi:[0,1,1]
	v_mov_b32_e32 v12, v51
	v_mov_b32_e32 v21, v26
	v_pk_mul_f32 v[24:25], v[48:49], v[12:13] op_sel:[1,0] op_sel_hi:[0,1]
	v_pk_fma_f32 v[26:27], v[48:49], v[50:51], v[20:21] op_sel:[1,0,0] op_sel_hi:[0,1,1]
	v_mov_b32_e32 v21, v23
	v_pk_fma_f32 v[24:25], v[48:49], v[50:51], v[24:25] neg_lo:[0,0,1] neg_hi:[0,0,1]
	v_pk_add_f32 v[18:19], v[18:19], v[20:21]
	v_pk_mul_f32 v[20:21], v[52:53], v[58:59] op_sel:[1,1] op_sel_hi:[0,1]
	v_mov_b32_e32 v25, v27
	v_pk_mul_f32 v[22:23], v[60:61], v[0:1] op_sel:[0,1]
	v_pk_fma_f32 v[28:29], v[52:53], v[58:59], v[20:21] neg_lo:[0,0,1] neg_hi:[0,0,1]
	v_pk_fma_f32 v[20:21], v[52:53], v[58:59], v[20:21] op_sel_hi:[1,0,1]
	v_pk_add_f32 v[18:19], v[18:19], v[24:25]
	v_mov_b32_e32 v12, v3
	v_mov_b32_e32 v29, v21
	v_pk_fma_f32 v[20:21], v[60:61], v[0:1], v[22:23] op_sel:[0,0,1] op_sel_hi:[1,1,0] neg_lo:[0,0,1] neg_hi:[0,0,1]
	v_pk_fma_f32 v[0:1], v[60:61], v[0:1], v[22:23] op_sel:[0,0,1] op_sel_hi:[1,0,0]
	v_pk_mul_f32 v[24:25], v[54:55], v[12:13] op_sel_hi:[1,0]
	v_pk_add_f32 v[18:19], v[18:19], v[28:29]
	v_mov_b32_e32 v21, v1
	v_pk_add_f32 v[0:1], v[18:19], v[20:21]
	v_pk_fma_f32 v[18:19], v[54:55], v[2:3], v[24:25] op_sel:[0,0,1] op_sel_hi:[1,1,0] neg_lo:[0,0,1] neg_hi:[0,0,1]
	v_pk_fma_f32 v[2:3], v[54:55], v[2:3], v[24:25] op_sel:[0,0,1] op_sel_hi:[1,0,0]
	v_pk_mul_f32 v[26:27], v[56:57], v[62:63] op_sel:[0,1]
	v_mov_b32_e32 v19, v3
	v_pk_add_f32 v[0:1], v[0:1], v[18:19]
	v_pk_fma_f32 v[2:3], v[56:57], v[62:63], v[26:27] op_sel:[0,0,1] op_sel_hi:[1,1,0] neg_lo:[0,0,1] neg_hi:[0,0,1]
	v_pk_fma_f32 v[18:19], v[56:57], v[62:63], v[26:27] op_sel:[0,0,1] op_sel_hi:[1,0,0]
	v_mov_b32_e32 v3, v19
	v_pk_add_f32 v[0:1], v[0:1], v[2:3]
	v_pk_mul_f32 v[2:3], v[70:71], v[4:5] op_sel:[0,1]
	v_pk_mul_f32 v[18:19], v[68:69], v[10:11] op_sel:[0,1]
	v_pk_fma_f32 v[24:25], v[70:71], v[4:5], v[2:3] op_sel:[0,0,1] op_sel_hi:[1,1,0] neg_lo:[0,0,1] neg_hi:[0,0,1]
	v_pk_fma_f32 v[2:3], v[70:71], v[4:5], v[2:3] op_sel:[0,0,1] op_sel_hi:[1,0,0]
	v_pk_mul_f32 v[20:21], v[64:65], v[8:9] op_sel:[0,1]
	v_mov_b32_e32 v25, v3
	v_pk_fma_f32 v[2:3], v[68:69], v[10:11], v[18:19] op_sel:[0,0,1] op_sel_hi:[1,1,0] neg_lo:[0,0,1] neg_hi:[0,0,1]
	v_pk_fma_f32 v[4:5], v[68:69], v[10:11], v[18:19] op_sel:[0,0,1] op_sel_hi:[1,0,0]
	v_pk_mul_f32 v[22:23], v[66:67], v[6:7] op_sel:[0,1]
	v_mov_b32_e32 v3, v5
	v_pk_fma_f32 v[4:5], v[64:65], v[8:9], v[20:21] op_sel:[0,0,1] op_sel_hi:[1,1,0] neg_lo:[0,0,1] neg_hi:[0,0,1]
	v_pk_fma_f32 v[8:9], v[64:65], v[8:9], v[20:21] op_sel:[0,0,1] op_sel_hi:[1,0,0]
	v_pk_add_f32 v[0:1], v[0:1], v[24:25]
	v_mov_b32_e32 v5, v9
	v_pk_fma_f32 v[8:9], v[66:67], v[6:7], v[22:23] op_sel:[0,0,1] op_sel_hi:[1,1,0] neg_lo:[0,0,1] neg_hi:[0,0,1]
	v_pk_fma_f32 v[6:7], v[66:67], v[6:7], v[22:23] op_sel:[0,0,1] op_sel_hi:[1,0,0]
	v_pk_add_f32 v[0:1], v[0:1], v[2:3]
	v_mov_b32_e32 v9, v7
	v_pk_add_f32 v[0:1], v[0:1], v[4:5]
	v_pk_add_f32 v[18:19], v[0:1], v[8:9]
	v_mov_b32_e32 v0, s13
	s_add_i32 s24, s24, 64
	s_add_i32 s6, s6, -1
	v_add_co_u32_e64 v14, s[8:9], s12, v14
	s_cmp_eq_u32 s6, 0
	v_addc_co_u32_e64 v15, s[8:9], v15, v0, s[8:9]
	s_barrier
	s_cbranch_scc1 .LBB40_133
.LBB40_129:                             ; =>This Inner Loop Header: Depth=1
	s_and_saveexec_b64 s[18:19], s[2:3]
	s_cbranch_execz .LBB40_131
; %bb.130:                              ;   in Loop: Header=BB40_129 Depth=1
	s_mul_i32 s8, s24, s21
	s_mul_hi_u32 s9, s24, s20
	s_add_i32 s9, s9, s8
	s_mul_i32 s8, s24, s20
	s_lshl_b64 s[8:9], s[8:9], 3
	v_mov_b32_e32 v1, s9
	v_add_co_u32_e64 v0, s[8:9], s8, v74
	v_addc_co_u32_e64 v1, s[8:9], v75, v1, s[8:9]
	flat_load_dwordx2 v[0:1], v[0:1]
	s_waitcnt vmcnt(0) lgkmcnt(0)
	ds_write_b64 v76, v[0:1]
.LBB40_131:                             ;   in Loop: Header=BB40_129 Depth=1
	s_or_b64 exec, exec, s[18:19]
	s_waitcnt lgkmcnt(0)
	s_barrier
	flat_load_dwordx2 v[20:21], v[14:15]
	ds_read_b64 v[0:1], v77
	ds_read_b64 v[22:23], v81
	v_add_co_u32_e64 v2, s[8:9], s10, v14
	v_addc_co_u32_e64 v3, s[8:9], v15, v85, s[8:9]
	s_waitcnt vmcnt(0) lgkmcnt(0)
	v_mul_f32_e32 v4, v21, v1
	v_mul_f32_e32 v5, v21, v0
	v_fmac_f32_e32 v4, v20, v0
	v_fma_f32 v5, v20, v1, -v5
	ds_write_b64 v82, v[4:5]
	flat_load_dwordx2 v[24:25], v[2:3]
	v_add_co_u32_e64 v2, s[8:9], s14, v14
	v_addc_co_u32_e64 v3, s[8:9], v15, v86, s[8:9]
	ds_read_b64 v[26:27], v81 offset:8
	s_waitcnt vmcnt(0) lgkmcnt(0)
	v_mul_f32_e32 v4, v25, v1
	v_mul_f32_e32 v5, v25, v0
	v_fmac_f32_e32 v4, v24, v0
	v_fma_f32 v5, v24, v1, -v5
	ds_write_b64 v82, v[4:5] offset:536
	flat_load_dwordx2 v[28:29], v[2:3]
	v_add_co_u32_e64 v2, s[8:9], s27, v14
	v_addc_co_u32_e64 v3, s[8:9], v15, v87, s[8:9]
	ds_read_b64 v[30:31], v81 offset:16
	s_waitcnt vmcnt(0) lgkmcnt(0)
	v_mul_f32_e32 v4, v29, v1
	v_mul_f32_e32 v5, v29, v0
	v_fmac_f32_e32 v4, v28, v0
	v_fma_f32 v5, v28, v1, -v5
	ds_write_b64 v82, v[4:5] offset:1072
	;; [unrolled: 10-line block ×3, first 2 shown]
	s_waitcnt lgkmcnt(0)
	s_barrier
	ds_read2_b64 v[4:7], v80 offset1:1
	ds_read2_b64 v[8:11], v80 offset0:2 offset1:3
	s_waitcnt lgkmcnt(0)
	s_barrier
	flat_load_dwordx2 v[36:37], v[2:3]
	ds_read_b64 v[0:1], v77
	ds_read_b64 v[38:39], v81 offset:128
	v_add_co_u32_e64 v2, s[8:9], s38, v14
	v_addc_co_u32_e64 v3, s[8:9], v15, v89, s[8:9]
	v_pk_add_f32 v[4:5], v[4:5], 0 op_sel_hi:[1,0]
	v_pk_add_f32 v[4:5], v[4:5], v[6:7]
	v_pk_add_f32 v[4:5], v[4:5], v[8:9]
	s_waitcnt vmcnt(0) lgkmcnt(0)
	v_mul_f32_e32 v40, v37, v1
	v_mul_f32_e32 v12, v37, v0
	v_fmac_f32_e32 v40, v36, v0
	v_fma_f32 v41, v36, v1, -v12
	ds_write_b64 v82, v[40:41]
	flat_load_dwordx2 v[40:41], v[2:3]
	v_add_co_u32_e64 v2, s[8:9], s28, v14
	v_addc_co_u32_e64 v3, s[8:9], v15, v90, s[8:9]
	ds_read_b64 v[42:43], v81 offset:136
	s_waitcnt vmcnt(0) lgkmcnt(0)
	v_mul_f32_e32 v44, v41, v1
	v_mul_f32_e32 v12, v41, v0
	v_fmac_f32_e32 v44, v40, v0
	v_fma_f32 v45, v40, v1, -v12
	ds_write_b64 v82, v[44:45] offset:536
	flat_load_dwordx2 v[44:45], v[2:3]
	v_add_co_u32_e64 v2, s[8:9], s29, v14
	v_addc_co_u32_e64 v3, s[8:9], v15, v91, s[8:9]
	ds_read_b64 v[46:47], v81 offset:144
	s_waitcnt vmcnt(0) lgkmcnt(0)
	v_mul_f32_e32 v48, v45, v1
	v_mul_f32_e32 v12, v45, v0
	v_fmac_f32_e32 v48, v44, v0
	v_fma_f32 v49, v44, v1, -v12
	ds_write_b64 v82, v[48:49] offset:1072
	flat_load_dwordx2 v[48:49], v[2:3]
	v_add_co_u32_e64 v2, s[8:9], s22, v14
	v_addc_co_u32_e64 v3, s[8:9], v15, v92, s[8:9]
	ds_read_b64 v[50:51], v81 offset:152
	s_waitcnt vmcnt(0) lgkmcnt(0)
	v_mul_f32_e32 v52, v49, v1
	v_mul_f32_e32 v12, v49, v0
	v_fmac_f32_e32 v52, v48, v0
	v_fma_f32 v53, v48, v1, -v12
	ds_write_b64 v82, v[52:53] offset:1608
	s_waitcnt lgkmcnt(0)
	s_barrier
	ds_read2_b64 v[100:103], v80 offset1:1
	ds_read2_b64 v[104:107], v80 offset0:2 offset1:3
	s_waitcnt lgkmcnt(0)
	s_barrier
	flat_load_dwordx2 v[52:53], v[2:3]
	ds_read_b64 v[64:65], v77
	ds_read_b64 v[58:59], v81 offset:256
	v_add_co_u32_e64 v0, s[8:9], s37, v14
	v_addc_co_u32_e64 v1, s[8:9], v15, v93, s[8:9]
	v_add_co_u32_e64 v2, s[8:9], s30, v14
	v_addc_co_u32_e64 v3, s[8:9], v15, v94, s[8:9]
	s_waitcnt vmcnt(0) lgkmcnt(0)
	v_mul_f32_e32 v54, v53, v65
	v_mul_f32_e32 v12, v53, v64
	v_fmac_f32_e32 v54, v52, v64
	v_fma_f32 v55, v52, v65, -v12
	ds_write_b64 v82, v[54:55]
	flat_load_dwordx2 v[60:61], v[0:1]
	flat_load_dwordx2 v[54:55], v[2:3]
	v_add_co_u32_e64 v0, s[8:9], s31, v14
	v_addc_co_u32_e64 v1, s[8:9], v15, v95, s[8:9]
	flat_load_dwordx2 v[56:57], v[0:1]
	v_add_co_u32_e64 v66, s[8:9], s36, v14
	v_addc_co_u32_e64 v67, s[8:9], v15, v96, s[8:9]
	v_add_co_u32_e64 v116, s[8:9], s35, v14
	v_addc_co_u32_e64 v117, s[8:9], v15, v97, s[8:9]
	v_add_co_u32_e64 v118, s[8:9], s33, v14
	v_addc_co_u32_e64 v119, s[8:9], v15, v98, s[8:9]
	ds_read_b64 v[62:63], v81 offset:280
	ds_read2_b64 v[0:3], v81 offset0:33 offset1:34
	s_waitcnt vmcnt(0) lgkmcnt(0)
	v_mul_f32_e32 v68, v61, v65
	v_mul_f32_e32 v12, v61, v64
	;; [unrolled: 1-line block ×4, first 2 shown]
	v_fma_f32 v69, v60, v65, -v12
	v_fma_f32 v71, v54, v65, -v71
	v_mul_f32_e32 v109, v57, v64
	v_mul_f32_e32 v108, v57, v65
	v_fmac_f32_e32 v68, v60, v64
	v_fmac_f32_e32 v70, v54, v64
	v_fma_f32 v109, v56, v65, -v109
	v_fmac_f32_e32 v108, v56, v64
	ds_write2_b64 v82, v[68:69], v[70:71] offset0:67 offset1:134
	ds_write_b64 v82, v[108:109] offset:1608
	s_waitcnt lgkmcnt(0)
	s_barrier
	ds_read2_b64 v[108:111], v80 offset1:1
	ds_read2_b64 v[112:115], v80 offset0:2 offset1:3
	s_waitcnt lgkmcnt(0)
	s_barrier
	flat_load_dwordx2 v[70:71], v[66:67]
	flat_load_dwordx2 v[68:69], v[116:117]
	;; [unrolled: 1-line block ×3, first 2 shown]
	v_add_co_u32_e64 v66, s[8:9], s34, v14
	v_addc_co_u32_e64 v67, s[8:9], v15, v99, s[8:9]
	flat_load_dwordx2 v[66:67], v[66:67]
	v_pk_add_f32 v[116:117], v[4:5], v[10:11]
	v_pk_add_f32 v[4:5], v[100:101], 0 op_sel_hi:[1,0]
	v_pk_add_f32 v[4:5], v[4:5], v[102:103]
	v_pk_add_f32 v[4:5], v[4:5], v[104:105]
	;; [unrolled: 1-line block ×3, first 2 shown]
	ds_read_b64 v[6:7], v77
	ds_read_b64 v[4:5], v81 offset:384
	v_pk_add_f32 v[8:9], v[108:109], 0 op_sel_hi:[1,0]
	v_pk_add_f32 v[8:9], v[8:9], v[110:111]
	v_pk_add_f32 v[8:9], v[8:9], v[112:113]
	;; [unrolled: 1-line block ×3, first 2 shown]
	s_waitcnt vmcnt(0) lgkmcnt(0)
	v_mul_f32_e32 v9, v71, v6
	v_mul_f32_e32 v8, v71, v7
	;; [unrolled: 1-line block ×4, first 2 shown]
	v_fma_f32 v9, v70, v7, -v9
	v_fmac_f32_e32 v8, v70, v6
	v_mul_f32_e32 v11, v65, v6
	v_mul_f32_e32 v102, v65, v7
	v_fma_f32 v101, v68, v7, -v10
	v_fmac_f32_e32 v100, v68, v6
	ds_write_b64 v82, v[8:9]
	v_mul_f32_e32 v12, v67, v6
	v_mul_f32_e32 v104, v67, v7
	v_fma_f32 v103, v64, v7, -v11
	v_fmac_f32_e32 v102, v64, v6
	ds_read_b64 v[10:11], v81 offset:392
	ds_write_b64 v82, v[100:101] offset:536
	v_fma_f32 v105, v66, v7, -v12
	v_fmac_f32_e32 v104, v66, v6
	ds_read_b64 v[8:9], v81 offset:400
	ds_write_b64 v82, v[102:103] offset:1072
	ds_read_b64 v[6:7], v81 offset:408
	ds_write_b64 v82, v[104:105] offset:1608
	s_waitcnt lgkmcnt(0)
	s_barrier
	ds_read2_b64 v[100:103], v80 offset1:1
	ds_read2_b64 v[104:107], v80 offset0:2 offset1:3
	s_waitcnt lgkmcnt(0)
	s_barrier
	v_pk_add_f32 v[100:101], v[100:101], 0 op_sel_hi:[1,0]
	v_pk_add_f32 v[100:101], v[100:101], v[102:103]
	v_pk_add_f32 v[100:101], v[100:101], v[104:105]
	;; [unrolled: 1-line block ×3, first 2 shown]
	ds_write2_b64 v83, v[116:117], v[118:119] offset1:16
	ds_write2_b64 v83, v[108:109], v[100:101] offset0:32 offset1:48
	s_waitcnt lgkmcnt(0)
	s_barrier
	s_and_saveexec_b64 s[18:19], s[4:5]
	s_cbranch_execz .LBB40_128
; %bb.132:                              ;   in Loop: Header=BB40_129 Depth=1
	ds_read_b64 v[108:109], v78
	ds_read2_b64 v[100:103], v78 offset0:1 offset1:2
	ds_read2_b64 v[104:107], v78 offset0:3 offset1:4
	s_waitcnt lgkmcnt(1)
	v_add_f32_e32 v12, v100, v108
	v_add_f32_e32 v100, v101, v109
	;; [unrolled: 1-line block ×4, first 2 shown]
	ds_read2_b64 v[100:103], v78 offset0:5 offset1:6
	s_waitcnt lgkmcnt(1)
	v_add_f32_e32 v12, v12, v104
	v_add_f32_e32 v104, v108, v105
	;; [unrolled: 1-line block ×4, first 2 shown]
	v_add_u32_e32 v12, s24, v84
	ds_read2_b64 v[104:107], v78 offset0:7 offset1:8
	v_lshlrev_b64 v[110:111], 3, v[12:13]
	v_mov_b32_e32 v12, s26
	v_add_co_u32_e64 v112, s[8:9], s7, v110
	v_addc_co_u32_e64 v113, s[8:9], v12, v111, s[8:9]
	s_waitcnt lgkmcnt(1)
	v_pk_add_f32 v[100:101], v[108:109], v[100:101]
	ds_read2_b64 v[108:111], v78 offset0:9 offset1:10
	v_pk_add_f32 v[100:101], v[100:101], v[102:103]
	s_waitcnt lgkmcnt(1)
	v_pk_add_f32 v[100:101], v[100:101], v[104:105]
	v_pk_add_f32 v[104:105], v[100:101], v[106:107]
	ds_read2_b64 v[100:103], v78 offset0:11 offset1:12
	s_waitcnt lgkmcnt(1)
	v_pk_add_f32 v[108:109], v[104:105], v[108:109]
	ds_read2_b64 v[104:107], v78 offset0:13 offset1:14
	v_pk_add_f32 v[108:109], v[108:109], v[110:111]
	ds_read_b64 v[110:111], v79
	s_waitcnt lgkmcnt(2)
	v_pk_add_f32 v[100:101], v[108:109], v[100:101]
	v_pk_add_f32 v[100:101], v[100:101], v[102:103]
	s_waitcnt lgkmcnt(1)
	v_pk_add_f32 v[100:101], v[100:101], v[104:105]
	v_pk_add_f32 v[100:101], v[100:101], v[106:107]
	s_waitcnt lgkmcnt(0)
	v_pk_add_f32 v[100:101], v[100:101], v[110:111]
	global_store_dwordx2 v[112:113], v[100:101], off
	s_branch .LBB40_128
.LBB40_133:
	s_movk_i32 s2, 0x218
	s_or_b64 s[0:1], s[0:1], vcc
	v_mad_u32_u24 v0, v72, s2, v73
	s_xor_b64 s[0:1], s[0:1], -1
	ds_write_b64 v0, v[18:19]
	s_waitcnt lgkmcnt(0)
	s_barrier
	s_and_saveexec_b64 s[2:3], s[0:1]
	s_cbranch_execz .LBB40_135
; %bb.134:
	ds_read2_b64 v[0:3], v73 offset1:67
	ds_read2_b64 v[4:7], v73 offset0:134 offset1:201
	v_lshlrev_b64 v[8:9], 3, v[16:17]
	v_mov_b32_e32 v10, s26
	v_add_co_u32_e32 v8, vcc, s7, v8
	s_waitcnt lgkmcnt(1)
	v_pk_add_f32 v[0:1], v[2:3], v[0:1]
	s_waitcnt lgkmcnt(0)
	v_pk_add_f32 v[0:1], v[0:1], v[4:5]
	v_addc_co_u32_e32 v9, vcc, v10, v9, vcc
	v_pk_add_f32 v[0:1], v[0:1], v[6:7]
	global_store_dwordx2 v[8:9], v[0:1], off
.LBB40_135:
	s_endpgm
	.section	.rodata,"a",@progbits
	.p2align	6, 0x0
	.amdhsa_kernel _ZL26rocblas_hemvn_kernel_lowerILb1ELi64ELi4ELi33ELi32ELi16ElPK19rocblas_complex_numIfEPKS3_PS1_EviT6_lT7_lT5_lS8_lS9_lS7_lT8_i
		.amdhsa_group_segment_fixed_size 9600
		.amdhsa_private_segment_fixed_size 0
		.amdhsa_kernarg_size 376
		.amdhsa_user_sgpr_count 6
		.amdhsa_user_sgpr_private_segment_buffer 1
		.amdhsa_user_sgpr_dispatch_ptr 0
		.amdhsa_user_sgpr_queue_ptr 0
		.amdhsa_user_sgpr_kernarg_segment_ptr 1
		.amdhsa_user_sgpr_dispatch_id 0
		.amdhsa_user_sgpr_flat_scratch_init 0
		.amdhsa_user_sgpr_kernarg_preload_length 0
		.amdhsa_user_sgpr_kernarg_preload_offset 0
		.amdhsa_user_sgpr_private_segment_size 0
		.amdhsa_uses_dynamic_stack 0
		.amdhsa_system_sgpr_private_segment_wavefront_offset 0
		.amdhsa_system_sgpr_workgroup_id_x 1
		.amdhsa_system_sgpr_workgroup_id_y 0
		.amdhsa_system_sgpr_workgroup_id_z 1
		.amdhsa_system_sgpr_workgroup_info 0
		.amdhsa_system_vgpr_workitem_id 1
		.amdhsa_next_free_vgpr 120
		.amdhsa_next_free_sgpr 46
		.amdhsa_accum_offset 120
		.amdhsa_reserve_vcc 1
		.amdhsa_reserve_flat_scratch 0
		.amdhsa_float_round_mode_32 0
		.amdhsa_float_round_mode_16_64 0
		.amdhsa_float_denorm_mode_32 3
		.amdhsa_float_denorm_mode_16_64 3
		.amdhsa_dx10_clamp 1
		.amdhsa_ieee_mode 1
		.amdhsa_fp16_overflow 0
		.amdhsa_tg_split 0
		.amdhsa_exception_fp_ieee_invalid_op 0
		.amdhsa_exception_fp_denorm_src 0
		.amdhsa_exception_fp_ieee_div_zero 0
		.amdhsa_exception_fp_ieee_overflow 0
		.amdhsa_exception_fp_ieee_underflow 0
		.amdhsa_exception_fp_ieee_inexact 0
		.amdhsa_exception_int_div_zero 0
	.end_amdhsa_kernel
	.section	.text._ZL26rocblas_hemvn_kernel_lowerILb1ELi64ELi4ELi33ELi32ELi16ElPK19rocblas_complex_numIfEPKS3_PS1_EviT6_lT7_lT5_lS8_lS9_lS7_lT8_i,"axG",@progbits,_ZL26rocblas_hemvn_kernel_lowerILb1ELi64ELi4ELi33ELi32ELi16ElPK19rocblas_complex_numIfEPKS3_PS1_EviT6_lT7_lT5_lS8_lS9_lS7_lT8_i,comdat
.Lfunc_end40:
	.size	_ZL26rocblas_hemvn_kernel_lowerILb1ELi64ELi4ELi33ELi32ELi16ElPK19rocblas_complex_numIfEPKS3_PS1_EviT6_lT7_lT5_lS8_lS9_lS7_lT8_i, .Lfunc_end40-_ZL26rocblas_hemvn_kernel_lowerILb1ELi64ELi4ELi33ELi32ELi16ElPK19rocblas_complex_numIfEPKS3_PS1_EviT6_lT7_lT5_lS8_lS9_lS7_lT8_i
                                        ; -- End function
	.section	.AMDGPU.csdata,"",@progbits
; Kernel info:
; codeLenInByte = 8456
; NumSgprs: 50
; NumVgprs: 120
; NumAgprs: 0
; TotalNumVgprs: 120
; ScratchSize: 0
; MemoryBound: 1
; FloatMode: 240
; IeeeMode: 1
; LDSByteSize: 9600 bytes/workgroup (compile time only)
; SGPRBlocks: 6
; VGPRBlocks: 14
; NumSGPRsForWavesPerEU: 50
; NumVGPRsForWavesPerEU: 120
; AccumOffset: 120
; Occupancy: 4
; WaveLimiterHint : 1
; COMPUTE_PGM_RSRC2:SCRATCH_EN: 0
; COMPUTE_PGM_RSRC2:USER_SGPR: 6
; COMPUTE_PGM_RSRC2:TRAP_HANDLER: 0
; COMPUTE_PGM_RSRC2:TGID_X_EN: 1
; COMPUTE_PGM_RSRC2:TGID_Y_EN: 0
; COMPUTE_PGM_RSRC2:TGID_Z_EN: 1
; COMPUTE_PGM_RSRC2:TIDIG_COMP_CNT: 1
; COMPUTE_PGM_RSRC3_GFX90A:ACCUM_OFFSET: 29
; COMPUTE_PGM_RSRC3_GFX90A:TG_SPLIT: 0
	.section	.text._ZL36rocblas_hemvn_kernel_lower_block_sumILi64ElPK19rocblas_complex_numIfEPKPS1_S1_EviT1_lS7_lT2_lT0_lPT3_i,"axG",@progbits,_ZL36rocblas_hemvn_kernel_lower_block_sumILi64ElPK19rocblas_complex_numIfEPKPS1_S1_EviT1_lS7_lT2_lT0_lPT3_i,comdat
	.globl	_ZL36rocblas_hemvn_kernel_lower_block_sumILi64ElPK19rocblas_complex_numIfEPKPS1_S1_EviT1_lS7_lT2_lT0_lPT3_i ; -- Begin function _ZL36rocblas_hemvn_kernel_lower_block_sumILi64ElPK19rocblas_complex_numIfEPKPS1_S1_EviT1_lS7_lT2_lT0_lPT3_i
	.p2align	8
	.type	_ZL36rocblas_hemvn_kernel_lower_block_sumILi64ElPK19rocblas_complex_numIfEPKPS1_S1_EviT1_lS7_lT2_lT0_lPT3_i,@function
_ZL36rocblas_hemvn_kernel_lower_block_sumILi64ElPK19rocblas_complex_numIfEPKPS1_S1_EviT1_lS7_lT2_lT0_lPT3_i: ; @_ZL36rocblas_hemvn_kernel_lower_block_sumILi64ElPK19rocblas_complex_numIfEPKPS1_S1_EviT1_lS7_lT2_lT0_lPT3_i
; %bb.0:
	s_load_dwordx8 s[16:23], s[4:5], 0x8
	s_mov_b32 s13, 0
	s_waitcnt lgkmcnt(0)
	s_mul_i32 s0, s7, s19
	s_mul_hi_u32 s1, s7, s18
	s_add_i32 s1, s1, s0
	s_mul_i32 s0, s7, s18
	s_lshl_b64 s[0:1], s[0:1], 3
	s_add_u32 s0, s16, s0
	s_mul_i32 s2, s7, s23
	s_mul_hi_u32 s3, s7, s22
	s_addc_u32 s1, s17, s1
	s_add_i32 s3, s3, s2
	s_mul_i32 s2, s7, s22
	s_load_dwordx2 s[8:9], s[0:1], 0x0
	s_lshl_b64 s[0:1], s[2:3], 3
	s_add_u32 s0, s20, s0
	s_addc_u32 s1, s21, s1
	s_load_dwordx2 s[10:11], s[0:1], 0x0
	s_waitcnt lgkmcnt(0)
	s_or_b32 s0, s8, s9
	s_bitset0_b32 s0, 31
	s_cmp_eq_u32 s0, 0
	s_cselect_b64 s[16:17], -1, 0
	v_cmp_eq_f32_e64 s[0:1], s10, 1.0
	v_cmp_eq_f32_e64 s[2:3], s11, 0
	s_and_b64 s[0:1], s[0:1], s[2:3]
	s_and_b64 s[0:1], s[16:17], s[0:1]
	s_and_b64 vcc, exec, s[0:1]
	s_cbranch_vccnz .LBB41_17
; %bb.1:
	s_load_dwordx2 s[18:19], s[4:5], 0x28
	s_load_dword s14, s[4:5], 0x0
	s_load_dwordx4 s[0:3], s[4:5], 0x30
	s_mov_b32 s12, s7
	s_lshl_b64 s[20:21], s[12:13], 3
	s_waitcnt lgkmcnt(0)
	s_add_u32 s18, s18, s20
	s_addc_u32 s19, s19, s21
	s_load_dwordx2 s[20:21], s[18:19], 0x0
	s_lshl_b64 s[0:1], s[0:1], 3
	v_lshl_or_b32 v8, s6, 6, v0
	s_mov_b64 s[18:19], -1
	s_waitcnt lgkmcnt(0)
	s_add_u32 s7, s20, s0
	s_addc_u32 s13, s21, s1
	s_andn2_b64 vcc, exec, s[16:17]
	v_cmp_gt_i32_e64 s[0:1], s14, v8
	s_cbranch_vccnz .LBB41_7
; %bb.2:
	s_and_saveexec_b64 s[16:17], s[0:1]
	s_cbranch_execz .LBB41_6
; %bb.3:
	v_ashrrev_i32_e32 v0, 31, v8
	v_cmp_neq_f32_e64 s[0:1], s10, 0
	v_cmp_neq_f32_e64 s[18:19], s11, 0
	v_mul_lo_u32 v2, v8, s3
	v_mul_lo_u32 v3, v0, s2
	v_mad_u64_u32 v[0:1], s[20:21], v8, s2, 0
	v_add3_u32 v1, v1, v2, v3
	s_or_b64 s[0:1], s[0:1], s[18:19]
	s_andn2_b64 vcc, exec, s[0:1]
	v_mov_b32_e32 v2, 0
	v_lshlrev_b64 v[0:1], 3, v[0:1]
	v_mov_b32_e32 v3, 0
	s_cbranch_vccnz .LBB41_5
; %bb.4:
	v_mov_b32_e32 v3, s13
	v_add_co_u32_e32 v2, vcc, s7, v0
	v_addc_co_u32_e32 v3, vcc, v3, v1, vcc
	global_load_dwordx2 v[4:5], v[2:3], off
	s_waitcnt vmcnt(0)
	v_pk_mul_f32 v[6:7], v[4:5], s[10:11] op_sel:[1,0]
	v_pk_fma_f32 v[2:3], v[4:5], s[10:11], v[6:7] op_sel:[0,0,1] op_sel_hi:[1,1,0] neg_lo:[0,0,1] neg_hi:[0,0,1]
	v_pk_fma_f32 v[4:5], v[4:5], s[10:11], v[6:7] op_sel:[0,0,1] op_sel_hi:[0,1,0]
	v_mov_b32_e32 v3, v5
.LBB41_5:
	v_mov_b32_e32 v4, s13
	v_add_co_u32_e32 v0, vcc, s7, v0
	v_addc_co_u32_e32 v1, vcc, v4, v1, vcc
	global_store_dwordx2 v[0:1], v[2:3], off
.LBB41_6:
	s_or_b64 exec, exec, s[16:17]
	s_mov_b64 s[18:19], 0
.LBB41_7:
	s_andn2_b64 vcc, exec, s[18:19]
	s_cbranch_vccnz .LBB41_17
; %bb.8:
	v_cmp_gt_i32_e32 vcc, s14, v8
	s_and_saveexec_b64 s[0:1], vcc
	s_cbranch_execz .LBB41_17
; %bb.9:
	s_load_dword s16, s[4:5], 0x58
	v_mov_b32_e32 v1, 0
	v_mov_b32_e32 v0, v1
	s_waitcnt lgkmcnt(0)
	s_cmp_ge_i32 s6, s16
	s_cbranch_scc1 .LBB41_12
; %bb.10:
	s_load_dwordx2 s[0:1], s[4:5], 0x48
	s_ashr_i32 s15, s14, 31
	s_mul_i32 s4, s6, s14
	v_add_u32_e32 v0, s4, v8
	s_mul_hi_u32 s4, s14, s12
	s_mul_i32 s5, s15, s12
	s_add_i32 s4, s4, s5
	s_mul_i32 s12, s14, s12
	s_mul_i32 s4, s4, s16
	s_mul_hi_u32 s5, s12, s16
	s_add_i32 s5, s5, s4
	s_mul_i32 s4, s12, s16
	s_lshl_b64 s[4:5], s[4:5], 3
	v_ashrrev_i32_e32 v1, 31, v0
	s_waitcnt lgkmcnt(0)
	s_add_u32 s0, s0, s4
	v_lshlrev_b64 v[0:1], 3, v[0:1]
	s_addc_u32 s1, s1, s5
	v_mov_b32_e32 v3, s1
	v_add_co_u32_e32 v2, vcc, s0, v0
	s_lshl_b64 s[0:1], s[14:15], 3
	v_mov_b32_e32 v0, 0
	v_addc_co_u32_e32 v3, vcc, v3, v1, vcc
	v_mov_b32_e32 v4, s1
	v_mov_b32_e32 v1, v0
.LBB41_11:                              ; =>This Inner Loop Header: Depth=1
	global_load_dwordx2 v[6:7], v[2:3], off
	s_add_i32 s6, s6, 1
	v_add_co_u32_e32 v2, vcc, s0, v2
	v_addc_co_u32_e32 v3, vcc, v3, v4, vcc
	s_cmp_ge_i32 s6, s16
	s_waitcnt vmcnt(0)
	v_pk_add_f32 v[0:1], v[0:1], v[6:7]
	s_cbranch_scc0 .LBB41_11
.LBB41_12:
	v_cmp_neq_f32_e64 s[0:1], s10, 0
	v_cmp_neq_f32_e64 s[4:5], s11, 0
	s_or_b64 s[0:1], s[0:1], s[4:5]
	v_pk_mul_f32 v[6:7], v[0:1], s[8:9] op_sel:[1,0]
	v_ashrrev_i32_e32 v4, 31, v8
	s_andn2_b64 vcc, exec, s[0:1]
	v_pk_fma_f32 v[2:3], v[0:1], s[8:9], v[6:7] op_sel:[0,0,1] op_sel_hi:[0,1,0]
	v_mul_lo_u32 v9, v8, s3
	v_mul_lo_u32 v10, v4, s2
	s_cbranch_vccz .LBB41_14
; %bb.13:
	v_pk_mul_f32 v[12:13], v[0:1], s[8:9] op_sel_hi:[0,1]
	v_mad_u64_u32 v[4:5], s[0:1], v8, s2, 0
	v_add3_u32 v5, v5, v9, v10
	v_sub_f32_e32 v2, v12, v7
	s_cbranch_execz .LBB41_15
	s_branch .LBB41_16
.LBB41_14:
                                        ; implicit-def: $vgpr4_vgpr5
.LBB41_15:
	v_mad_u64_u32 v[4:5], s[0:1], v8, s2, 0
	v_add3_u32 v5, v5, v9, v10
	v_lshlrev_b64 v[8:9], 3, v[4:5]
	v_mov_b32_e32 v2, s13
	v_add_co_u32_e32 v8, vcc, s7, v8
	v_addc_co_u32_e32 v9, vcc, v2, v9, vcc
	global_load_dwordx2 v[8:9], v[8:9], off
	v_pk_fma_f32 v[0:1], v[0:1], s[8:9], v[6:7] op_sel:[0,0,1] op_sel_hi:[1,1,0] neg_lo:[0,0,1] neg_hi:[0,0,1]
	v_mov_b32_e32 v1, v3
	s_waitcnt vmcnt(0)
	v_pk_mul_f32 v[6:7], v[8:9], s[10:11] op_sel:[1,0]
	v_pk_fma_f32 v[10:11], v[8:9], s[10:11], v[6:7] op_sel:[0,0,1] op_sel_hi:[1,1,0] neg_lo:[0,0,1] neg_hi:[0,0,1]
	v_pk_fma_f32 v[6:7], v[8:9], s[10:11], v[6:7] op_sel:[0,0,1] op_sel_hi:[0,1,0]
	v_mov_b32_e32 v11, v7
	v_pk_add_f32 v[2:3], v[0:1], v[10:11]
.LBB41_16:
	v_lshlrev_b64 v[0:1], 3, v[4:5]
	v_mov_b32_e32 v4, s13
	v_add_co_u32_e32 v0, vcc, s7, v0
	v_addc_co_u32_e32 v1, vcc, v4, v1, vcc
	global_store_dwordx2 v[0:1], v[2:3], off
.LBB41_17:
	s_endpgm
	.section	.rodata,"a",@progbits
	.p2align	6, 0x0
	.amdhsa_kernel _ZL36rocblas_hemvn_kernel_lower_block_sumILi64ElPK19rocblas_complex_numIfEPKPS1_S1_EviT1_lS7_lT2_lT0_lPT3_i
		.amdhsa_group_segment_fixed_size 0
		.amdhsa_private_segment_fixed_size 0
		.amdhsa_kernarg_size 344
		.amdhsa_user_sgpr_count 6
		.amdhsa_user_sgpr_private_segment_buffer 1
		.amdhsa_user_sgpr_dispatch_ptr 0
		.amdhsa_user_sgpr_queue_ptr 0
		.amdhsa_user_sgpr_kernarg_segment_ptr 1
		.amdhsa_user_sgpr_dispatch_id 0
		.amdhsa_user_sgpr_flat_scratch_init 0
		.amdhsa_user_sgpr_kernarg_preload_length 0
		.amdhsa_user_sgpr_kernarg_preload_offset 0
		.amdhsa_user_sgpr_private_segment_size 0
		.amdhsa_uses_dynamic_stack 0
		.amdhsa_system_sgpr_private_segment_wavefront_offset 0
		.amdhsa_system_sgpr_workgroup_id_x 1
		.amdhsa_system_sgpr_workgroup_id_y 0
		.amdhsa_system_sgpr_workgroup_id_z 1
		.amdhsa_system_sgpr_workgroup_info 0
		.amdhsa_system_vgpr_workitem_id 0
		.amdhsa_next_free_vgpr 14
		.amdhsa_next_free_sgpr 24
		.amdhsa_accum_offset 16
		.amdhsa_reserve_vcc 1
		.amdhsa_reserve_flat_scratch 0
		.amdhsa_float_round_mode_32 0
		.amdhsa_float_round_mode_16_64 0
		.amdhsa_float_denorm_mode_32 3
		.amdhsa_float_denorm_mode_16_64 3
		.amdhsa_dx10_clamp 1
		.amdhsa_ieee_mode 1
		.amdhsa_fp16_overflow 0
		.amdhsa_tg_split 0
		.amdhsa_exception_fp_ieee_invalid_op 0
		.amdhsa_exception_fp_denorm_src 0
		.amdhsa_exception_fp_ieee_div_zero 0
		.amdhsa_exception_fp_ieee_overflow 0
		.amdhsa_exception_fp_ieee_underflow 0
		.amdhsa_exception_fp_ieee_inexact 0
		.amdhsa_exception_int_div_zero 0
	.end_amdhsa_kernel
	.section	.text._ZL36rocblas_hemvn_kernel_lower_block_sumILi64ElPK19rocblas_complex_numIfEPKPS1_S1_EviT1_lS7_lT2_lT0_lPT3_i,"axG",@progbits,_ZL36rocblas_hemvn_kernel_lower_block_sumILi64ElPK19rocblas_complex_numIfEPKPS1_S1_EviT1_lS7_lT2_lT0_lPT3_i,comdat
.Lfunc_end41:
	.size	_ZL36rocblas_hemvn_kernel_lower_block_sumILi64ElPK19rocblas_complex_numIfEPKPS1_S1_EviT1_lS7_lT2_lT0_lPT3_i, .Lfunc_end41-_ZL36rocblas_hemvn_kernel_lower_block_sumILi64ElPK19rocblas_complex_numIfEPKPS1_S1_EviT1_lS7_lT2_lT0_lPT3_i
                                        ; -- End function
	.section	.AMDGPU.csdata,"",@progbits
; Kernel info:
; codeLenInByte = 828
; NumSgprs: 28
; NumVgprs: 14
; NumAgprs: 0
; TotalNumVgprs: 14
; ScratchSize: 0
; MemoryBound: 0
; FloatMode: 240
; IeeeMode: 1
; LDSByteSize: 0 bytes/workgroup (compile time only)
; SGPRBlocks: 3
; VGPRBlocks: 1
; NumSGPRsForWavesPerEU: 28
; NumVGPRsForWavesPerEU: 14
; AccumOffset: 16
; Occupancy: 8
; WaveLimiterHint : 1
; COMPUTE_PGM_RSRC2:SCRATCH_EN: 0
; COMPUTE_PGM_RSRC2:USER_SGPR: 6
; COMPUTE_PGM_RSRC2:TRAP_HANDLER: 0
; COMPUTE_PGM_RSRC2:TGID_X_EN: 1
; COMPUTE_PGM_RSRC2:TGID_Y_EN: 0
; COMPUTE_PGM_RSRC2:TGID_Z_EN: 1
; COMPUTE_PGM_RSRC2:TIDIG_COMP_CNT: 0
; COMPUTE_PGM_RSRC3_GFX90A:ACCUM_OFFSET: 3
; COMPUTE_PGM_RSRC3_GFX90A:TG_SPLIT: 0
	.section	.text._ZL26rocblas_hemvn_kernel_lowerILb1ELi64ELi4ELi33ELi32ELi16EiPK19rocblas_complex_numIfEPKS3_PS1_EviT6_lT7_lT5_lS8_lS9_lS7_lT8_i,"axG",@progbits,_ZL26rocblas_hemvn_kernel_lowerILb1ELi64ELi4ELi33ELi32ELi16EiPK19rocblas_complex_numIfEPKS3_PS1_EviT6_lT7_lT5_lS8_lS9_lS7_lT8_i,comdat
	.globl	_ZL26rocblas_hemvn_kernel_lowerILb1ELi64ELi4ELi33ELi32ELi16EiPK19rocblas_complex_numIfEPKS3_PS1_EviT6_lT7_lT5_lS8_lS9_lS7_lT8_i ; -- Begin function _ZL26rocblas_hemvn_kernel_lowerILb1ELi64ELi4ELi33ELi32ELi16EiPK19rocblas_complex_numIfEPKS3_PS1_EviT6_lT7_lT5_lS8_lS9_lS7_lT8_i
	.p2align	8
	.type	_ZL26rocblas_hemvn_kernel_lowerILb1ELi64ELi4ELi33ELi32ELi16EiPK19rocblas_complex_numIfEPKS3_PS1_EviT6_lT7_lT5_lS8_lS9_lS7_lT8_i,@function
_ZL26rocblas_hemvn_kernel_lowerILb1ELi64ELi4ELi33ELi32ELi16EiPK19rocblas_complex_numIfEPKS3_PS1_EviT6_lT7_lT5_lS8_lS9_lS7_lT8_i: ; @_ZL26rocblas_hemvn_kernel_lowerILb1ELi64ELi4ELi33ELi32ELi16EiPK19rocblas_complex_numIfEPKS3_PS1_EviT6_lT7_lT5_lS8_lS9_lS7_lT8_i
; %bb.0:
	s_load_dwordx2 s[0:1], s[4:5], 0x84
	s_add_u32 s16, s4, 0x78
	s_addc_u32 s17, s5, 0
	s_waitcnt lgkmcnt(0)
	s_lshr_b32 s2, s0, 16
	s_and_b32 s0, s0, 0xffff
	s_and_b32 s1, s1, 0xffff
	s_mul_i32 s0, s2, s0
	s_mul_i32 s0, s0, s1
	s_cmpk_lg_i32 s0, 0x100
	s_cbranch_scc1 .LBB42_135
; %bb.1:
	s_load_dwordx8 s[8:15], s[4:5], 0x8
	s_mov_b32 s20, s7
	s_mov_b32 s21, 0
	s_waitcnt lgkmcnt(0)
	s_mul_i32 s0, s7, s11
	s_mul_hi_u32 s1, s7, s10
	s_add_i32 s1, s1, s0
	s_mul_i32 s0, s7, s10
	s_lshl_b64 s[0:1], s[0:1], 3
	s_add_u32 s8, s8, s0
	s_addc_u32 s9, s9, s1
	s_load_dwordx2 s[10:11], s[8:9], 0x0
	s_load_dwordx2 s[22:23], s[4:5], 0x68
	s_load_dwordx4 s[0:3], s[4:5], 0x58
	s_waitcnt lgkmcnt(0)
	s_or_b32 s7, s10, s11
	s_bitset0_b32 s7, 31
	s_cmp_lg_u32 s7, 0
	s_cselect_b64 s[10:11], -1, 0
	s_and_b64 vcc, exec, s[10:11]
	s_cbranch_vccnz .LBB42_4
; %bb.2:
	s_mul_i32 s3, s20, s3
	s_mul_hi_u32 s7, s20, s2
	s_add_i32 s3, s7, s3
	s_mul_i32 s2, s20, s2
	s_lshl_b64 s[2:3], s[2:3], 3
	s_add_u32 s0, s0, s2
	s_addc_u32 s1, s1, s3
	s_load_dwordx2 s[0:1], s[0:1], 0x0
                                        ; implicit-def: $sgpr8_sgpr9
	s_waitcnt lgkmcnt(0)
	v_cmp_eq_f32_e64 s[2:3], s0, 1.0
	v_cmp_eq_f32_e64 s[0:1], s1, 0
	s_and_b64 s[0:1], s[2:3], s[0:1]
	s_mov_b64 s[2:3], 0
	s_andn2_b64 vcc, exec, s[0:1]
	s_mov_b64 s[0:1], 0
	s_cbranch_vccz .LBB42_5
; %bb.3:
	s_mov_b64 s[0:1], -1
	s_mov_b64 s[8:9], 0
	s_branch .LBB42_5
.LBB42_4:
	s_mov_b64 s[2:3], -1
	s_mov_b64 s[0:1], 0
                                        ; implicit-def: $sgpr8_sgpr9
.LBB42_5:
	s_and_b64 vcc, exec, s[2:3]
	s_cbranch_vccz .LBB42_7
; %bb.6:
	s_lshl_b64 s[0:1], s[20:21], 3
	s_add_u32 s0, s12, s0
	s_addc_u32 s1, s13, s1
	s_load_dwordx2 s[0:1], s[0:1], 0x0
	s_lshl_b64 s[2:3], s[14:15], 3
	s_waitcnt lgkmcnt(0)
	s_add_u32 s8, s0, s2
	s_addc_u32 s9, s1, s3
	s_mov_b64 s[0:1], -1
.LBB42_7:
	s_andn2_b64 vcc, exec, s[0:1]
	s_cbranch_vccnz .LBB42_135
; %bb.8:
	v_cndmask_b32_e64 v1, 0, 1, s[10:11]
	v_cmp_ne_u32_e64 s[0:1], 1, v1
	s_andn2_b64 vcc, exec, s[10:11]
	s_mov_b64 s[2:3], 0
	s_cbranch_vccnz .LBB42_10
; %bb.9:
	s_load_dwordx4 s[12:15], s[4:5], 0x38
	s_lshl_b64 s[2:3], s[20:21], 3
	s_waitcnt lgkmcnt(0)
	s_add_u32 s2, s12, s2
	s_addc_u32 s3, s13, s3
	s_load_dwordx2 s[2:3], s[2:3], 0x0
	s_lshl_b64 s[10:11], s[14:15], 3
	s_waitcnt lgkmcnt(0)
	s_add_u32 s2, s2, s10
	s_addc_u32 s3, s3, s11
.LBB42_10:
	s_and_b64 vcc, exec, s[0:1]
	s_cbranch_vccnz .LBB42_135
; %bb.11:
	s_load_dword s33, s[16:17], 0x0
	s_load_dword s21, s[4:5], 0x0
	;; [unrolled: 1-line block ×3, first 2 shown]
	v_and_b32_e32 v22, 0x3ff, v0
	s_lshl_b32 s28, s6, 6
	v_add_u32_e32 v24, s28, v22
	s_waitcnt lgkmcnt(0)
	s_ashr_i32 s42, s21, 31
	s_lshr_b32 s1, s42, 26
	v_bfe_u32 v25, v0, 10, 10
	s_add_i32 s1, s21, s1
	v_mul_lo_u32 v0, v24, s7
	s_andn2_b32 s1, s1, 63
	v_ashrrev_i32_e32 v1, 31, v0
	s_add_i32 s0, s33, -1
	s_sub_i32 s1, s21, s1
	v_lshlrev_b64 v[0:1], 3, v[0:1]
	s_cmp_eq_u32 s6, s0
	v_mov_b32_e32 v2, s3
	v_add_co_u32_e32 v16, vcc, s2, v0
	s_cselect_b32 s26, s1, 0
	v_addc_co_u32_e32 v17, vcc, v2, v1, vcc
	v_cmp_ne_u32_e64 s[0:1], 0, v25
	v_cmp_eq_u32_e64 s[2:3], 0, v25
	s_and_saveexec_b64 s[10:11], s[2:3]
	s_cbranch_execz .LBB42_16
; %bb.12:
	s_cmp_lg_u32 s26, 0
	s_cselect_b64 s[12:13], -1, 0
	v_cmp_le_i32_e32 vcc, s26, v22
	v_mov_b32_e32 v0, 0x2380
	s_and_b64 s[12:13], s[12:13], vcc
	v_lshl_add_u32 v0, v22, 3, v0
	s_and_saveexec_b64 s[14:15], s[12:13]
	s_xor_b64 s[12:13], exec, s[14:15]
	s_cbranch_execz .LBB42_14
; %bb.13:
	v_mov_b32_e32 v2, 0
	v_mov_b32_e32 v3, v2
	ds_write_b64 v0, v[2:3]
                                        ; implicit-def: $vgpr0
.LBB42_14:
	s_andn2_saveexec_b64 s[12:13], s[12:13]
	s_cbranch_execz .LBB42_16
; %bb.15:
	flat_load_dwordx2 v[2:3], v[16:17]
	s_waitcnt vmcnt(0) lgkmcnt(0)
	ds_write_b64 v0, v[2:3]
.LBB42_16:
	s_or_b64 exec, exec, s[10:11]
	s_load_dword s24, s[4:5], 0x28
	s_ashr_i32 s29, s28, 31
	v_lshl_add_u32 v23, v25, 6, v22
	s_lshl_b64 s[4:5], s[28:29], 3
	v_and_b32_e32 v0, 31, v22
	v_lshrrev_b32_e32 v8, 5, v23
	s_add_u32 s8, s8, s4
	s_addc_u32 s9, s9, s5
	s_waitcnt lgkmcnt(0)
	v_mad_u64_u32 v[2:3], s[4:5], v8, s24, v[0:1]
	s_mul_i32 s4, s28, s24
	s_ashr_i32 s5, s4, 31
	s_lshl_b64 s[30:31], s[4:5], 3
	v_ashrrev_i32_e32 v3, 31, v2
	s_add_u32 s4, s30, s8
	v_lshlrev_b64 v[18:19], 3, v[2:3]
	s_addc_u32 s5, s31, s9
	v_mov_b32_e32 v1, s5
	v_add_co_u32_e32 v2, vcc, s4, v18
	s_cmp_lg_u32 s26, 0
	v_addc_co_u32_e32 v3, vcc, v1, v19, vcc
	s_cselect_b64 s[34:35], -1, 0
	s_cmp_eq_u32 s26, 0
	s_cselect_b64 s[36:37], -1, 0
	s_and_b64 vcc, exec, s[34:35]
	s_cbranch_vccnz .LBB42_18
; %bb.17:
	flat_load_dwordx2 v[4:5], v[2:3]
	s_lshl_b32 s4, s24, 3
	s_ashr_i32 s5, s4, 31
	v_mul_u32_u24_e32 v1, 33, v8
	s_lshl_b64 s[4:5], s[4:5], 3
	v_add_lshl_u32 v1, v1, v0, 3
	v_mov_b32_e32 v7, s5
	v_add_co_u32_e32 v6, vcc, s4, v2
	v_addc_co_u32_e32 v7, vcc, v3, v7, vcc
	s_ashr_i32 s25, s24, 31
	s_lshl_b64 s[4:5], s[24:25], 6
	v_mov_b32_e32 v9, s5
	s_waitcnt vmcnt(0) lgkmcnt(0)
	ds_write_b64 v1, v[4:5]
	flat_load_dwordx2 v[4:5], v[6:7]
	v_add_co_u32_e32 v6, vcc, s4, v6
	v_addc_co_u32_e32 v7, vcc, v7, v9, vcc
	s_waitcnt vmcnt(0) lgkmcnt(0)
	ds_write_b64 v1, v[4:5] offset:2112
	flat_load_dwordx2 v[4:5], v[6:7]
	v_add_co_u32_e32 v6, vcc, s4, v6
	v_addc_co_u32_e32 v7, vcc, v7, v9, vcc
	s_waitcnt vmcnt(0) lgkmcnt(0)
	ds_write_b64 v1, v[4:5] offset:4224
	flat_load_dwordx2 v[4:5], v[6:7]
	s_waitcnt vmcnt(0) lgkmcnt(0)
	ds_write_b64 v1, v[4:5] offset:6336
	s_cbranch_execz .LBB42_19
	s_branch .LBB42_34
.LBB42_18:
.LBB42_19:
	v_lshlrev_b32_e32 v1, 3, v0
	v_sub_co_u32_e32 v4, vcc, v2, v1
	s_ashr_i32 s27, s26, 31
	v_subbrev_co_u32_e32 v5, vcc, 0, v3, vcc
	s_lshl_b64 s[8:9], s[26:27], 3
	v_mov_b32_e32 v6, s9
	v_add_co_u32_e32 v4, vcc, s8, v4
	v_addc_co_u32_e32 v5, vcc, v5, v6, vcc
	v_add_co_u32_e32 v4, vcc, -8, v4
	v_addc_co_u32_e32 v5, vcc, -1, v5, vcc
	v_cmp_gt_i32_e32 vcc, s26, v0
	v_mov_b32_e32 v6, 0
	v_cndmask_b32_e32 v5, v5, v3, vcc
	v_cndmask_b32_e32 v4, v4, v2, vcc
	v_cmp_gt_i32_e64 s[4:5], s26, v8
	v_mov_b32_e32 v7, v6
	s_and_saveexec_b64 s[10:11], s[4:5]
	s_cbranch_execz .LBB42_21
; %bb.20:
	flat_load_dwordx2 v[6:7], v[4:5]
.LBB42_21:
	s_or_b64 exec, exec, s[10:11]
	v_mul_u32_u24_e32 v9, 33, v8
	v_add_lshl_u32 v9, v9, v0, 3
	s_waitcnt vmcnt(0) lgkmcnt(0)
	ds_write_b64 v9, v[6:7]
	v_add_u32_e32 v6, 8, v8
	v_cmp_le_i32_e64 s[4:5], s26, v6
	s_and_saveexec_b64 s[10:11], s[4:5]
	s_xor_b64 s[4:5], exec, s[10:11]
	s_cbranch_execz .LBB42_23
; %bb.22:
	v_mul_u32_u24_e32 v6, 33, v6
	v_add_lshl_u32 v10, v6, v0, 3
	v_mov_b32_e32 v6, 0
	v_mov_b32_e32 v7, v6
	ds_write_b64 v10, v[6:7]
.LBB42_23:
	s_andn2_saveexec_b64 s[10:11], s[4:5]
	s_cbranch_execz .LBB42_25
; %bb.24:
	s_lshl_b32 s4, s24, 3
	s_ashr_i32 s5, s4, 31
	s_lshl_b64 s[4:5], s[4:5], 3
	v_mov_b32_e32 v7, s5
	v_add_co_u32_e64 v6, s[4:5], s4, v4
	v_addc_co_u32_e64 v7, s[4:5], v5, v7, s[4:5]
	flat_load_dwordx2 v[6:7], v[6:7]
	s_waitcnt vmcnt(0) lgkmcnt(0)
	ds_write_b64 v9, v[6:7] offset:2112
.LBB42_25:
	s_or_b64 exec, exec, s[10:11]
	v_add_u32_e32 v6, 16, v8
	v_cmp_le_i32_e64 s[4:5], s26, v6
	s_and_saveexec_b64 s[10:11], s[4:5]
	s_xor_b64 s[4:5], exec, s[10:11]
	s_cbranch_execz .LBB42_27
; %bb.26:
	v_mov_b32_e32 v6, 0
	v_mov_b32_e32 v7, v6
	ds_write_b64 v9, v[6:7] offset:4224
.LBB42_27:
	s_andn2_saveexec_b64 s[10:11], s[4:5]
	s_cbranch_execz .LBB42_29
; %bb.28:
	s_lshl_b32 s4, s24, 4
	s_ashr_i32 s5, s4, 31
	s_lshl_b64 s[4:5], s[4:5], 3
	v_mov_b32_e32 v7, s5
	v_add_co_u32_e64 v6, s[4:5], s4, v4
	v_addc_co_u32_e64 v7, s[4:5], v5, v7, s[4:5]
	flat_load_dwordx2 v[6:7], v[6:7]
	s_waitcnt vmcnt(0) lgkmcnt(0)
	ds_write_b64 v9, v[6:7] offset:4224
.LBB42_29:
	s_or_b64 exec, exec, s[10:11]
	v_add_u32_e32 v6, 24, v8
	v_cmp_le_i32_e64 s[4:5], s26, v6
	s_and_saveexec_b64 s[10:11], s[4:5]
	s_xor_b64 s[4:5], exec, s[10:11]
	s_cbranch_execz .LBB42_31
; %bb.30:
	v_mov_b32_e32 v6, 0
	v_mov_b32_e32 v7, v6
	ds_write_b64 v9, v[6:7] offset:6336
                                        ; implicit-def: $vgpr9
.LBB42_31:
	s_andn2_saveexec_b64 s[10:11], s[4:5]
	s_cbranch_execz .LBB42_33
; %bb.32:
	s_mul_i32 s4, s24, 24
	s_ashr_i32 s5, s4, 31
	s_lshl_b64 s[4:5], s[4:5], 3
	v_mov_b32_e32 v7, s5
	v_add_co_u32_e64 v6, s[4:5], s4, v4
	v_addc_co_u32_e64 v7, s[4:5], v5, v7, s[4:5]
	flat_load_dwordx2 v[6:7], v[6:7]
	s_waitcnt vmcnt(0) lgkmcnt(0)
	ds_write_b64 v9, v[6:7] offset:6336
.LBB42_33:
	s_or_b64 exec, exec, s[10:11]
	v_add_co_u32_e64 v1, s[4:5], v4, v1
	v_addc_co_u32_e64 v4, s[4:5], 0, v5, s[4:5]
	v_mov_b32_e32 v5, s9
	v_subrev_co_u32_e64 v1, s[4:5], s8, v1
	v_subb_co_u32_e64 v4, s[4:5], v4, v5, s[4:5]
	v_add_co_u32_e64 v1, s[4:5], 8, v1
	v_addc_co_u32_e64 v4, s[4:5], 0, v4, s[4:5]
	v_cndmask_b32_e32 v3, v4, v3, vcc
	v_cndmask_b32_e32 v2, v1, v2, vcc
.LBB42_34:
	v_lshlrev_b32_e32 v9, 2, v8
	v_cmp_ge_u32_e64 s[18:19], v9, v0
	s_waitcnt lgkmcnt(0)
	s_barrier
	s_and_saveexec_b64 s[4:5], s[18:19]
	s_xor_b64 s[4:5], exec, s[4:5]
	s_cbranch_execz .LBB42_38
; %bb.35:
	v_cmp_eq_u32_e32 vcc, v9, v0
	s_and_saveexec_b64 s[8:9], vcc
	s_cbranch_execz .LBB42_37
; %bb.36:
	v_mul_u32_u24_e32 v1, 34, v0
	v_lshlrev_b32_e32 v1, 3, v1
	v_mov_b32_e32 v4, 0
	ds_write_b32 v1, v4 offset:4
.LBB42_37:
	s_or_b64 exec, exec, s[8:9]
.LBB42_38:
	s_or_saveexec_b64 s[4:5], s[4:5]
	v_mul_u32_u24_e32 v28, 33, v0
	v_add_lshl_u32 v12, v9, v28, 3
	s_xor_b64 exec, exec, s[4:5]
	s_cbranch_execz .LBB42_40
; %bb.39:
	v_mul_u32_u24_e32 v1, 0x84, v8
	v_add_lshl_u32 v1, v1, v0, 3
	ds_read_b64 v[4:5], v1
	s_waitcnt lgkmcnt(0)
	v_xor_b32_e32 v5, 0x80000000, v5
	ds_write_b64 v12, v[4:5]
.LBB42_40:
	s_or_b64 exec, exec, s[4:5]
	v_or_b32_e32 v10, 1, v9
	v_cmp_ge_u32_e64 s[8:9], v10, v0
	s_and_saveexec_b64 s[4:5], s[8:9]
	s_xor_b64 s[4:5], exec, s[4:5]
	s_cbranch_execz .LBB42_44
; %bb.41:
	v_cmp_eq_u32_e32 vcc, v10, v0
	s_and_saveexec_b64 s[10:11], vcc
	s_cbranch_execz .LBB42_43
; %bb.42:
	v_mul_u32_u24_e32 v1, 34, v0
	v_lshlrev_b32_e32 v1, 3, v1
	v_mov_b32_e32 v4, 0
	ds_write_b32 v1, v4 offset:4
.LBB42_43:
	s_or_b64 exec, exec, s[10:11]
.LBB42_44:
	s_or_saveexec_b64 s[4:5], s[4:5]
	v_mul_u32_u24_e32 v1, 33, v10
	s_xor_b64 exec, exec, s[4:5]
	s_cbranch_execz .LBB42_46
; %bb.45:
	v_add_lshl_u32 v4, v1, v0, 3
	ds_read_b64 v[4:5], v4
	s_waitcnt lgkmcnt(0)
	v_xor_b32_e32 v5, 0x80000000, v5
	ds_write_b64 v12, v[4:5] offset:8
.LBB42_46:
	s_or_b64 exec, exec, s[4:5]
	v_or_b32_e32 v11, 2, v9
	v_cmp_ge_u32_e64 s[10:11], v11, v0
	s_and_saveexec_b64 s[4:5], s[10:11]
	s_xor_b64 s[4:5], exec, s[4:5]
	s_cbranch_execz .LBB42_50
; %bb.47:
	v_cmp_eq_u32_e32 vcc, v11, v0
	s_and_saveexec_b64 s[12:13], vcc
	s_cbranch_execz .LBB42_49
; %bb.48:
	v_mul_u32_u24_e32 v4, 34, v0
	v_lshlrev_b32_e32 v4, 3, v4
	v_mov_b32_e32 v5, 0
	ds_write_b32 v4, v5 offset:4
.LBB42_49:
	s_or_b64 exec, exec, s[12:13]
.LBB42_50:
	s_andn2_saveexec_b64 s[4:5], s[4:5]
	s_cbranch_execz .LBB42_52
; %bb.51:
	v_mul_u32_u24_e32 v4, 33, v11
	v_add_lshl_u32 v4, v4, v0, 3
	ds_read_b64 v[4:5], v4
	s_waitcnt lgkmcnt(0)
	v_xor_b32_e32 v5, 0x80000000, v5
	ds_write_b64 v12, v[4:5] offset:16
.LBB42_52:
	s_or_b64 exec, exec, s[4:5]
	v_or_b32_e32 v13, 3, v9
	v_cmp_ge_u32_e64 s[12:13], v13, v0
	s_and_saveexec_b64 s[4:5], s[12:13]
	s_xor_b64 s[4:5], exec, s[4:5]
	s_cbranch_execz .LBB42_56
; %bb.53:
	v_cmp_eq_u32_e32 vcc, v13, v0
	s_and_saveexec_b64 s[14:15], vcc
	s_cbranch_execz .LBB42_55
; %bb.54:
	v_mul_u32_u24_e32 v4, 34, v0
	v_lshlrev_b32_e32 v4, 3, v4
	v_mov_b32_e32 v5, 0
	ds_write_b32 v4, v5 offset:4
.LBB42_55:
	s_or_b64 exec, exec, s[14:15]
.LBB42_56:
	s_andn2_saveexec_b64 s[4:5], s[4:5]
	s_cbranch_execz .LBB42_58
; %bb.57:
	v_mul_u32_u24_e32 v4, 33, v13
	v_add_lshl_u32 v4, v4, v0, 3
	ds_read_b64 v[4:5], v4
	s_waitcnt lgkmcnt(0)
	v_xor_b32_e32 v5, 0x80000000, v5
	ds_write_b64 v12, v[4:5] offset:24
.LBB42_58:
	s_or_b64 exec, exec, s[4:5]
	v_mul_u32_u24_e32 v4, 0x84, v8
	v_lshlrev_b32_e32 v20, 3, v9
	s_waitcnt lgkmcnt(0)
	s_barrier
	v_add_lshl_u32 v15, v4, v0, 3
	v_add_lshl_u32 v14, v1, v0, 3
	ds_read_b128 v[4:7], v20 offset:9088
	ds_read_b64 v[26:27], v15
	ds_read2_b64 v[30:33], v14 offset1:33
	ds_read_b64 v[38:39], v14 offset:528
	ds_read_b128 v[34:37], v20 offset:9104
	s_mov_b32 s14, 0
	s_waitcnt lgkmcnt(3)
	v_pk_mul_f32 v[40:41], v[4:5], v[26:27] op_sel:[0,1]
	v_pk_fma_f32 v[42:43], v[4:5], v[26:27], v[40:41] op_sel:[0,0,1] op_sel_hi:[1,1,0] neg_lo:[0,0,1] neg_hi:[0,0,1]
	v_pk_fma_f32 v[4:5], v[4:5], v[26:27], v[40:41] op_sel:[0,0,1] op_sel_hi:[1,0,0]
	s_waitcnt lgkmcnt(2)
	v_pk_mul_f32 v[26:27], v[6:7], v[30:31] op_sel:[0,1]
	v_pk_fma_f32 v[40:41], v[6:7], v[30:31], v[26:27] op_sel:[0,0,1] op_sel_hi:[1,1,0] neg_lo:[0,0,1] neg_hi:[0,0,1]
	v_pk_fma_f32 v[6:7], v[6:7], v[30:31], v[26:27] op_sel:[0,0,1] op_sel_hi:[1,0,0]
	v_mov_b32_e32 v43, v5
	v_mov_b32_e32 v41, v7
	s_waitcnt lgkmcnt(0)
	v_pk_mul_f32 v[6:7], v[34:35], v[32:33] op_sel:[0,1]
	v_pk_add_f32 v[4:5], v[42:43], 0 op_sel_hi:[1,0]
	v_pk_fma_f32 v[26:27], v[34:35], v[32:33], v[6:7] op_sel:[0,0,1] op_sel_hi:[1,1,0] neg_lo:[0,0,1] neg_hi:[0,0,1]
	v_pk_fma_f32 v[6:7], v[34:35], v[32:33], v[6:7] op_sel:[0,0,1] op_sel_hi:[1,0,0]
	v_pk_add_f32 v[4:5], v[4:5], v[40:41]
	v_mov_b32_e32 v27, v7
	v_pk_mul_f32 v[6:7], v[36:37], v[38:39] op_sel:[0,1]
	v_pk_add_f32 v[4:5], v[4:5], v[26:27]
	v_pk_fma_f32 v[26:27], v[36:37], v[38:39], v[6:7] op_sel:[0,0,1] op_sel_hi:[1,1,0] neg_lo:[0,0,1] neg_hi:[0,0,1]
	v_pk_fma_f32 v[6:7], v[36:37], v[38:39], v[6:7] op_sel:[0,0,1] op_sel_hi:[1,0,0]
	s_mov_b32 s15, s14
	v_mov_b32_e32 v27, v7
	v_add_lshl_u32 v29, v8, v28, 3
	v_pk_add_f32 v[4:5], v[4:5], v[26:27]
	v_cmp_gt_u32_e64 s[4:5], 32, v23
	v_pk_mov_b32 v[26:27], s[14:15], s[14:15] op_sel:[0,1]
	s_barrier
	ds_write_b64 v29, v[4:5]
	s_waitcnt lgkmcnt(0)
	s_barrier
	s_and_saveexec_b64 s[14:15], s[4:5]
	s_cbranch_execz .LBB42_60
; %bb.59:
	v_lshlrev_b32_e32 v1, 3, v28
	ds_read2_b64 v[4:7], v1 offset1:7
	ds_read2_b64 v[30:33], v1 offset0:1 offset1:2
	ds_read2_b64 v[34:37], v1 offset0:3 offset1:4
	s_waitcnt lgkmcnt(1)
	v_add_f32_e32 v4, v30, v4
	v_add_f32_e32 v5, v31, v5
	v_add_f32_e32 v4, v4, v32
	v_add_f32_e32 v5, v5, v33
	ds_read2_b64 v[30:33], v1 offset0:5 offset1:6
	s_waitcnt lgkmcnt(1)
	v_add_f32_e32 v1, v4, v34
	v_add_f32_e32 v4, v5, v35
	;; [unrolled: 1-line block ×4, first 2 shown]
	s_waitcnt lgkmcnt(0)
	v_add_f32_e32 v1, v1, v30
	v_add_f32_e32 v5, v4, v31
	;; [unrolled: 1-line block ×4, first 2 shown]
	v_pk_add_f32 v[26:27], v[4:5], v[6:7]
.LBB42_60:
	s_or_b64 exec, exec, s[14:15]
	s_lshl_b32 s14, s24, 5
	s_ashr_i32 s15, s14, 31
	s_lshl_b64 s[38:39], s[14:15], 3
	v_mov_b32_e32 v1, s39
	v_add_co_u32_e32 v4, vcc, s38, v2
	v_addc_co_u32_e32 v5, vcc, v3, v1, vcc
	v_add_co_u32_e32 v2, vcc, 0x100, v4
	v_cndmask_b32_e64 v1, 0, 1, s[36:37]
	s_mov_b64 s[16:17], vcc
	v_cmp_ne_u32_e64 s[14:15], 1, v1
	s_andn2_b64 vcc, exec, s[36:37]
	v_addc_co_u32_e64 v1, s[16:17], 0, v5, s[16:17]
	s_barrier
	s_cbranch_vccnz .LBB42_62
; %bb.61:
	flat_load_dwordx2 v[6:7], v[4:5] offset:256
	s_lshl_b32 s16, s24, 3
	s_ashr_i32 s17, s16, 31
	v_mul_u32_u24_e32 v3, 33, v8
	s_lshl_b64 s[16:17], s[16:17], 3
	v_add_lshl_u32 v3, v3, v0, 3
	v_mov_b32_e32 v21, s17
	v_add_co_u32_e32 v4, vcc, s16, v4
	v_addc_co_u32_e32 v5, vcc, v5, v21, vcc
	s_ashr_i32 s25, s24, 31
	s_lshl_b64 s[16:17], s[24:25], 6
	v_mov_b32_e32 v21, s17
	s_waitcnt vmcnt(0) lgkmcnt(0)
	ds_write_b64 v3, v[6:7]
	flat_load_dwordx2 v[6:7], v[4:5] offset:256
	v_add_co_u32_e32 v4, vcc, s16, v4
	v_addc_co_u32_e32 v5, vcc, v5, v21, vcc
	s_waitcnt vmcnt(0) lgkmcnt(0)
	ds_write_b64 v3, v[6:7] offset:2112
	flat_load_dwordx2 v[6:7], v[4:5] offset:256
	v_add_co_u32_e32 v4, vcc, s16, v4
	v_addc_co_u32_e32 v5, vcc, v5, v21, vcc
	s_waitcnt vmcnt(0) lgkmcnt(0)
	ds_write_b64 v3, v[6:7] offset:4224
	flat_load_dwordx2 v[4:5], v[4:5] offset:256
	s_waitcnt vmcnt(0) lgkmcnt(0)
	ds_write_b64 v3, v[4:5] offset:6336
	s_cbranch_execz .LBB42_63
	s_branch .LBB42_78
.LBB42_62:
.LBB42_63:
	v_or_b32_e32 v3, 32, v0
	v_lshlrev_b32_e32 v4, 3, v3
	v_sub_co_u32_e32 v4, vcc, v2, v4
	s_ashr_i32 s27, s26, 31
	v_subbrev_co_u32_e32 v5, vcc, 0, v1, vcc
	s_lshl_b64 s[36:37], s[26:27], 3
	v_mov_b32_e32 v6, s37
	v_add_co_u32_e32 v4, vcc, s36, v4
	v_addc_co_u32_e32 v5, vcc, v5, v6, vcc
	v_add_co_u32_e32 v4, vcc, -8, v4
	v_addc_co_u32_e32 v5, vcc, -1, v5, vcc
	v_cmp_gt_i32_e64 s[16:17], s26, v3
	s_sub_i32 s25, s26, 32
	v_mov_b32_e32 v6, 0
	v_cndmask_b32_e64 v5, v5, v1, s[16:17]
	v_cndmask_b32_e64 v4, v4, v2, s[16:17]
	v_cmp_gt_i32_e32 vcc, s25, v8
	v_mov_b32_e32 v7, v6
	s_and_saveexec_b64 s[40:41], vcc
	s_cbranch_execz .LBB42_65
; %bb.64:
	flat_load_dwordx2 v[6:7], v[4:5]
.LBB42_65:
	s_or_b64 exec, exec, s[40:41]
	v_mul_u32_u24_e32 v3, 33, v8
	v_add_lshl_u32 v3, v3, v0, 3
	s_waitcnt vmcnt(0) lgkmcnt(0)
	ds_write_b64 v3, v[6:7]
	v_add_u32_e32 v6, 8, v8
	v_cmp_le_i32_e32 vcc, s25, v6
	s_and_saveexec_b64 s[40:41], vcc
	s_xor_b64 s[40:41], exec, s[40:41]
	s_cbranch_execz .LBB42_67
; %bb.66:
	v_mul_u32_u24_e32 v6, 33, v6
	v_add_lshl_u32 v21, v6, v0, 3
	v_mov_b32_e32 v6, 0
	v_mov_b32_e32 v7, v6
	ds_write_b64 v21, v[6:7]
.LBB42_67:
	s_andn2_saveexec_b64 s[40:41], s[40:41]
	s_cbranch_execz .LBB42_69
; %bb.68:
	s_lshl_b32 s44, s24, 3
	s_ashr_i32 s45, s44, 31
	s_lshl_b64 s[44:45], s[44:45], 3
	v_mov_b32_e32 v7, s45
	v_add_co_u32_e32 v6, vcc, s44, v4
	v_addc_co_u32_e32 v7, vcc, v5, v7, vcc
	flat_load_dwordx2 v[6:7], v[6:7]
	s_waitcnt vmcnt(0) lgkmcnt(0)
	ds_write_b64 v3, v[6:7] offset:2112
.LBB42_69:
	s_or_b64 exec, exec, s[40:41]
	v_add_u32_e32 v6, 16, v8
	v_cmp_le_i32_e32 vcc, s25, v6
	s_and_saveexec_b64 s[40:41], vcc
	s_xor_b64 s[40:41], exec, s[40:41]
	s_cbranch_execz .LBB42_71
; %bb.70:
	v_mul_u32_u24_e32 v6, 33, v6
	v_add_lshl_u32 v21, v6, v0, 3
	v_mov_b32_e32 v6, 0
	v_mov_b32_e32 v7, v6
	ds_write_b64 v21, v[6:7]
.LBB42_71:
	s_andn2_saveexec_b64 s[40:41], s[40:41]
	s_cbranch_execz .LBB42_73
; %bb.72:
	s_lshl_b32 s44, s24, 4
	s_ashr_i32 s45, s44, 31
	s_lshl_b64 s[44:45], s[44:45], 3
	v_mov_b32_e32 v7, s45
	v_add_co_u32_e32 v6, vcc, s44, v4
	v_addc_co_u32_e32 v7, vcc, v5, v7, vcc
	flat_load_dwordx2 v[6:7], v[6:7]
	s_waitcnt vmcnt(0) lgkmcnt(0)
	ds_write_b64 v3, v[6:7] offset:4224
.LBB42_73:
	s_or_b64 exec, exec, s[40:41]
	v_add_u32_e32 v6, 24, v8
	v_cmp_le_i32_e32 vcc, s25, v6
	s_and_saveexec_b64 s[40:41], vcc
	s_xor_b64 s[40:41], exec, s[40:41]
	s_cbranch_execz .LBB42_75
; %bb.74:
	v_mov_b32_e32 v6, 0
	v_mov_b32_e32 v7, v6
	ds_write_b64 v3, v[6:7] offset:6336
                                        ; implicit-def: $vgpr3
.LBB42_75:
	s_andn2_saveexec_b64 s[40:41], s[40:41]
	s_cbranch_execz .LBB42_77
; %bb.76:
	s_mul_i32 s44, s24, 24
	s_ashr_i32 s45, s44, 31
	s_lshl_b64 s[44:45], s[44:45], 3
	v_mov_b32_e32 v7, s45
	v_add_co_u32_e32 v6, vcc, s44, v4
	v_addc_co_u32_e32 v7, vcc, v5, v7, vcc
	flat_load_dwordx2 v[6:7], v[6:7]
	s_waitcnt vmcnt(0) lgkmcnt(0)
	ds_write_b64 v3, v[6:7] offset:6336
.LBB42_77:
	s_or_b64 exec, exec, s[40:41]
	v_lshlrev_b32_e32 v3, 3, v0
	v_add_co_u32_e32 v3, vcc, v4, v3
	v_addc_co_u32_e32 v4, vcc, 0, v5, vcc
	v_mov_b32_e32 v5, s37
	v_subrev_co_u32_e32 v3, vcc, s36, v3
	v_subb_co_u32_e32 v4, vcc, v4, v5, vcc
	v_add_co_u32_e32 v3, vcc, 0x108, v3
	v_addc_co_u32_e32 v4, vcc, 0, v4, vcc
	v_cndmask_b32_e64 v1, v4, v1, s[16:17]
	v_cndmask_b32_e64 v2, v3, v2, s[16:17]
.LBB42_78:
	v_add_u32_e32 v6, 0x2380, v20
	s_waitcnt lgkmcnt(0)
	s_barrier
	s_and_saveexec_b64 s[16:17], s[18:19]
	s_xor_b64 s[16:17], exec, s[16:17]
	s_cbranch_execnz .LBB42_91
; %bb.79:
	s_andn2_saveexec_b64 s[16:17], s[16:17]
	s_cbranch_execnz .LBB42_94
.LBB42_80:
	s_or_b64 exec, exec, s[16:17]
	s_and_saveexec_b64 s[16:17], s[8:9]
	s_xor_b64 s[8:9], exec, s[16:17]
	s_cbranch_execnz .LBB42_95
.LBB42_81:
	s_andn2_saveexec_b64 s[8:9], s[8:9]
	s_cbranch_execnz .LBB42_98
.LBB42_82:
	s_or_b64 exec, exec, s[8:9]
	s_and_saveexec_b64 s[8:9], s[10:11]
	s_xor_b64 s[8:9], exec, s[8:9]
	s_cbranch_execnz .LBB42_99
.LBB42_83:
	s_andn2_saveexec_b64 s[8:9], s[8:9]
	s_cbranch_execnz .LBB42_102
.LBB42_84:
	s_or_b64 exec, exec, s[8:9]
	s_and_saveexec_b64 s[8:9], s[12:13]
	s_xor_b64 s[8:9], exec, s[8:9]
	s_cbranch_execnz .LBB42_103
.LBB42_85:
	s_andn2_saveexec_b64 s[8:9], s[8:9]
	s_cbranch_execz .LBB42_87
.LBB42_86:
	ds_read_b64 v[4:5], v14 offset:528
	s_waitcnt lgkmcnt(0)
	v_xor_b32_e32 v5, 0x80000000, v5
	ds_write_b64 v12, v[4:5] offset:24
.LBB42_87:
	s_or_b64 exec, exec, s[8:9]
	s_waitcnt lgkmcnt(0)
	s_barrier
	ds_read_b64 v[4:5], v15
	ds_read_b128 v[30:33], v6 offset:256
	ds_read2_b64 v[34:37], v14 offset1:33
	ds_read_b64 v[10:11], v14 offset:528
	ds_read_b128 v[38:41], v6 offset:272
	v_cmp_eq_u32_e64 s[10:11], 1, v8
	s_waitcnt lgkmcnt(3)
	v_pk_mul_f32 v[14:15], v[30:31], v[4:5] op_sel:[0,1]
	v_pk_fma_f32 v[20:21], v[30:31], v[4:5], v[14:15] op_sel:[0,0,1] op_sel_hi:[1,1,0] neg_lo:[0,0,1] neg_hi:[0,0,1]
	v_pk_fma_f32 v[4:5], v[30:31], v[4:5], v[14:15] op_sel:[0,0,1] op_sel_hi:[1,0,0]
	v_mov_b32_e32 v21, v5
	s_waitcnt lgkmcnt(2)
	v_pk_mul_f32 v[14:15], v[32:33], v[34:35] op_sel:[0,1]
	v_pk_add_f32 v[4:5], v[20:21], 0 op_sel_hi:[1,0]
	v_pk_fma_f32 v[20:21], v[32:33], v[34:35], v[14:15] op_sel:[0,0,1] op_sel_hi:[1,1,0] neg_lo:[0,0,1] neg_hi:[0,0,1]
	v_pk_fma_f32 v[14:15], v[32:33], v[34:35], v[14:15] op_sel:[0,0,1] op_sel_hi:[1,0,0]
	v_mov_b32_e32 v21, v15
	s_waitcnt lgkmcnt(0)
	v_pk_mul_f32 v[14:15], v[38:39], v[36:37] op_sel:[0,1]
	v_pk_add_f32 v[4:5], v[4:5], v[20:21]
	v_pk_fma_f32 v[20:21], v[38:39], v[36:37], v[14:15] op_sel:[0,0,1] op_sel_hi:[1,1,0] neg_lo:[0,0,1] neg_hi:[0,0,1]
	v_pk_fma_f32 v[14:15], v[38:39], v[36:37], v[14:15] op_sel:[0,0,1] op_sel_hi:[1,0,0]
	v_mov_b32_e32 v21, v15
	v_pk_mul_f32 v[14:15], v[40:41], v[10:11] op_sel:[0,1]
	v_pk_add_f32 v[4:5], v[4:5], v[20:21]
	v_pk_fma_f32 v[20:21], v[40:41], v[10:11], v[14:15] op_sel:[0,0,1] op_sel_hi:[1,1,0] neg_lo:[0,0,1] neg_hi:[0,0,1]
	v_pk_fma_f32 v[10:11], v[40:41], v[10:11], v[14:15] op_sel:[0,0,1] op_sel_hi:[1,0,0]
	v_mov_b32_e32 v21, v11
	v_pk_add_f32 v[4:5], v[4:5], v[20:21]
	s_barrier
	ds_write_b64 v29, v[4:5]
	s_waitcnt lgkmcnt(0)
	s_barrier
	s_and_saveexec_b64 s[8:9], s[10:11]
	s_cbranch_execz .LBB42_89
; %bb.88:
	v_lshlrev_b32_e32 v3, 3, v28
	ds_read2_b64 v[30:33], v3 offset1:7
	ds_read2_b64 v[34:37], v3 offset0:1 offset1:2
	ds_read2_b64 v[38:41], v3 offset0:3 offset1:4
	s_waitcnt lgkmcnt(1)
	v_add_f32_e32 v4, v34, v30
	v_add_f32_e32 v5, v35, v31
	;; [unrolled: 1-line block ×4, first 2 shown]
	ds_read2_b64 v[34:37], v3 offset0:5 offset1:6
	s_waitcnt lgkmcnt(1)
	v_add_f32_e32 v3, v4, v38
	v_add_f32_e32 v4, v5, v39
	;; [unrolled: 1-line block ×4, first 2 shown]
	s_waitcnt lgkmcnt(0)
	v_add_f32_e32 v4, v3, v34
	v_add_f32_e32 v5, v5, v35
	v_pk_add_f32 v[4:5], v[4:5], v[36:37]
	v_pk_add_f32 v[26:27], v[4:5], v[32:33]
.LBB42_89:
	s_or_b64 exec, exec, s[8:9]
	v_mov_b32_e32 v3, s39
	v_subrev_co_u32_e64 v20, s[8:9], s38, v2
	s_and_b64 vcc, exec, s[14:15]
	v_subb_co_u32_e64 v21, s[8:9], v1, v3, s[8:9]
	s_barrier
	s_cbranch_vccnz .LBB42_106
; %bb.90:
	flat_load_dwordx2 v[2:3], v[20:21]
	s_lshl_b32 s8, s24, 3
	s_ashr_i32 s9, s8, 31
	v_mad_u32_u24 v1, v8, 33, v0
	s_lshl_b64 s[8:9], s[8:9], 3
	v_lshlrev_b32_e32 v13, 3, v1
	v_mov_b32_e32 v5, s9
	v_add_co_u32_e32 v4, vcc, s8, v20
	v_addc_co_u32_e32 v5, vcc, v21, v5, vcc
	s_ashr_i32 s25, s24, 31
	s_lshl_b64 s[8:9], s[24:25], 6
	v_mov_b32_e32 v7, s9
	v_add_u32_e32 v9, 0x318, v1
	s_waitcnt vmcnt(0) lgkmcnt(0)
	ds_write_b64 v13, v[2:3]
	flat_load_dwordx2 v[2:3], v[4:5]
	v_add_co_u32_e32 v4, vcc, s8, v4
	v_addc_co_u32_e32 v5, vcc, v5, v7, vcc
	s_waitcnt vmcnt(0) lgkmcnt(0)
	ds_write_b64 v13, v[2:3] offset:2112
	flat_load_dwordx2 v[2:3], v[4:5]
	v_add_co_u32_e32 v4, vcc, s8, v4
	v_addc_co_u32_e32 v5, vcc, v5, v7, vcc
	v_add_u32_e32 v7, 24, v8
	s_waitcnt vmcnt(0) lgkmcnt(0)
	ds_write_b64 v13, v[2:3] offset:4224
	flat_load_dwordx2 v[10:11], v[4:5]
	v_add_u32_e32 v4, 8, v8
	v_add_u32_e32 v5, 16, v8
	;; [unrolled: 1-line block ×4, first 2 shown]
	s_waitcnt vmcnt(0) lgkmcnt(0)
	ds_write_b64 v13, v[10:11] offset:6336
	s_cbranch_execz .LBB42_107
	s_branch .LBB42_122
.LBB42_91:
	v_cmp_eq_u32_e32 vcc, v9, v0
	s_and_saveexec_b64 s[18:19], vcc
	s_cbranch_execz .LBB42_93
; %bb.92:
	v_mul_u32_u24_e32 v3, 34, v0
	v_lshlrev_b32_e32 v3, 3, v3
	v_mov_b32_e32 v4, 0
	ds_write_b32 v3, v4 offset:4
.LBB42_93:
	s_or_b64 exec, exec, s[18:19]
	s_andn2_saveexec_b64 s[16:17], s[16:17]
	s_cbranch_execz .LBB42_80
.LBB42_94:
	ds_read_b64 v[4:5], v15
	s_waitcnt lgkmcnt(0)
	v_xor_b32_e32 v5, 0x80000000, v5
	ds_write_b64 v12, v[4:5]
	s_or_b64 exec, exec, s[16:17]
	s_and_saveexec_b64 s[16:17], s[8:9]
	s_xor_b64 s[8:9], exec, s[16:17]
	s_cbranch_execz .LBB42_81
.LBB42_95:
	v_cmp_eq_u32_e32 vcc, v10, v0
	s_and_saveexec_b64 s[16:17], vcc
	s_cbranch_execz .LBB42_97
; %bb.96:
	v_mul_u32_u24_e32 v3, 34, v0
	v_lshlrev_b32_e32 v3, 3, v3
	v_mov_b32_e32 v4, 0
	ds_write_b32 v3, v4 offset:4
.LBB42_97:
	s_or_b64 exec, exec, s[16:17]
	s_andn2_saveexec_b64 s[8:9], s[8:9]
	s_cbranch_execz .LBB42_82
.LBB42_98:
	ds_read_b64 v[4:5], v14
	s_waitcnt lgkmcnt(0)
	v_xor_b32_e32 v5, 0x80000000, v5
	ds_write_b64 v12, v[4:5] offset:8
	s_or_b64 exec, exec, s[8:9]
	s_and_saveexec_b64 s[8:9], s[10:11]
	s_xor_b64 s[8:9], exec, s[8:9]
	s_cbranch_execz .LBB42_83
.LBB42_99:
	v_cmp_eq_u32_e32 vcc, v11, v0
	s_and_saveexec_b64 s[10:11], vcc
	s_cbranch_execz .LBB42_101
; %bb.100:
	v_mul_u32_u24_e32 v3, 34, v0
	v_lshlrev_b32_e32 v3, 3, v3
	v_mov_b32_e32 v4, 0
	ds_write_b32 v3, v4 offset:4
.LBB42_101:
	s_or_b64 exec, exec, s[10:11]
	s_andn2_saveexec_b64 s[8:9], s[8:9]
	s_cbranch_execz .LBB42_84
.LBB42_102:
	ds_read_b64 v[4:5], v14 offset:264
	s_waitcnt lgkmcnt(0)
	v_xor_b32_e32 v5, 0x80000000, v5
	ds_write_b64 v12, v[4:5] offset:16
	s_or_b64 exec, exec, s[8:9]
	s_and_saveexec_b64 s[8:9], s[12:13]
	s_xor_b64 s[8:9], exec, s[8:9]
	s_cbranch_execz .LBB42_85
.LBB42_103:
	v_cmp_eq_u32_e32 vcc, v13, v0
	s_and_saveexec_b64 s[10:11], vcc
	s_cbranch_execz .LBB42_105
; %bb.104:
	v_mul_u32_u24_e32 v3, 34, v0
	v_lshlrev_b32_e32 v3, 3, v3
	v_mov_b32_e32 v4, 0
	ds_write_b32 v3, v4 offset:4
.LBB42_105:
	s_or_b64 exec, exec, s[10:11]
	s_andn2_saveexec_b64 s[8:9], s[8:9]
	s_cbranch_execnz .LBB42_86
	s_branch .LBB42_87
.LBB42_106:
                                        ; implicit-def: $vgpr1
                                        ; implicit-def: $vgpr4
                                        ; implicit-def: $vgpr2
                                        ; implicit-def: $vgpr5
                                        ; implicit-def: $vgpr3
                                        ; implicit-def: $vgpr7
                                        ; implicit-def: $vgpr9
.LBB42_107:
	v_or_b32_e32 v1, 32, v0
	v_lshlrev_b32_e32 v2, 3, v1
	v_sub_co_u32_e32 v2, vcc, v20, v2
	s_ashr_i32 s27, s26, 31
	v_subbrev_co_u32_e32 v3, vcc, 0, v21, vcc
	s_lshl_b64 s[12:13], s[26:27], 3
	v_mov_b32_e32 v4, s13
	v_add_co_u32_e32 v2, vcc, s12, v2
	v_addc_co_u32_e32 v3, vcc, v3, v4, vcc
	v_add_co_u32_e32 v2, vcc, -8, v2
	v_addc_co_u32_e32 v3, vcc, -1, v3, vcc
	v_cmp_gt_i32_e64 s[8:9], s26, v1
	v_mov_b32_e32 v4, 0
	v_cndmask_b32_e64 v3, v3, v21, s[8:9]
	v_cndmask_b32_e64 v2, v2, v20, s[8:9]
	v_cmp_gt_i32_e32 vcc, s26, v8
	v_mov_b32_e32 v5, v4
	s_and_saveexec_b64 s[14:15], vcc
	s_cbranch_execz .LBB42_109
; %bb.108:
	flat_load_dwordx2 v[4:5], v[2:3]
.LBB42_109:
	s_or_b64 exec, exec, s[14:15]
	v_mad_u32_u24 v1, v8, 33, v0
	v_lshlrev_b32_e32 v10, 3, v1
	s_waitcnt vmcnt(0) lgkmcnt(0)
	ds_write_b64 v10, v[4:5]
	v_add_u32_e32 v4, 8, v8
	v_cmp_le_i32_e32 vcc, s26, v4
	s_and_saveexec_b64 s[14:15], vcc
	s_xor_b64 s[14:15], exec, s[14:15]
	s_cbranch_execz .LBB42_111
; %bb.110:
	v_mul_u32_u24_e32 v5, 33, v4
	v_mov_b32_e32 v14, 0
	v_add_lshl_u32 v5, v5, v0, 3
	v_mov_b32_e32 v15, v14
	ds_write_b64 v5, v[14:15]
.LBB42_111:
	s_andn2_saveexec_b64 s[14:15], s[14:15]
	s_cbranch_execz .LBB42_113
; %bb.112:
	s_lshl_b32 s16, s24, 3
	s_ashr_i32 s17, s16, 31
	s_lshl_b64 s[16:17], s[16:17], 3
	v_mov_b32_e32 v5, s17
	v_add_co_u32_e32 v14, vcc, s16, v2
	v_addc_co_u32_e32 v15, vcc, v3, v5, vcc
	flat_load_dwordx2 v[14:15], v[14:15]
	s_waitcnt vmcnt(0) lgkmcnt(0)
	ds_write_b64 v10, v[14:15] offset:2112
.LBB42_113:
	s_or_b64 exec, exec, s[14:15]
	v_add_u32_e32 v5, 16, v8
	v_cmp_le_i32_e32 vcc, s26, v5
	s_and_saveexec_b64 s[14:15], vcc
	s_xor_b64 s[14:15], exec, s[14:15]
	s_cbranch_execz .LBB42_115
; %bb.114:
	v_mul_u32_u24_e32 v7, 33, v5
	v_mov_b32_e32 v14, 0
	v_add_lshl_u32 v7, v7, v0, 3
	v_mov_b32_e32 v15, v14
	ds_write_b64 v7, v[14:15]
.LBB42_115:
	s_andn2_saveexec_b64 s[14:15], s[14:15]
	s_cbranch_execz .LBB42_117
; %bb.116:
	s_lshl_b32 s16, s24, 4
	s_ashr_i32 s17, s16, 31
	s_lshl_b64 s[16:17], s[16:17], 3
	v_mov_b32_e32 v7, s17
	v_add_co_u32_e32 v14, vcc, s16, v2
	v_addc_co_u32_e32 v15, vcc, v3, v7, vcc
	flat_load_dwordx2 v[14:15], v[14:15]
	s_waitcnt vmcnt(0) lgkmcnt(0)
	ds_write_b64 v10, v[14:15] offset:4224
.LBB42_117:
	s_or_b64 exec, exec, s[14:15]
	v_add_u32_e32 v7, 24, v8
	v_cmp_le_i32_e32 vcc, s26, v7
                                        ; implicit-def: $vgpr9
	s_and_saveexec_b64 s[14:15], vcc
	s_xor_b64 s[14:15], exec, s[14:15]
	s_cbranch_execz .LBB42_119
; %bb.118:
	v_mad_u32_u24 v9, v7, 33, v0
	v_mov_b32_e32 v10, 0
	v_lshlrev_b32_e32 v13, 3, v9
	v_mov_b32_e32 v11, v10
	ds_write_b64 v13, v[10:11]
                                        ; implicit-def: $vgpr10
.LBB42_119:
	s_andn2_saveexec_b64 s[14:15], s[14:15]
	s_cbranch_execz .LBB42_121
; %bb.120:
	s_mul_i32 s16, s24, 24
	s_ashr_i32 s17, s16, 31
	s_lshl_b64 s[16:17], s[16:17], 3
	v_mov_b32_e32 v9, s17
	v_add_co_u32_e32 v14, vcc, s16, v2
	v_addc_co_u32_e32 v15, vcc, v3, v9, vcc
	flat_load_dwordx2 v[14:15], v[14:15]
	v_add_u32_e32 v9, 0x318, v1
	s_waitcnt vmcnt(0) lgkmcnt(0)
	ds_write_b64 v10, v[14:15] offset:6336
.LBB42_121:
	s_or_b64 exec, exec, s[14:15]
	v_lshlrev_b32_e32 v0, 3, v0
	v_add_co_u32_e32 v0, vcc, v2, v0
	v_addc_co_u32_e32 v2, vcc, 0, v3, vcc
	v_mov_b32_e32 v3, s13
	v_subrev_co_u32_e32 v0, vcc, s12, v0
	v_subb_co_u32_e32 v2, vcc, v2, v3, vcc
	v_add_co_u32_e32 v0, vcc, 0x108, v0
	v_addc_co_u32_e32 v2, vcc, 0, v2, vcc
	v_cndmask_b32_e64 v21, v2, v21, s[8:9]
	v_cndmask_b32_e64 v20, v0, v20, s[8:9]
	v_add_u32_e32 v2, 0x108, v1
	v_add_u32_e32 v3, 0x210, v1
.LBB42_122:
	v_lshlrev_b32_e32 v0, 3, v1
	s_waitcnt lgkmcnt(0)
	s_barrier
	ds_read_b64 v[30:31], v0
	v_lshlrev_b32_e32 v13, 3, v8
	v_lshlrev_b32_e32 v14, 3, v2
	;; [unrolled: 1-line block ×7, first 2 shown]
	ds_read_b64 v[32:33], v0
	ds_read2_b64 v[8:11], v12 offset1:1
	ds_read2_b64 v[0:3], v12 offset0:2 offset1:3
	ds_read_b64 v[34:35], v4 offset:9088
	ds_read_b64 v[36:37], v14
	ds_read_b64 v[38:39], v13 offset:9088
	ds_read_b128 v[12:15], v6 offset:256
	ds_read_b128 v[4:7], v6 offset:272
	ds_read_b64 v[40:41], v40 offset:9088
	ds_read_b64 v[42:43], v42
	ds_read_b64 v[44:45], v44 offset:9088
	s_waitcnt lgkmcnt(5)
	v_pk_mul_f32 v[46:47], v[38:39], v[30:31] op_sel:[0,1]
	v_pk_fma_f32 v[48:49], v[38:39], v[30:31], v[46:47] op_sel:[0,0,1] op_sel_hi:[1,1,0] neg_lo:[0,0,1] neg_hi:[0,0,1]
	v_pk_fma_f32 v[30:31], v[38:39], v[30:31], v[46:47] op_sel:[0,0,1] op_sel_hi:[1,0,0]
	v_pk_mul_f32 v[38:39], v[34:35], v[36:37] op_sel:[0,1]
	v_pk_fma_f32 v[46:47], v[34:35], v[36:37], v[38:39] op_sel:[0,0,1] op_sel_hi:[1,1,0] neg_lo:[0,0,1] neg_hi:[0,0,1]
	v_pk_fma_f32 v[34:35], v[34:35], v[36:37], v[38:39] op_sel:[0,0,1] op_sel_hi:[1,0,0]
	v_mov_b32_e32 v47, v35
	s_waitcnt lgkmcnt(0)
	v_pk_mul_f32 v[34:35], v[44:45], v[32:33] op_sel:[0,1]
	v_mov_b32_e32 v49, v31
	v_pk_fma_f32 v[36:37], v[44:45], v[32:33], v[34:35] op_sel:[0,0,1] op_sel_hi:[1,1,0] neg_lo:[0,0,1] neg_hi:[0,0,1]
	v_pk_fma_f32 v[32:33], v[44:45], v[32:33], v[34:35] op_sel:[0,0,1] op_sel_hi:[1,0,0]
	v_pk_add_f32 v[30:31], v[48:49], 0 op_sel_hi:[1,0]
	v_mov_b32_e32 v37, v33
	v_pk_mul_f32 v[32:33], v[40:41], v[42:43] op_sel:[0,1]
	v_pk_add_f32 v[30:31], v[30:31], v[46:47]
	v_pk_fma_f32 v[34:35], v[40:41], v[42:43], v[32:33] op_sel:[0,0,1] op_sel_hi:[1,1,0] neg_lo:[0,0,1] neg_hi:[0,0,1]
	v_pk_fma_f32 v[32:33], v[40:41], v[42:43], v[32:33] op_sel:[0,0,1] op_sel_hi:[1,0,0]
	v_pk_add_f32 v[30:31], v[30:31], v[36:37]
	v_mov_b32_e32 v35, v33
	v_pk_add_f32 v[30:31], v[30:31], v[34:35]
	s_barrier
	ds_write_b64 v29, v[30:31]
	s_waitcnt lgkmcnt(0)
	s_barrier
	s_and_saveexec_b64 s[8:9], s[10:11]
	s_cbranch_execz .LBB42_124
; %bb.123:
	v_lshlrev_b32_e32 v42, 3, v28
	ds_read2_b64 v[30:33], v42 offset1:1
	ds_read2_b64 v[34:37], v42 offset0:2 offset1:3
	ds_read2_b64 v[38:41], v42 offset0:4 offset1:5
	s_waitcnt lgkmcnt(2)
	v_pk_add_f32 v[26:27], v[26:27], v[30:31]
	v_pk_add_f32 v[26:27], v[26:27], v[32:33]
	ds_read2_b64 v[30:33], v42 offset0:6 offset1:7
	s_waitcnt lgkmcnt(2)
	v_pk_add_f32 v[26:27], v[26:27], v[34:35]
	v_pk_add_f32 v[26:27], v[26:27], v[36:37]
	s_waitcnt lgkmcnt(1)
	v_pk_add_f32 v[26:27], v[26:27], v[38:39]
	v_pk_add_f32 v[26:27], v[26:27], v[40:41]
	;; [unrolled: 3-line block ×3, first 2 shown]
.LBB42_124:
	s_or_b64 exec, exec, s[8:9]
	v_pk_mul_f32 v[30:31], v[8:9], v[12:13] op_sel:[1,0]
	v_pk_fma_f32 v[32:33], v[8:9], v[12:13], v[30:31] op_sel:[0,0,1] op_sel_hi:[1,1,0]
	v_pk_fma_f32 v[8:9], v[8:9], v[12:13], v[30:31] op_sel:[0,0,1] op_sel_hi:[0,1,0] neg_lo:[0,0,1] neg_hi:[0,0,1]
	v_mov_b32_e32 v12, v11
	v_pk_mul_f32 v[12:13], v[12:13], v[14:15] op_sel_hi:[0,1]
	v_pk_fma_f32 v[30:31], v[10:11], v[14:15], v[12:13] op_sel:[0,0,1] op_sel_hi:[1,1,0]
	v_pk_fma_f32 v[10:11], v[10:11], v[14:15], v[12:13] op_sel:[0,0,1] op_sel_hi:[0,1,0] neg_lo:[0,0,1] neg_hi:[0,0,1]
	v_mov_b32_e32 v33, v9
	v_mov_b32_e32 v31, v11
	v_pk_mul_f32 v[10:11], v[0:1], v[4:5] op_sel:[1,0]
	v_pk_add_f32 v[8:9], v[32:33], 0 op_sel_hi:[1,0]
	v_pk_fma_f32 v[12:13], v[0:1], v[4:5], v[10:11] op_sel:[0,0,1] op_sel_hi:[1,1,0]
	v_pk_fma_f32 v[0:1], v[0:1], v[4:5], v[10:11] op_sel:[0,0,1] op_sel_hi:[0,1,0] neg_lo:[0,0,1] neg_hi:[0,0,1]
	v_mov_b32_e32 v4, v3
	v_pk_add_f32 v[8:9], v[8:9], v[30:31]
	v_mov_b32_e32 v13, v1
	v_pk_mul_f32 v[4:5], v[4:5], v[6:7] op_sel_hi:[0,1]
	v_pk_add_f32 v[0:1], v[8:9], v[12:13]
	v_pk_fma_f32 v[8:9], v[2:3], v[6:7], v[4:5] op_sel:[0,0,1] op_sel_hi:[1,1,0]
	v_pk_fma_f32 v[2:3], v[2:3], v[6:7], v[4:5] op_sel:[0,0,1] op_sel_hi:[0,1,0] neg_lo:[0,0,1] neg_hi:[0,0,1]
	v_mov_b32_e32 v9, v3
	v_pk_add_f32 v[0:1], v[0:1], v[8:9]
	s_barrier
	ds_write_b64 v29, v[0:1]
	s_waitcnt lgkmcnt(0)
	s_barrier
	s_and_saveexec_b64 s[8:9], s[4:5]
	s_cbranch_execz .LBB42_126
; %bb.125:
	v_lshlrev_b32_e32 v14, 3, v28
	ds_read2_b64 v[0:3], v14 offset1:1
	ds_read2_b64 v[4:7], v14 offset0:2 offset1:3
	ds_read2_b64 v[8:11], v14 offset0:4 offset1:5
	s_waitcnt lgkmcnt(2)
	v_pk_add_f32 v[0:1], v[26:27], v[0:1]
	v_pk_add_f32 v[12:13], v[0:1], v[2:3]
	ds_read2_b64 v[0:3], v14 offset0:6 offset1:7
	s_waitcnt lgkmcnt(2)
	v_pk_add_f32 v[4:5], v[12:13], v[4:5]
	v_pk_add_f32 v[4:5], v[4:5], v[6:7]
	s_waitcnt lgkmcnt(1)
	v_pk_add_f32 v[4:5], v[4:5], v[8:9]
	v_pk_add_f32 v[4:5], v[4:5], v[10:11]
	;; [unrolled: 3-line block ×3, first 2 shown]
.LBB42_126:
	s_or_b64 exec, exec, s[8:9]
	s_mul_hi_u32 s4, s21, s20
	s_mul_i32 s42, s42, s20
	s_add_i32 s4, s4, s42
	s_mul_i32 s8, s21, s20
	s_mul_i32 s4, s4, s33
	s_mul_hi_u32 s5, s8, s33
	s_add_i32 s5, s5, s4
	s_mul_i32 s4, s8, s33
	s_lshl_b64 s[4:5], s[4:5], 3
	s_add_u32 s8, s22, s4
	s_mul_i32 s4, s6, s21
	s_addc_u32 s9, s23, s5
	s_ashr_i32 s5, s4, 31
	s_lshl_b64 s[4:5], s[4:5], 3
	s_add_u32 s29, s8, s4
	v_cmp_le_i32_e32 vcc, s26, v22
	s_addc_u32 s33, s9, s5
	s_and_b64 vcc, s[34:35], vcc
	s_cmp_lt_i32 s6, 1
	v_lshlrev_b32_e32 v72, 3, v22
	s_barrier
	s_cbranch_scc1 .LBB42_133
; %bb.127:
	s_mul_i32 s4, s28, s7
	s_ashr_i32 s5, s4, 31
	s_lshl_b64 s[4:5], s[4:5], 3
	v_mov_b32_e32 v0, s5
	v_subrev_co_u32_e64 v73, s[4:5], s4, v16
	v_subb_co_u32_e64 v74, s[4:5], v17, v0, s[4:5]
	v_mov_b32_e32 v0, s31
	v_subrev_co_u32_e64 v1, s[4:5], s30, v20
	v_subb_co_u32_e64 v0, s[4:5], v21, v0, s[4:5]
	v_sub_co_u32_e64 v4, s[4:5], v1, v18
	v_subb_co_u32_e64 v5, s[4:5], v0, v19, s[4:5]
	v_mul_lo_u32 v0, v25, s24
	v_lshl_add_u32 v0, v0, 2, v22
	v_ashrrev_i32_e32 v1, 31, v0
	v_lshlrev_b64 v[0:1], 3, v[0:1]
	v_add_co_u32_e64 v0, s[4:5], v4, v0
	v_addc_co_u32_e64 v1, s[4:5], v5, v1, s[4:5]
	s_movk_i32 s4, 0xff00
	v_add_co_u32_e64 v0, s[4:5], s4, v0
	v_addc_co_u32_e64 v1, s[4:5], -1, v1, s[4:5]
	v_sub_co_u32_e64 v4, s[4:5], v0, v72
	v_subbrev_co_u32_e64 v5, s[4:5], 0, v1, s[4:5]
	s_ashr_i32 s27, s26, 31
	s_lshl_b64 s[4:5], s[26:27], 3
	v_mov_b32_e32 v6, s5
	v_add_co_u32_e64 v4, s[4:5], s4, v4
	v_addc_co_u32_e64 v5, s[4:5], v5, v6, s[4:5]
	v_add_co_u32_e64 v4, s[4:5], -8, v4
	v_addc_co_u32_e64 v5, s[4:5], -1, v5, s[4:5]
	v_cndmask_b32_e32 v30, v0, v4, vcc
	v_and_b32_e32 v0, 48, v22
	v_and_b32_e32 v2, 15, v22
	v_cndmask_b32_e32 v31, v1, v5, vcc
	v_lshlrev_b32_e32 v1, 3, v0
	s_movk_i32 s8, 0x218
	v_lshrrev_b32_e32 v3, 4, v23
	v_mad_u32_u24 v77, v2, s8, v1
	v_or_b32_e32 v1, 0x78, v72
	v_mad_u32_u24 v78, v2, s8, v1
	v_lshlrev_b32_e32 v1, 5, v3
	v_mad_u32_u24 v79, v2, s8, v1
	v_mov_b32_e32 v1, 0x2180
	s_ashr_i32 s25, s24, 31
	v_lshl_add_u32 v80, v25, 5, v1
	s_movk_i32 s9, 0x860
	v_lshlrev_b32_e32 v1, 3, v3
	v_mad_u32_u24 v81, v25, s9, v72
	v_mad_u32_u24 v82, v2, s8, v1
	s_lshl_b64 s[10:11], s[24:25], 3
	s_lshl_b64 s[14:15], s[24:25], 4
	s_mul_hi_i32 s8, s24, 24
	s_mul_hi_i32 s9, s24, 0x90
	;; [unrolled: 1-line block ×10, first 2 shown]
	s_lshl_b64 s[16:17], s[24:25], 8
	s_mul_hi_i32 s45, s24, 0x88
	s_lshl_b64 s[18:19], s[24:25], 7
	v_mov_b32_e32 v29, 0
	s_lshl_b32 s7, s7, 6
	v_add_u32_e32 v75, 0x2180, v72
	v_add_u32_e32 v76, 0x2380, v72
	v_cmp_gt_u32_e64 s[4:5], 64, v23
	s_lshl_b64 s[12:13], s[24:25], 9
	s_mul_i32 s26, s24, 24
	s_mul_i32 s27, s24, 0x90
	;; [unrolled: 1-line block ×11, first 2 shown]
	v_or_b32_e32 v28, v0, v2
	s_mov_b32 s20, 0
	v_mov_b32_e32 v83, s11
	v_mov_b32_e32 v84, s15
	;; [unrolled: 1-line block ×15, first 2 shown]
	s_branch .LBB42_129
.LBB42_128:                             ;   in Loop: Header=BB42_129 Depth=1
	s_or_b64 exec, exec, s[22:23]
	v_mul_f32_e32 v98, v32, v0
	v_fma_f32 v98, -v33, v1, v98
	v_pk_mul_f32 v[0:1], v[32:33], v[0:1] op_sel:[1,0] op_sel_hi:[0,1]
	v_add_f32_e32 v0, v0, v1
	v_add_f32_e32 v27, v27, v0
	v_mul_f32_e32 v0, v34, v2
	v_add_f32_e32 v26, v26, v98
	v_fma_f32 v0, -v35, v3, v0
	v_add_f32_e32 v26, v26, v0
	v_pk_mul_f32 v[0:1], v[34:35], v[2:3] op_sel:[1,0] op_sel_hi:[0,1]
	v_add_f32_e32 v0, v0, v1
	v_add_f32_e32 v2, v27, v0
	v_mul_f32_e32 v0, v36, v40
	v_fma_f32 v0, -v37, v41, v0
	v_add_f32_e32 v3, v26, v0
	v_pk_mul_f32 v[0:1], v[36:37], v[40:41] op_sel:[1,0] op_sel_hi:[0,1]
	v_add_f32_e32 v0, v0, v1
	v_add_f32_e32 v2, v2, v0
	v_mul_f32_e32 v0, v38, v48
	;; [unrolled: 6-line block ×4, first 2 shown]
	v_fma_f32 v0, -v47, v7, v0
	v_add_f32_e32 v0, v3, v0
	v_pk_mul_f32 v[2:3], v[46:47], v[6:7] op_sel:[1,0] op_sel_hi:[0,1]
	v_add_f32_e32 v2, v2, v3
	v_add_f32_e32 v1, v1, v2
	v_mov_b32_e32 v2, v59
	v_pk_mul_f32 v[2:3], v[42:43], v[2:3] op_sel:[1,0] op_sel_hi:[0,1]
	v_pk_fma_f32 v[2:3], v[42:43], v[58:59], v[2:3] neg_lo:[0,0,1] neg_hi:[0,0,1]
	v_pk_mul_f32 v[4:5], v[42:43], v[58:59] op_sel:[1,0] op_sel_hi:[0,1]
	v_mov_b32_e32 v3, v4
	v_pk_fma_f32 v[4:5], v[42:43], v[58:59], v[2:3] op_sel:[1,0,0] op_sel_hi:[0,1,1]
	v_pk_mul_f32 v[26:27], v[44:45], v[62:63] op_sel:[1,0] op_sel_hi:[0,1]
	v_mov_b32_e32 v4, v63
	v_mov_b32_e32 v3, v26
	v_pk_mul_f32 v[6:7], v[44:45], v[4:5] op_sel:[1,0] op_sel_hi:[0,1]
	v_pk_fma_f32 v[26:27], v[44:45], v[62:63], v[2:3] op_sel:[1,0,0] op_sel_hi:[0,1,1]
	v_mov_b32_e32 v3, v5
	v_pk_fma_f32 v[6:7], v[44:45], v[62:63], v[6:7] neg_lo:[0,0,1] neg_hi:[0,0,1]
	v_pk_add_f32 v[0:1], v[0:1], v[2:3]
	v_pk_mul_f32 v[2:3], v[60:61], v[12:13] op_sel:[1,1] op_sel_hi:[0,1]
	v_mov_b32_e32 v4, v15
	v_mov_b32_e32 v7, v27
	v_pk_mul_f32 v[4:5], v[56:57], v[4:5] op_sel_hi:[1,0]
	v_pk_fma_f32 v[32:33], v[60:61], v[12:13], v[2:3] neg_lo:[0,0,1] neg_hi:[0,0,1]
	v_pk_fma_f32 v[2:3], v[60:61], v[12:13], v[2:3] op_sel_hi:[1,0,1]
	v_pk_add_f32 v[0:1], v[0:1], v[6:7]
	v_mov_b32_e32 v33, v3
	v_pk_fma_f32 v[2:3], v[56:57], v[14:15], v[4:5] op_sel:[0,0,1] op_sel_hi:[1,1,0] neg_lo:[0,0,1] neg_hi:[0,0,1]
	v_pk_fma_f32 v[4:5], v[56:57], v[14:15], v[4:5] op_sel:[0,0,1] op_sel_hi:[1,0,0]
	v_pk_mul_f32 v[6:7], v[54:55], v[8:9] op_sel:[0,1]
	v_pk_add_f32 v[0:1], v[0:1], v[32:33]
	v_mov_b32_e32 v3, v5
	v_mov_b32_e32 v26, v11
	v_pk_add_f32 v[0:1], v[0:1], v[2:3]
	v_pk_fma_f32 v[2:3], v[54:55], v[8:9], v[6:7] op_sel:[0,0,1] op_sel_hi:[1,1,0] neg_lo:[0,0,1] neg_hi:[0,0,1]
	v_pk_fma_f32 v[4:5], v[54:55], v[8:9], v[6:7] op_sel:[0,0,1] op_sel_hi:[1,0,0]
	v_pk_mul_f32 v[26:27], v[52:53], v[26:27] op_sel_hi:[1,0]
	v_mov_b32_e32 v3, v5
	v_pk_add_f32 v[0:1], v[0:1], v[2:3]
	v_pk_fma_f32 v[2:3], v[52:53], v[10:11], v[26:27] op_sel:[0,0,1] op_sel_hi:[1,1,0] neg_lo:[0,0,1] neg_hi:[0,0,1]
	v_pk_fma_f32 v[4:5], v[52:53], v[10:11], v[26:27] op_sel:[0,0,1] op_sel_hi:[1,0,0]
	v_mov_b32_e32 v3, v5
	v_pk_add_f32 v[0:1], v[0:1], v[2:3]
	v_pk_mul_f32 v[2:3], v[70:71], v[16:17] op_sel:[0,1]
	v_pk_mul_f32 v[4:5], v[68:69], v[22:23] op_sel:[0,1]
	v_pk_fma_f32 v[10:11], v[70:71], v[16:17], v[2:3] op_sel:[0,0,1] op_sel_hi:[1,1,0] neg_lo:[0,0,1] neg_hi:[0,0,1]
	v_pk_fma_f32 v[2:3], v[70:71], v[16:17], v[2:3] op_sel:[0,0,1] op_sel_hi:[1,0,0]
	v_pk_mul_f32 v[6:7], v[64:65], v[20:21] op_sel:[0,1]
	v_mov_b32_e32 v11, v3
	v_pk_fma_f32 v[2:3], v[68:69], v[22:23], v[4:5] op_sel:[0,0,1] op_sel_hi:[1,1,0] neg_lo:[0,0,1] neg_hi:[0,0,1]
	v_pk_fma_f32 v[4:5], v[68:69], v[22:23], v[4:5] op_sel:[0,0,1] op_sel_hi:[1,0,0]
	v_pk_mul_f32 v[8:9], v[66:67], v[18:19] op_sel:[0,1]
	v_mov_b32_e32 v3, v5
	v_pk_fma_f32 v[4:5], v[64:65], v[20:21], v[6:7] op_sel:[0,0,1] op_sel_hi:[1,1,0] neg_lo:[0,0,1] neg_hi:[0,0,1]
	v_pk_fma_f32 v[6:7], v[64:65], v[20:21], v[6:7] op_sel:[0,0,1] op_sel_hi:[1,0,0]
	v_pk_add_f32 v[0:1], v[0:1], v[10:11]
	v_mov_b32_e32 v5, v7
	v_pk_fma_f32 v[6:7], v[66:67], v[18:19], v[8:9] op_sel:[0,0,1] op_sel_hi:[1,1,0] neg_lo:[0,0,1] neg_hi:[0,0,1]
	v_pk_fma_f32 v[8:9], v[66:67], v[18:19], v[8:9] op_sel:[0,0,1] op_sel_hi:[1,0,0]
	v_pk_add_f32 v[0:1], v[0:1], v[2:3]
	v_mov_b32_e32 v7, v9
	v_pk_add_f32 v[0:1], v[0:1], v[4:5]
	v_pk_add_f32 v[26:27], v[0:1], v[6:7]
	v_mov_b32_e32 v0, s13
	v_add_co_u32_e64 v30, s[8:9], s12, v30
	s_add_i32 s6, s6, -1
	s_add_i32 s20, s20, s7
	v_addc_co_u32_e64 v31, s[8:9], v31, v0, s[8:9]
	s_cmp_eq_u32 s6, 0
	v_add_u32_e32 v28, 64, v28
	s_barrier
	s_cbranch_scc1 .LBB42_133
.LBB42_129:                             ; =>This Inner Loop Header: Depth=1
	s_and_saveexec_b64 s[22:23], s[2:3]
	s_cbranch_execz .LBB42_131
; %bb.130:                              ;   in Loop: Header=BB42_129 Depth=1
	s_ashr_i32 s21, s20, 31
	s_lshl_b64 s[8:9], s[20:21], 3
	v_mov_b32_e32 v1, s9
	v_add_co_u32_e64 v0, s[8:9], s8, v73
	v_addc_co_u32_e64 v1, s[8:9], v74, v1, s[8:9]
	flat_load_dwordx2 v[0:1], v[0:1]
	s_waitcnt vmcnt(0) lgkmcnt(0)
	ds_write_b64 v75, v[0:1]
.LBB42_131:                             ;   in Loop: Header=BB42_129 Depth=1
	s_or_b64 exec, exec, s[22:23]
	v_add_co_u32_e64 v0, s[8:9], s10, v30
	v_addc_co_u32_e64 v1, s[8:9], v31, v83, s[8:9]
	v_add_co_u32_e64 v2, s[8:9], s14, v30
	v_addc_co_u32_e64 v3, s[8:9], v31, v84, s[8:9]
	s_waitcnt lgkmcnt(0)
	s_barrier
	flat_load_dwordx2 v[32:33], v[30:31]
	flat_load_dwordx2 v[34:35], v[0:1]
	;; [unrolled: 1-line block ×3, first 2 shown]
	v_add_co_u32_e64 v0, s[8:9], s26, v30
	v_addc_co_u32_e64 v1, s[8:9], v31, v85, s[8:9]
	flat_load_dwordx2 v[38:39], v[0:1]
	v_add_co_u32_e64 v6, s[8:9], s18, v30
	v_addc_co_u32_e64 v7, s[8:9], v31, v86, s[8:9]
	ds_read_b64 v[4:5], v76
	ds_read_b128 v[0:3], v80
	ds_read_b64 v[40:41], v80 offset:16
	v_add_co_u32_e64 v8, s[8:9], s39, v30
	v_addc_co_u32_e64 v9, s[8:9], v31, v87, s[8:9]
	v_add_co_u32_e64 v10, s[8:9], s27, v30
	v_addc_co_u32_e64 v11, s[8:9], v31, v88, s[8:9]
	s_waitcnt vmcnt(0) lgkmcnt(0)
	v_mul_f32_e32 v12, v33, v5
	v_mul_f32_e32 v13, v33, v4
	;; [unrolled: 1-line block ×5, first 2 shown]
	v_fmac_f32_e32 v12, v32, v4
	v_mul_f32_e32 v18, v39, v5
	v_fma_f32 v13, v32, v5, -v13
	v_mul_f32_e32 v17, v37, v4
	v_mul_f32_e32 v19, v39, v4
	v_fmac_f32_e32 v14, v34, v4
	v_fma_f32 v15, v34, v5, -v15
	v_fmac_f32_e32 v16, v36, v4
	v_fmac_f32_e32 v18, v38, v4
	v_add_co_u32_e64 v4, s[8:9], s28, v30
	v_fma_f32 v17, v36, v5, -v17
	v_fma_f32 v19, v38, v5, -v19
	ds_write2_b64 v81, v[12:13], v[14:15] offset1:67
	ds_write_b64 v81, v[16:17] offset:1072
	v_addc_co_u32_e64 v5, s[8:9], v31, v89, s[8:9]
	ds_read_b64 v[48:49], v80 offset:24
	ds_write_b64 v81, v[18:19] offset:1608
	s_waitcnt lgkmcnt(0)
	s_barrier
	ds_read2_b64 v[20:23], v79 offset1:1
	ds_read2_b64 v[16:19], v79 offset0:2 offset1:3
	s_waitcnt lgkmcnt(0)
	s_barrier
	flat_load_dwordx2 v[50:51], v[6:7]
	flat_load_dwordx2 v[46:47], v[8:9]
	;; [unrolled: 1-line block ×4, first 2 shown]
	ds_read_b64 v[12:13], v76
	v_add_co_u32_e64 v8, s[8:9], s16, v30
	v_addc_co_u32_e64 v9, s[8:9], v31, v90, s[8:9]
	v_add_co_u32_e64 v10, s[8:9], s38, v30
	v_addc_co_u32_e64 v11, s[8:9], v31, v91, s[8:9]
	;; [unrolled: 2-line block ×3, first 2 shown]
	ds_read_b128 v[4:7], v80 offset:128
	ds_read_b64 v[58:59], v80 offset:144
	v_pk_add_f32 v[20:21], v[20:21], 0 op_sel_hi:[1,0]
	v_pk_add_f32 v[20:21], v[20:21], v[22:23]
	v_pk_add_f32 v[16:17], v[20:21], v[16:17]
	s_waitcnt vmcnt(0) lgkmcnt(0)
	v_mul_f32_e32 v52, v51, v13
	v_mul_f32_e32 v53, v51, v12
	;; [unrolled: 1-line block ×8, first 2 shown]
	v_fma_f32 v53, v50, v13, -v53
	v_fma_f32 v55, v46, v13, -v55
	v_fmac_f32_e32 v52, v50, v12
	v_fmac_f32_e32 v54, v46, v12
	;; [unrolled: 1-line block ×3, first 2 shown]
	v_fma_f32 v57, v42, v13, -v57
	v_fmac_f32_e32 v60, v44, v12
	v_fma_f32 v61, v44, v13, -v61
	ds_write2_b64 v81, v[52:53], v[54:55] offset1:67
	ds_write_b64 v81, v[56:57] offset:1072
	ds_read_b64 v[62:63], v80 offset:152
	ds_write_b64 v81, v[60:61] offset:1608
	s_waitcnt lgkmcnt(0)
	s_barrier
	ds_read2_b64 v[98:101], v79 offset1:1
	ds_read2_b64 v[102:105], v79 offset0:2 offset1:3
	s_waitcnt lgkmcnt(0)
	s_barrier
	flat_load_dwordx2 v[60:61], v[8:9]
	flat_load_dwordx2 v[56:57], v[10:11]
	;; [unrolled: 1-line block ×3, first 2 shown]
	v_add_co_u32_e64 v8, s[8:9], s31, v30
	v_addc_co_u32_e64 v9, s[8:9], v31, v93, s[8:9]
	flat_load_dwordx2 v[52:53], v[8:9]
	ds_read_b64 v[64:65], v76
	v_add_co_u32_e64 v66, s[8:9], s37, v30
	v_addc_co_u32_e64 v67, s[8:9], v31, v94, s[8:9]
	v_add_co_u32_e64 v114, s[8:9], s36, v30
	v_addc_co_u32_e64 v115, s[8:9], v31, v95, s[8:9]
	;; [unrolled: 2-line block ×3, first 2 shown]
	ds_read_b128 v[12:15], v80 offset:256
	ds_read_b128 v[8:11], v80 offset:272
	s_waitcnt vmcnt(0) lgkmcnt(0)
	v_mul_f32_e32 v68, v61, v65
	v_mul_f32_e32 v69, v61, v64
	;; [unrolled: 1-line block ×6, first 2 shown]
	v_fma_f32 v69, v60, v65, -v69
	v_mul_f32_e32 v109, v53, v64
	v_mul_f32_e32 v108, v53, v65
	v_fma_f32 v71, v56, v65, -v71
	v_fmac_f32_e32 v68, v60, v64
	v_fmac_f32_e32 v70, v56, v64
	v_fma_f32 v107, v54, v65, -v107
	v_fma_f32 v109, v52, v65, -v109
	v_fmac_f32_e32 v106, v54, v64
	v_fmac_f32_e32 v108, v52, v64
	ds_write2_b64 v81, v[68:69], v[70:71] offset1:67
	ds_write2_b64 v81, v[106:107], v[108:109] offset0:134 offset1:201
	s_waitcnt lgkmcnt(0)
	s_barrier
	ds_read2_b64 v[106:109], v79 offset1:1
	ds_read2_b64 v[110:113], v79 offset0:2 offset1:3
	s_waitcnt lgkmcnt(0)
	s_barrier
	flat_load_dwordx2 v[70:71], v[66:67]
	flat_load_dwordx2 v[68:69], v[114:115]
	;; [unrolled: 1-line block ×3, first 2 shown]
	v_add_co_u32_e64 v66, s[8:9], s35, v30
	v_addc_co_u32_e64 v67, s[8:9], v31, v97, s[8:9]
	flat_load_dwordx2 v[66:67], v[66:67]
	v_pk_add_f32 v[114:115], v[16:17], v[18:19]
	v_pk_add_f32 v[16:17], v[98:99], 0 op_sel_hi:[1,0]
	v_pk_add_f32 v[16:17], v[16:17], v[100:101]
	v_pk_add_f32 v[16:17], v[16:17], v[102:103]
	v_pk_add_f32 v[116:117], v[16:17], v[104:105]
	ds_read_b64 v[18:19], v76
	ds_read_b64 v[16:17], v80 offset:384
	v_pk_add_f32 v[20:21], v[106:107], 0 op_sel_hi:[1,0]
	v_pk_add_f32 v[20:21], v[20:21], v[108:109]
	v_pk_add_f32 v[20:21], v[20:21], v[110:111]
	;; [unrolled: 1-line block ×3, first 2 shown]
	s_waitcnt vmcnt(0) lgkmcnt(0)
	v_mul_f32_e32 v21, v71, v18
	v_mul_f32_e32 v20, v71, v19
	;; [unrolled: 1-line block ×4, first 2 shown]
	v_fma_f32 v21, v70, v19, -v21
	v_fmac_f32_e32 v20, v70, v18
	v_mul_f32_e32 v23, v65, v18
	v_mul_f32_e32 v100, v65, v19
	v_fma_f32 v99, v68, v19, -v22
	v_fmac_f32_e32 v98, v68, v18
	ds_write_b64 v81, v[20:21]
	v_mul_f32_e32 v103, v67, v18
	v_mul_f32_e32 v102, v67, v19
	v_fma_f32 v101, v64, v19, -v23
	v_fmac_f32_e32 v100, v64, v18
	ds_read_b64 v[22:23], v80 offset:392
	ds_write_b64 v81, v[98:99] offset:536
	v_fma_f32 v103, v66, v19, -v103
	v_fmac_f32_e32 v102, v66, v18
	ds_read_b64 v[20:21], v80 offset:400
	ds_write_b64 v81, v[100:101] offset:1072
	ds_read_b64 v[18:19], v80 offset:408
	ds_write_b64 v81, v[102:103] offset:1608
	s_waitcnt lgkmcnt(0)
	s_barrier
	ds_read2_b64 v[98:101], v79 offset1:1
	ds_read2_b64 v[102:105], v79 offset0:2 offset1:3
	s_waitcnt lgkmcnt(0)
	s_barrier
	v_pk_add_f32 v[98:99], v[98:99], 0 op_sel_hi:[1,0]
	v_pk_add_f32 v[98:99], v[98:99], v[100:101]
	v_pk_add_f32 v[98:99], v[98:99], v[102:103]
	;; [unrolled: 1-line block ×3, first 2 shown]
	ds_write2_b64 v82, v[114:115], v[116:117] offset1:16
	ds_write2_b64 v82, v[106:107], v[98:99] offset0:32 offset1:48
	s_waitcnt lgkmcnt(0)
	s_barrier
	s_and_saveexec_b64 s[22:23], s[4:5]
	s_cbranch_execz .LBB42_128
; %bb.132:                              ;   in Loop: Header=BB42_129 Depth=1
	ds_read_b64 v[106:107], v77
	ds_read2_b64 v[98:101], v77 offset0:1 offset1:2
	ds_read2_b64 v[102:105], v77 offset0:3 offset1:4
	v_lshlrev_b64 v[108:109], 3, v[28:29]
	v_mov_b32_e32 v111, s33
	v_add_co_u32_e64 v110, s[8:9], s29, v108
	s_waitcnt lgkmcnt(1)
	v_add_f32_e32 v98, v98, v106
	v_add_f32_e32 v99, v99, v107
	;; [unrolled: 1-line block ×4, first 2 shown]
	ds_read2_b64 v[98:101], v77 offset0:5 offset1:6
	s_waitcnt lgkmcnt(1)
	v_add_f32_e32 v102, v106, v102
	v_add_f32_e32 v103, v107, v103
	;; [unrolled: 1-line block ×4, first 2 shown]
	ds_read2_b64 v[102:105], v77 offset0:7 offset1:8
	v_addc_co_u32_e64 v111, s[8:9], v111, v109, s[8:9]
	s_waitcnt lgkmcnt(1)
	v_pk_add_f32 v[98:99], v[106:107], v[98:99]
	ds_read2_b64 v[106:109], v77 offset0:9 offset1:10
	v_pk_add_f32 v[98:99], v[98:99], v[100:101]
	s_waitcnt lgkmcnt(1)
	v_pk_add_f32 v[98:99], v[98:99], v[102:103]
	v_pk_add_f32 v[102:103], v[98:99], v[104:105]
	ds_read2_b64 v[98:101], v77 offset0:11 offset1:12
	s_waitcnt lgkmcnt(1)
	v_pk_add_f32 v[106:107], v[102:103], v[106:107]
	ds_read2_b64 v[102:105], v77 offset0:13 offset1:14
	v_pk_add_f32 v[106:107], v[106:107], v[108:109]
	ds_read_b64 v[108:109], v78
	s_waitcnt lgkmcnt(2)
	v_pk_add_f32 v[98:99], v[106:107], v[98:99]
	v_pk_add_f32 v[98:99], v[98:99], v[100:101]
	s_waitcnt lgkmcnt(1)
	v_pk_add_f32 v[98:99], v[98:99], v[102:103]
	v_pk_add_f32 v[98:99], v[98:99], v[104:105]
	s_waitcnt lgkmcnt(0)
	v_pk_add_f32 v[98:99], v[98:99], v[108:109]
	global_store_dwordx2 v[110:111], v[98:99], off
	s_branch .LBB42_128
.LBB42_133:
	s_movk_i32 s2, 0x218
	s_or_b64 s[0:1], s[0:1], vcc
	v_mad_u32_u24 v0, v25, s2, v72
	s_xor_b64 s[0:1], s[0:1], -1
	ds_write_b64 v0, v[26:27]
	s_waitcnt lgkmcnt(0)
	s_barrier
	s_and_saveexec_b64 s[2:3], s[0:1]
	s_cbranch_execz .LBB42_135
; %bb.134:
	ds_read2_b64 v[0:3], v72 offset1:67
	ds_read2_b64 v[4:7], v72 offset0:134 offset1:201
	v_ashrrev_i32_e32 v25, 31, v24
	v_lshlrev_b64 v[8:9], 3, v[24:25]
	v_mov_b32_e32 v10, s33
	s_waitcnt lgkmcnt(1)
	v_pk_add_f32 v[0:1], v[2:3], v[0:1]
	v_add_co_u32_e32 v8, vcc, s29, v8
	s_waitcnt lgkmcnt(0)
	v_pk_add_f32 v[0:1], v[0:1], v[4:5]
	v_addc_co_u32_e32 v9, vcc, v10, v9, vcc
	v_pk_add_f32 v[0:1], v[0:1], v[6:7]
	global_store_dwordx2 v[8:9], v[0:1], off
.LBB42_135:
	s_endpgm
	.section	.rodata,"a",@progbits
	.p2align	6, 0x0
	.amdhsa_kernel _ZL26rocblas_hemvn_kernel_lowerILb1ELi64ELi4ELi33ELi32ELi16EiPK19rocblas_complex_numIfEPKS3_PS1_EviT6_lT7_lT5_lS8_lS9_lS7_lT8_i
		.amdhsa_group_segment_fixed_size 9600
		.amdhsa_private_segment_fixed_size 0
		.amdhsa_kernarg_size 376
		.amdhsa_user_sgpr_count 6
		.amdhsa_user_sgpr_private_segment_buffer 1
		.amdhsa_user_sgpr_dispatch_ptr 0
		.amdhsa_user_sgpr_queue_ptr 0
		.amdhsa_user_sgpr_kernarg_segment_ptr 1
		.amdhsa_user_sgpr_dispatch_id 0
		.amdhsa_user_sgpr_flat_scratch_init 0
		.amdhsa_user_sgpr_kernarg_preload_length 0
		.amdhsa_user_sgpr_kernarg_preload_offset 0
		.amdhsa_user_sgpr_private_segment_size 0
		.amdhsa_uses_dynamic_stack 0
		.amdhsa_system_sgpr_private_segment_wavefront_offset 0
		.amdhsa_system_sgpr_workgroup_id_x 1
		.amdhsa_system_sgpr_workgroup_id_y 0
		.amdhsa_system_sgpr_workgroup_id_z 1
		.amdhsa_system_sgpr_workgroup_info 0
		.amdhsa_system_vgpr_workitem_id 1
		.amdhsa_next_free_vgpr 118
		.amdhsa_next_free_sgpr 46
		.amdhsa_accum_offset 120
		.amdhsa_reserve_vcc 1
		.amdhsa_reserve_flat_scratch 0
		.amdhsa_float_round_mode_32 0
		.amdhsa_float_round_mode_16_64 0
		.amdhsa_float_denorm_mode_32 3
		.amdhsa_float_denorm_mode_16_64 3
		.amdhsa_dx10_clamp 1
		.amdhsa_ieee_mode 1
		.amdhsa_fp16_overflow 0
		.amdhsa_tg_split 0
		.amdhsa_exception_fp_ieee_invalid_op 0
		.amdhsa_exception_fp_denorm_src 0
		.amdhsa_exception_fp_ieee_div_zero 0
		.amdhsa_exception_fp_ieee_overflow 0
		.amdhsa_exception_fp_ieee_underflow 0
		.amdhsa_exception_fp_ieee_inexact 0
		.amdhsa_exception_int_div_zero 0
	.end_amdhsa_kernel
	.section	.text._ZL26rocblas_hemvn_kernel_lowerILb1ELi64ELi4ELi33ELi32ELi16EiPK19rocblas_complex_numIfEPKS3_PS1_EviT6_lT7_lT5_lS8_lS9_lS7_lT8_i,"axG",@progbits,_ZL26rocblas_hemvn_kernel_lowerILb1ELi64ELi4ELi33ELi32ELi16EiPK19rocblas_complex_numIfEPKS3_PS1_EviT6_lT7_lT5_lS8_lS9_lS7_lT8_i,comdat
.Lfunc_end42:
	.size	_ZL26rocblas_hemvn_kernel_lowerILb1ELi64ELi4ELi33ELi32ELi16EiPK19rocblas_complex_numIfEPKS3_PS1_EviT6_lT7_lT5_lS8_lS9_lS7_lT8_i, .Lfunc_end42-_ZL26rocblas_hemvn_kernel_lowerILb1ELi64ELi4ELi33ELi32ELi16EiPK19rocblas_complex_numIfEPKS3_PS1_EviT6_lT7_lT5_lS8_lS9_lS7_lT8_i
                                        ; -- End function
	.section	.AMDGPU.csdata,"",@progbits
; Kernel info:
; codeLenInByte = 8244
; NumSgprs: 50
; NumVgprs: 118
; NumAgprs: 0
; TotalNumVgprs: 118
; ScratchSize: 0
; MemoryBound: 1
; FloatMode: 240
; IeeeMode: 1
; LDSByteSize: 9600 bytes/workgroup (compile time only)
; SGPRBlocks: 6
; VGPRBlocks: 14
; NumSGPRsForWavesPerEU: 50
; NumVGPRsForWavesPerEU: 118
; AccumOffset: 120
; Occupancy: 4
; WaveLimiterHint : 1
; COMPUTE_PGM_RSRC2:SCRATCH_EN: 0
; COMPUTE_PGM_RSRC2:USER_SGPR: 6
; COMPUTE_PGM_RSRC2:TRAP_HANDLER: 0
; COMPUTE_PGM_RSRC2:TGID_X_EN: 1
; COMPUTE_PGM_RSRC2:TGID_Y_EN: 0
; COMPUTE_PGM_RSRC2:TGID_Z_EN: 1
; COMPUTE_PGM_RSRC2:TIDIG_COMP_CNT: 1
; COMPUTE_PGM_RSRC3_GFX90A:ACCUM_OFFSET: 29
; COMPUTE_PGM_RSRC3_GFX90A:TG_SPLIT: 0
	.section	.text._ZL36rocblas_hemvn_kernel_lower_block_sumILi64EiPK19rocblas_complex_numIfEPKPS1_S1_EviT1_lS7_lT2_lT0_lPT3_i,"axG",@progbits,_ZL36rocblas_hemvn_kernel_lower_block_sumILi64EiPK19rocblas_complex_numIfEPKPS1_S1_EviT1_lS7_lT2_lT0_lPT3_i,comdat
	.globl	_ZL36rocblas_hemvn_kernel_lower_block_sumILi64EiPK19rocblas_complex_numIfEPKPS1_S1_EviT1_lS7_lT2_lT0_lPT3_i ; -- Begin function _ZL36rocblas_hemvn_kernel_lower_block_sumILi64EiPK19rocblas_complex_numIfEPKPS1_S1_EviT1_lS7_lT2_lT0_lPT3_i
	.p2align	8
	.type	_ZL36rocblas_hemvn_kernel_lower_block_sumILi64EiPK19rocblas_complex_numIfEPKPS1_S1_EviT1_lS7_lT2_lT0_lPT3_i,@function
_ZL36rocblas_hemvn_kernel_lower_block_sumILi64EiPK19rocblas_complex_numIfEPKPS1_S1_EviT1_lS7_lT2_lT0_lPT3_i: ; @_ZL36rocblas_hemvn_kernel_lower_block_sumILi64EiPK19rocblas_complex_numIfEPKPS1_S1_EviT1_lS7_lT2_lT0_lPT3_i
; %bb.0:
	s_load_dwordx8 s[12:19], s[4:5], 0x8
	s_mov_b32 s11, 0
	s_waitcnt lgkmcnt(0)
	s_mul_i32 s0, s7, s15
	s_mul_hi_u32 s1, s7, s14
	s_add_i32 s1, s1, s0
	s_mul_i32 s0, s7, s14
	s_lshl_b64 s[0:1], s[0:1], 3
	s_add_u32 s0, s12, s0
	s_mul_i32 s2, s7, s19
	s_mul_hi_u32 s3, s7, s18
	s_addc_u32 s1, s13, s1
	s_add_i32 s9, s3, s2
	s_mul_i32 s8, s7, s18
	s_load_dwordx2 s[2:3], s[0:1], 0x0
	s_lshl_b64 s[0:1], s[8:9], 3
	s_add_u32 s0, s16, s0
	s_addc_u32 s1, s17, s1
	s_load_dwordx2 s[8:9], s[0:1], 0x0
	s_waitcnt lgkmcnt(0)
	s_or_b32 s0, s2, s3
	s_bitset0_b32 s0, 31
	s_cmp_eq_u32 s0, 0
	s_cselect_b64 s[0:1], -1, 0
	v_cmp_eq_f32_e64 s[12:13], s8, 1.0
	v_cmp_eq_f32_e64 s[14:15], s9, 0
	s_and_b64 s[12:13], s[12:13], s[14:15]
	s_and_b64 s[12:13], s[0:1], s[12:13]
	s_and_b64 vcc, exec, s[12:13]
	s_cbranch_vccnz .LBB43_17
; %bb.1:
	s_load_dwordx4 s[20:23], s[4:5], 0x28
	s_load_dword s16, s[4:5], 0x38
	s_load_dword s12, s[4:5], 0x0
	s_mov_b32 s10, s7
	s_lshl_b64 s[14:15], s[10:11], 3
	s_waitcnt lgkmcnt(0)
	s_add_u32 s14, s20, s14
	s_addc_u32 s15, s21, s15
	s_load_dwordx2 s[18:19], s[14:15], 0x0
	s_lshl_b64 s[20:21], s[22:23], 3
	v_lshl_or_b32 v4, s6, 6, v0
	s_mov_b64 s[14:15], -1
	s_waitcnt lgkmcnt(0)
	s_add_u32 s7, s18, s20
	s_addc_u32 s11, s19, s21
	s_andn2_b64 vcc, exec, s[0:1]
	v_cmp_gt_i32_e64 s[0:1], s12, v4
	s_cbranch_vccnz .LBB43_7
; %bb.2:
	s_and_saveexec_b64 s[14:15], s[0:1]
	s_cbranch_execz .LBB43_6
; %bb.3:
	v_cmp_neq_f32_e64 s[0:1], s8, 0
	v_cmp_neq_f32_e64 s[18:19], s9, 0
	v_mul_lo_u32 v0, v4, s16
	v_ashrrev_i32_e32 v1, 31, v0
	s_or_b64 s[0:1], s[0:1], s[18:19]
	s_andn2_b64 vcc, exec, s[0:1]
	v_mov_b32_e32 v2, 0
	v_lshlrev_b64 v[0:1], 3, v[0:1]
	v_mov_b32_e32 v3, 0
	s_cbranch_vccnz .LBB43_5
; %bb.4:
	v_mov_b32_e32 v3, s11
	v_add_co_u32_e32 v2, vcc, s7, v0
	v_addc_co_u32_e32 v3, vcc, v3, v1, vcc
	global_load_dwordx2 v[6:7], v[2:3], off
	s_waitcnt vmcnt(0)
	v_pk_mul_f32 v[8:9], v[6:7], s[8:9] op_sel:[1,0]
	v_pk_fma_f32 v[2:3], v[6:7], s[8:9], v[8:9] op_sel:[0,0,1] op_sel_hi:[1,1,0] neg_lo:[0,0,1] neg_hi:[0,0,1]
	v_pk_fma_f32 v[6:7], v[6:7], s[8:9], v[8:9] op_sel:[0,0,1] op_sel_hi:[0,1,0]
	v_mov_b32_e32 v3, v7
.LBB43_5:
	v_mov_b32_e32 v5, s11
	v_add_co_u32_e32 v0, vcc, s7, v0
	v_addc_co_u32_e32 v1, vcc, v5, v1, vcc
	global_store_dwordx2 v[0:1], v[2:3], off
.LBB43_6:
	s_or_b64 exec, exec, s[14:15]
	s_mov_b64 s[14:15], 0
.LBB43_7:
	s_andn2_b64 vcc, exec, s[14:15]
	s_cbranch_vccnz .LBB43_17
; %bb.8:
	v_cmp_gt_i32_e32 vcc, s12, v4
	s_and_saveexec_b64 s[0:1], vcc
	s_cbranch_execz .LBB43_17
; %bb.9:
	s_load_dword s14, s[4:5], 0x58
	v_mov_b32_e32 v1, 0
	v_mov_b32_e32 v0, v1
	s_waitcnt lgkmcnt(0)
	s_cmp_ge_i32 s6, s14
	s_cbranch_scc1 .LBB43_12
; %bb.10:
	s_load_dwordx2 s[0:1], s[4:5], 0x48
	s_ashr_i32 s13, s12, 31
	s_mul_i32 s4, s6, s12
	v_add_u32_e32 v0, s4, v4
	s_mul_hi_u32 s4, s12, s10
	s_mul_i32 s5, s13, s10
	s_add_i32 s4, s4, s5
	s_mul_i32 s10, s12, s10
	s_mul_i32 s4, s4, s14
	s_mul_hi_u32 s5, s10, s14
	s_add_i32 s5, s5, s4
	s_mul_i32 s4, s10, s14
	s_lshl_b64 s[4:5], s[4:5], 3
	v_ashrrev_i32_e32 v1, 31, v0
	s_waitcnt lgkmcnt(0)
	s_add_u32 s0, s0, s4
	v_lshlrev_b64 v[0:1], 3, v[0:1]
	s_addc_u32 s1, s1, s5
	v_mov_b32_e32 v3, s1
	v_add_co_u32_e32 v2, vcc, s0, v0
	s_lshl_b64 s[0:1], s[12:13], 3
	v_mov_b32_e32 v0, 0
	v_addc_co_u32_e32 v3, vcc, v3, v1, vcc
	v_mov_b32_e32 v5, s1
	v_mov_b32_e32 v1, v0
.LBB43_11:                              ; =>This Inner Loop Header: Depth=1
	global_load_dwordx2 v[6:7], v[2:3], off
	s_add_i32 s6, s6, 1
	v_add_co_u32_e32 v2, vcc, s0, v2
	v_addc_co_u32_e32 v3, vcc, v3, v5, vcc
	s_cmp_ge_i32 s6, s14
	s_waitcnt vmcnt(0)
	v_pk_add_f32 v[0:1], v[0:1], v[6:7]
	s_cbranch_scc0 .LBB43_11
.LBB43_12:
	v_cmp_neq_f32_e64 s[0:1], s8, 0
	v_cmp_neq_f32_e64 s[4:5], s9, 0
	s_or_b64 s[0:1], s[0:1], s[4:5]
	v_pk_mul_f32 v[6:7], v[0:1], s[2:3] op_sel:[1,0]
	v_mul_lo_u32 v4, v4, s16
	s_andn2_b64 vcc, exec, s[0:1]
	v_pk_fma_f32 v[2:3], v[0:1], s[2:3], v[6:7] op_sel:[0,0,1] op_sel_hi:[0,1,0]
	v_ashrrev_i32_e32 v5, 31, v4
	s_cbranch_vccz .LBB43_14
; %bb.13:
	v_pk_mul_f32 v[8:9], v[0:1], s[2:3] op_sel_hi:[0,1]
	v_sub_f32_e32 v2, v8, v7
	s_cbranch_execz .LBB43_15
	s_branch .LBB43_16
.LBB43_14:
.LBB43_15:
	v_lshlrev_b64 v[8:9], 3, v[4:5]
	v_mov_b32_e32 v2, s11
	v_add_co_u32_e32 v8, vcc, s7, v8
	v_addc_co_u32_e32 v9, vcc, v2, v9, vcc
	global_load_dwordx2 v[8:9], v[8:9], off
	v_pk_fma_f32 v[0:1], v[0:1], s[2:3], v[6:7] op_sel:[0,0,1] op_sel_hi:[1,1,0] neg_lo:[0,0,1] neg_hi:[0,0,1]
	v_mov_b32_e32 v1, v3
	s_waitcnt vmcnt(0)
	v_pk_mul_f32 v[6:7], v[8:9], s[8:9] op_sel:[1,0]
	v_pk_fma_f32 v[10:11], v[8:9], s[8:9], v[6:7] op_sel:[0,0,1] op_sel_hi:[1,1,0] neg_lo:[0,0,1] neg_hi:[0,0,1]
	v_pk_fma_f32 v[6:7], v[8:9], s[8:9], v[6:7] op_sel:[0,0,1] op_sel_hi:[0,1,0]
	v_mov_b32_e32 v11, v7
	v_pk_add_f32 v[2:3], v[0:1], v[10:11]
.LBB43_16:
	v_lshlrev_b64 v[0:1], 3, v[4:5]
	v_mov_b32_e32 v4, s11
	v_add_co_u32_e32 v0, vcc, s7, v0
	v_addc_co_u32_e32 v1, vcc, v4, v1, vcc
	global_store_dwordx2 v[0:1], v[2:3], off
.LBB43_17:
	s_endpgm
	.section	.rodata,"a",@progbits
	.p2align	6, 0x0
	.amdhsa_kernel _ZL36rocblas_hemvn_kernel_lower_block_sumILi64EiPK19rocblas_complex_numIfEPKPS1_S1_EviT1_lS7_lT2_lT0_lPT3_i
		.amdhsa_group_segment_fixed_size 0
		.amdhsa_private_segment_fixed_size 0
		.amdhsa_kernarg_size 344
		.amdhsa_user_sgpr_count 6
		.amdhsa_user_sgpr_private_segment_buffer 1
		.amdhsa_user_sgpr_dispatch_ptr 0
		.amdhsa_user_sgpr_queue_ptr 0
		.amdhsa_user_sgpr_kernarg_segment_ptr 1
		.amdhsa_user_sgpr_dispatch_id 0
		.amdhsa_user_sgpr_flat_scratch_init 0
		.amdhsa_user_sgpr_kernarg_preload_length 0
		.amdhsa_user_sgpr_kernarg_preload_offset 0
		.amdhsa_user_sgpr_private_segment_size 0
		.amdhsa_uses_dynamic_stack 0
		.amdhsa_system_sgpr_private_segment_wavefront_offset 0
		.amdhsa_system_sgpr_workgroup_id_x 1
		.amdhsa_system_sgpr_workgroup_id_y 0
		.amdhsa_system_sgpr_workgroup_id_z 1
		.amdhsa_system_sgpr_workgroup_info 0
		.amdhsa_system_vgpr_workitem_id 0
		.amdhsa_next_free_vgpr 12
		.amdhsa_next_free_sgpr 24
		.amdhsa_accum_offset 12
		.amdhsa_reserve_vcc 1
		.amdhsa_reserve_flat_scratch 0
		.amdhsa_float_round_mode_32 0
		.amdhsa_float_round_mode_16_64 0
		.amdhsa_float_denorm_mode_32 3
		.amdhsa_float_denorm_mode_16_64 3
		.amdhsa_dx10_clamp 1
		.amdhsa_ieee_mode 1
		.amdhsa_fp16_overflow 0
		.amdhsa_tg_split 0
		.amdhsa_exception_fp_ieee_invalid_op 0
		.amdhsa_exception_fp_denorm_src 0
		.amdhsa_exception_fp_ieee_div_zero 0
		.amdhsa_exception_fp_ieee_overflow 0
		.amdhsa_exception_fp_ieee_underflow 0
		.amdhsa_exception_fp_ieee_inexact 0
		.amdhsa_exception_int_div_zero 0
	.end_amdhsa_kernel
	.section	.text._ZL36rocblas_hemvn_kernel_lower_block_sumILi64EiPK19rocblas_complex_numIfEPKPS1_S1_EviT1_lS7_lT2_lT0_lPT3_i,"axG",@progbits,_ZL36rocblas_hemvn_kernel_lower_block_sumILi64EiPK19rocblas_complex_numIfEPKPS1_S1_EviT1_lS7_lT2_lT0_lPT3_i,comdat
.Lfunc_end43:
	.size	_ZL36rocblas_hemvn_kernel_lower_block_sumILi64EiPK19rocblas_complex_numIfEPKPS1_S1_EviT1_lS7_lT2_lT0_lPT3_i, .Lfunc_end43-_ZL36rocblas_hemvn_kernel_lower_block_sumILi64EiPK19rocblas_complex_numIfEPKPS1_S1_EviT1_lS7_lT2_lT0_lPT3_i
                                        ; -- End function
	.section	.AMDGPU.csdata,"",@progbits
; Kernel info:
; codeLenInByte = 764
; NumSgprs: 28
; NumVgprs: 12
; NumAgprs: 0
; TotalNumVgprs: 12
; ScratchSize: 0
; MemoryBound: 0
; FloatMode: 240
; IeeeMode: 1
; LDSByteSize: 0 bytes/workgroup (compile time only)
; SGPRBlocks: 3
; VGPRBlocks: 1
; NumSGPRsForWavesPerEU: 28
; NumVGPRsForWavesPerEU: 12
; AccumOffset: 12
; Occupancy: 8
; WaveLimiterHint : 1
; COMPUTE_PGM_RSRC2:SCRATCH_EN: 0
; COMPUTE_PGM_RSRC2:USER_SGPR: 6
; COMPUTE_PGM_RSRC2:TRAP_HANDLER: 0
; COMPUTE_PGM_RSRC2:TGID_X_EN: 1
; COMPUTE_PGM_RSRC2:TGID_Y_EN: 0
; COMPUTE_PGM_RSRC2:TGID_Z_EN: 1
; COMPUTE_PGM_RSRC2:TIDIG_COMP_CNT: 0
; COMPUTE_PGM_RSRC3_GFX90A:ACCUM_OFFSET: 2
; COMPUTE_PGM_RSRC3_GFX90A:TG_SPLIT: 0
	.section	.text._ZL26rocblas_hemvn_kernel_lowerILb1ELi64ELi4ELi33ELi32ELi16El19rocblas_complex_numIfEPKPKS1_PS1_EviT6_lT7_lT5_lS8_lS9_lS7_lT8_i,"axG",@progbits,_ZL26rocblas_hemvn_kernel_lowerILb1ELi64ELi4ELi33ELi32ELi16El19rocblas_complex_numIfEPKPKS1_PS1_EviT6_lT7_lT5_lS8_lS9_lS7_lT8_i,comdat
	.globl	_ZL26rocblas_hemvn_kernel_lowerILb1ELi64ELi4ELi33ELi32ELi16El19rocblas_complex_numIfEPKPKS1_PS1_EviT6_lT7_lT5_lS8_lS9_lS7_lT8_i ; -- Begin function _ZL26rocblas_hemvn_kernel_lowerILb1ELi64ELi4ELi33ELi32ELi16El19rocblas_complex_numIfEPKPKS1_PS1_EviT6_lT7_lT5_lS8_lS9_lS7_lT8_i
	.p2align	8
	.type	_ZL26rocblas_hemvn_kernel_lowerILb1ELi64ELi4ELi33ELi32ELi16El19rocblas_complex_numIfEPKPKS1_PS1_EviT6_lT7_lT5_lS8_lS9_lS7_lT8_i,@function
_ZL26rocblas_hemvn_kernel_lowerILb1ELi64ELi4ELi33ELi32ELi16El19rocblas_complex_numIfEPKPKS1_PS1_EviT6_lT7_lT5_lS8_lS9_lS7_lT8_i: ; @_ZL26rocblas_hemvn_kernel_lowerILb1ELi64ELi4ELi33ELi32ELi16El19rocblas_complex_numIfEPKPKS1_PS1_EviT6_lT7_lT5_lS8_lS9_lS7_lT8_i
; %bb.0:
	s_load_dwordx2 s[0:1], s[4:5], 0x84
	s_add_u32 s14, s4, 0x78
	s_addc_u32 s15, s5, 0
	s_waitcnt lgkmcnt(0)
	s_lshr_b32 s2, s0, 16
	s_and_b32 s0, s0, 0xffff
	s_and_b32 s1, s1, 0xffff
	s_mul_i32 s0, s2, s0
	s_mul_i32 s0, s0, s1
	s_cmpk_lg_i32 s0, 0x100
	s_cbranch_scc1 .LBB44_135
; %bb.1:
	s_load_dwordx2 s[8:9], s[4:5], 0x4
	s_load_dwordx4 s[0:3], s[4:5], 0x18
	s_load_dwordx2 s[26:27], s[4:5], 0x28
	s_mov_b32 s28, s7
	s_waitcnt lgkmcnt(0)
	s_or_b32 s7, s8, s9
	s_bitset0_b32 s7, 31
	s_cmp_lg_u32 s7, 0
	s_cselect_b64 s[16:17], -1, 0
	s_and_b64 vcc, exec, s[16:17]
	s_cbranch_vccnz .LBB44_4
; %bb.2:
	s_load_dwordx2 s[8:9], s[4:5], 0x58
                                        ; implicit-def: $sgpr12_sgpr13
	s_waitcnt lgkmcnt(0)
	v_cmp_eq_f32_e64 s[10:11], s8, 1.0
	v_cmp_eq_f32_e64 s[8:9], s9, 0
	s_and_b64 s[8:9], s[10:11], s[8:9]
	s_mov_b64 s[10:11], 0
	s_andn2_b64 vcc, exec, s[8:9]
	s_mov_b64 s[8:9], 0
	s_cbranch_vccz .LBB44_5
; %bb.3:
	s_mov_b64 s[8:9], -1
	s_mov_b64 s[12:13], 0
	s_branch .LBB44_5
.LBB44_4:
	s_mov_b64 s[10:11], -1
	s_mov_b64 s[8:9], 0
                                        ; implicit-def: $sgpr12_sgpr13
.LBB44_5:
	s_and_b64 vcc, exec, s[10:11]
	s_cbranch_vccz .LBB44_7
; %bb.6:
	s_mov_b32 s29, 0
	s_lshl_b64 s[8:9], s[28:29], 3
	s_add_u32 s0, s0, s8
	s_addc_u32 s1, s1, s9
	s_load_dwordx2 s[0:1], s[0:1], 0x0
	s_lshl_b64 s[2:3], s[2:3], 3
	s_mov_b64 s[8:9], -1
	s_waitcnt lgkmcnt(0)
	s_add_u32 s12, s0, s2
	s_addc_u32 s13, s1, s3
.LBB44_7:
	s_andn2_b64 vcc, exec, s[8:9]
	s_cbranch_vccnz .LBB44_135
; %bb.8:
	s_load_dwordx4 s[8:11], s[4:5], 0x38
	s_load_dwordx2 s[22:23], s[4:5], 0x48
	v_cndmask_b32_e64 v1, 0, 1, s[16:17]
	v_cmp_ne_u32_e64 s[0:1], 1, v1
	s_andn2_b64 vcc, exec, s[16:17]
	s_mov_b64 s[2:3], 0
	s_cbranch_vccnz .LBB44_10
; %bb.9:
	s_mov_b32 s29, 0
	s_lshl_b64 s[2:3], s[28:29], 3
	s_waitcnt lgkmcnt(0)
	s_add_u32 s2, s8, s2
	s_addc_u32 s3, s9, s3
	s_load_dwordx2 s[2:3], s[2:3], 0x0
	s_lshl_b64 s[8:9], s[10:11], 3
	s_waitcnt lgkmcnt(0)
	s_add_u32 s2, s2, s8
	s_addc_u32 s3, s3, s9
.LBB44_10:
	s_and_b64 vcc, exec, s[0:1]
	s_cbranch_vccnz .LBB44_135
; %bb.11:
	s_load_dword s29, s[14:15], 0x0
	s_load_dword s7, s[4:5], 0x0
	v_and_b32_e32 v26, 0x3ff, v0
	s_lshl_b32 s34, s6, 6
	v_add_u32_e32 v16, s34, v26
	s_waitcnt lgkmcnt(0)
	s_add_i32 s0, s29, -1
	s_ashr_i32 s33, s7, 31
	s_lshr_b32 s1, s33, 26
	s_add_i32 s1, s7, s1
	s_andn2_b32 s1, s1, 63
	s_sub_i32 s1, s7, s1
	s_cmp_eq_u32 s6, s0
	v_ashrrev_i32_e32 v17, 31, v16
	v_bfe_u32 v72, v0, 10, 10
	s_cselect_b32 s30, s1, 0
	v_mul_lo_u32 v2, v17, s22
	v_mul_lo_u32 v3, v16, s23
	v_mad_u64_u32 v[0:1], s[0:1], v16, s22, 0
	v_add3_u32 v1, v1, v3, v2
	v_lshlrev_b64 v[0:1], 3, v[0:1]
	v_mov_b32_e32 v2, s3
	v_add_co_u32_e32 v20, vcc, s2, v0
	v_addc_co_u32_e32 v21, vcc, v2, v1, vcc
	v_cmp_ne_u32_e64 s[0:1], 0, v72
	v_cmp_eq_u32_e64 s[2:3], 0, v72
	s_and_saveexec_b64 s[8:9], s[2:3]
	s_cbranch_execz .LBB44_16
; %bb.12:
	s_cmp_lg_u32 s30, 0
	s_cselect_b64 s[10:11], -1, 0
	v_cmp_le_i32_e32 vcc, s30, v26
	v_mov_b32_e32 v0, 0x2380
	s_and_b64 s[10:11], s[10:11], vcc
	v_lshl_add_u32 v0, v26, 3, v0
	s_and_saveexec_b64 s[14:15], s[10:11]
	s_xor_b64 s[10:11], exec, s[14:15]
	s_cbranch_execz .LBB44_14
; %bb.13:
	v_mov_b32_e32 v2, 0
	v_mov_b32_e32 v3, v2
	ds_write_b64 v0, v[2:3]
                                        ; implicit-def: $vgpr0
.LBB44_14:
	s_andn2_saveexec_b64 s[10:11], s[10:11]
	s_cbranch_execz .LBB44_16
; %bb.15:
	flat_load_dwordx2 v[2:3], v[20:21]
	s_waitcnt vmcnt(0) lgkmcnt(0)
	ds_write_b64 v0, v[2:3]
.LBB44_16:
	s_or_b64 exec, exec, s[8:9]
	s_ashr_i32 s35, s34, 31
	v_lshl_add_u32 v27, v72, 6, v26
	s_lshl_b64 s[8:9], s[34:35], 3
	v_and_b32_e32 v0, 31, v26
	v_lshrrev_b32_e32 v8, 5, v27
	s_add_u32 s10, s12, s8
	v_mov_b32_e32 v1, 0
	s_addc_u32 s11, s13, s9
	v_mad_u64_u32 v[2:3], s[8:9], v8, s26, v[0:1]
	v_mov_b32_e32 v4, v3
	v_mad_u64_u32 v[4:5], s[8:9], v8, s27, v[4:5]
	s_mul_i32 s8, s34, s27
	s_mul_hi_u32 s9, s34, s26
	s_add_i32 s8, s9, s8
	s_mul_i32 s9, s35, s26
	s_add_i32 s9, s8, s9
	s_mul_i32 s8, s34, s26
	s_lshl_b64 s[36:37], s[8:9], 3
	v_mov_b32_e32 v3, v4
	s_add_u32 s8, s36, s10
	v_lshlrev_b64 v[22:23], 3, v[2:3]
	s_addc_u32 s9, s37, s11
	v_mov_b32_e32 v1, s9
	v_add_co_u32_e32 v2, vcc, s8, v22
	s_cmp_lg_u32 s30, 0
	v_addc_co_u32_e32 v3, vcc, v1, v23, vcc
	s_cselect_b64 s[38:39], -1, 0
	s_cmp_eq_u32 s30, 0
	s_cselect_b64 s[40:41], -1, 0
	s_and_b64 vcc, exec, s[38:39]
	s_cbranch_vccnz .LBB44_18
; %bb.17:
	flat_load_dwordx2 v[4:5], v[2:3]
	v_mul_u32_u24_e32 v1, 33, v8
	s_lshl_b64 s[8:9], s[26:27], 6
	v_add_lshl_u32 v1, v1, v0, 3
	v_mov_b32_e32 v9, s9
	v_add_co_u32_e32 v6, vcc, s8, v2
	v_addc_co_u32_e32 v7, vcc, v3, v9, vcc
	s_mul_i32 s10, s27, 0xc0
	s_waitcnt vmcnt(0) lgkmcnt(0)
	ds_write_b64 v1, v[4:5]
	flat_load_dwordx2 v[4:5], v[6:7]
	v_add_co_u32_e32 v6, vcc, s8, v6
	v_addc_co_u32_e32 v7, vcc, v7, v9, vcc
	s_waitcnt vmcnt(0) lgkmcnt(0)
	ds_write_b64 v1, v[4:5] offset:2112
	flat_load_dwordx2 v[4:5], v[6:7]
	v_mov_b32_e32 v6, 0xc0
	v_mad_u64_u32 v[6:7], s[8:9], s26, v6, v[2:3]
	v_add_u32_e32 v7, s10, v7
	s_waitcnt vmcnt(0) lgkmcnt(0)
	ds_write_b64 v1, v[4:5] offset:4224
	flat_load_dwordx2 v[4:5], v[6:7]
	s_waitcnt vmcnt(0) lgkmcnt(0)
	ds_write_b64 v1, v[4:5] offset:6336
	s_cbranch_execz .LBB44_19
	s_branch .LBB44_34
.LBB44_18:
.LBB44_19:
	v_lshlrev_b32_e32 v1, 3, v0
	v_sub_co_u32_e32 v4, vcc, v2, v1
	s_ashr_i32 s31, s30, 31
	v_subbrev_co_u32_e32 v5, vcc, 0, v3, vcc
	s_lshl_b64 s[10:11], s[30:31], 3
	v_mov_b32_e32 v6, s11
	v_add_co_u32_e32 v4, vcc, s10, v4
	v_addc_co_u32_e32 v5, vcc, v5, v6, vcc
	v_add_co_u32_e32 v4, vcc, -8, v4
	v_addc_co_u32_e32 v5, vcc, -1, v5, vcc
	v_cmp_gt_i32_e32 vcc, s30, v0
	v_mov_b32_e32 v6, 0
	v_cndmask_b32_e32 v5, v5, v3, vcc
	v_cndmask_b32_e32 v4, v4, v2, vcc
	v_cmp_gt_i32_e64 s[8:9], s30, v8
	v_mov_b32_e32 v7, v6
	s_and_saveexec_b64 s[12:13], s[8:9]
	s_cbranch_execz .LBB44_21
; %bb.20:
	flat_load_dwordx2 v[6:7], v[4:5]
.LBB44_21:
	s_or_b64 exec, exec, s[12:13]
	v_mul_u32_u24_e32 v9, 33, v8
	v_add_lshl_u32 v9, v9, v0, 3
	s_waitcnt vmcnt(0) lgkmcnt(0)
	ds_write_b64 v9, v[6:7]
	v_add_u32_e32 v6, 8, v8
	v_cmp_le_i32_e64 s[8:9], s30, v6
	s_and_saveexec_b64 s[12:13], s[8:9]
	s_xor_b64 s[8:9], exec, s[12:13]
	s_cbranch_execz .LBB44_23
; %bb.22:
	v_mul_u32_u24_e32 v6, 33, v6
	v_add_lshl_u32 v10, v6, v0, 3
	v_mov_b32_e32 v6, 0
	v_mov_b32_e32 v7, v6
	ds_write_b64 v10, v[6:7]
.LBB44_23:
	s_andn2_saveexec_b64 s[12:13], s[8:9]
	s_cbranch_execz .LBB44_25
; %bb.24:
	s_lshl_b64 s[8:9], s[26:27], 6
	v_mov_b32_e32 v7, s9
	v_add_co_u32_e64 v6, s[8:9], s8, v4
	v_addc_co_u32_e64 v7, s[8:9], v5, v7, s[8:9]
	flat_load_dwordx2 v[6:7], v[6:7]
	s_waitcnt vmcnt(0) lgkmcnt(0)
	ds_write_b64 v9, v[6:7] offset:2112
.LBB44_25:
	s_or_b64 exec, exec, s[12:13]
	v_add_u32_e32 v6, 16, v8
	v_cmp_le_i32_e64 s[8:9], s30, v6
	s_and_saveexec_b64 s[12:13], s[8:9]
	s_xor_b64 s[8:9], exec, s[12:13]
	s_cbranch_execz .LBB44_27
; %bb.26:
	v_mov_b32_e32 v6, 0
	v_mov_b32_e32 v7, v6
	ds_write_b64 v9, v[6:7] offset:4224
.LBB44_27:
	s_andn2_saveexec_b64 s[12:13], s[8:9]
	s_cbranch_execz .LBB44_29
; %bb.28:
	s_lshl_b64 s[8:9], s[26:27], 7
	v_mov_b32_e32 v7, s9
	v_add_co_u32_e64 v6, s[8:9], s8, v4
	v_addc_co_u32_e64 v7, s[8:9], v5, v7, s[8:9]
	flat_load_dwordx2 v[6:7], v[6:7]
	s_waitcnt vmcnt(0) lgkmcnt(0)
	ds_write_b64 v9, v[6:7] offset:4224
.LBB44_29:
	s_or_b64 exec, exec, s[12:13]
	v_add_u32_e32 v6, 24, v8
	v_cmp_le_i32_e64 s[8:9], s30, v6
	s_and_saveexec_b64 s[12:13], s[8:9]
	s_xor_b64 s[8:9], exec, s[12:13]
	s_cbranch_execz .LBB44_31
; %bb.30:
	v_mov_b32_e32 v6, 0
	v_mov_b32_e32 v7, v6
	ds_write_b64 v9, v[6:7] offset:6336
                                        ; implicit-def: $vgpr9
.LBB44_31:
	s_andn2_saveexec_b64 s[8:9], s[8:9]
	s_cbranch_execz .LBB44_33
; %bb.32:
	v_mov_b32_e32 v6, 0xc0
	v_mad_u64_u32 v[6:7], s[12:13], s26, v6, v[4:5]
	s_mul_i32 s12, s27, 0xc0
	v_add_u32_e32 v7, s12, v7
	flat_load_dwordx2 v[6:7], v[6:7]
	s_waitcnt vmcnt(0) lgkmcnt(0)
	ds_write_b64 v9, v[6:7] offset:6336
.LBB44_33:
	s_or_b64 exec, exec, s[8:9]
	v_add_co_u32_e64 v1, s[8:9], v4, v1
	v_addc_co_u32_e64 v4, s[8:9], 0, v5, s[8:9]
	v_mov_b32_e32 v5, s11
	v_subrev_co_u32_e64 v1, s[8:9], s10, v1
	v_subb_co_u32_e64 v4, s[8:9], v4, v5, s[8:9]
	v_add_co_u32_e64 v1, s[8:9], 8, v1
	v_addc_co_u32_e64 v4, s[8:9], 0, v4, s[8:9]
	v_cndmask_b32_e32 v3, v4, v3, vcc
	v_cndmask_b32_e32 v2, v1, v2, vcc
.LBB44_34:
	v_lshlrev_b32_e32 v9, 2, v8
	v_cmp_ge_u32_e64 s[8:9], v9, v0
	s_waitcnt lgkmcnt(0)
	s_barrier
	s_and_saveexec_b64 s[10:11], s[8:9]
	s_xor_b64 s[10:11], exec, s[10:11]
	s_cbranch_execz .LBB44_38
; %bb.35:
	v_cmp_eq_u32_e32 vcc, v9, v0
	s_and_saveexec_b64 s[12:13], vcc
	s_cbranch_execz .LBB44_37
; %bb.36:
	v_mul_u32_u24_e32 v1, 34, v0
	v_lshlrev_b32_e32 v1, 3, v1
	v_mov_b32_e32 v4, 0
	ds_write_b32 v1, v4 offset:4
.LBB44_37:
	s_or_b64 exec, exec, s[12:13]
.LBB44_38:
	s_or_saveexec_b64 s[10:11], s[10:11]
	v_mul_u32_u24_e32 v28, 33, v0
	v_add_lshl_u32 v12, v9, v28, 3
	s_xor_b64 exec, exec, s[10:11]
	s_cbranch_execz .LBB44_40
; %bb.39:
	v_mul_u32_u24_e32 v1, 0x84, v8
	v_add_lshl_u32 v1, v1, v0, 3
	ds_read_b64 v[4:5], v1
	s_waitcnt lgkmcnt(0)
	v_xor_b32_e32 v5, 0x80000000, v5
	ds_write_b64 v12, v[4:5]
.LBB44_40:
	s_or_b64 exec, exec, s[10:11]
	v_or_b32_e32 v10, 1, v9
	v_cmp_ge_u32_e64 s[10:11], v10, v0
	s_and_saveexec_b64 s[12:13], s[10:11]
	s_xor_b64 s[12:13], exec, s[12:13]
	s_cbranch_execz .LBB44_44
; %bb.41:
	v_cmp_eq_u32_e32 vcc, v10, v0
	s_and_saveexec_b64 s[14:15], vcc
	s_cbranch_execz .LBB44_43
; %bb.42:
	v_mul_u32_u24_e32 v1, 34, v0
	v_lshlrev_b32_e32 v1, 3, v1
	v_mov_b32_e32 v4, 0
	ds_write_b32 v1, v4 offset:4
.LBB44_43:
	s_or_b64 exec, exec, s[14:15]
.LBB44_44:
	s_or_saveexec_b64 s[12:13], s[12:13]
	v_mul_u32_u24_e32 v1, 33, v10
	s_xor_b64 exec, exec, s[12:13]
	s_cbranch_execz .LBB44_46
; %bb.45:
	v_add_lshl_u32 v4, v1, v0, 3
	ds_read_b64 v[4:5], v4
	s_waitcnt lgkmcnt(0)
	v_xor_b32_e32 v5, 0x80000000, v5
	ds_write_b64 v12, v[4:5] offset:8
.LBB44_46:
	s_or_b64 exec, exec, s[12:13]
	v_or_b32_e32 v11, 2, v9
	v_cmp_ge_u32_e64 s[12:13], v11, v0
	s_and_saveexec_b64 s[14:15], s[12:13]
	s_xor_b64 s[14:15], exec, s[14:15]
	s_cbranch_execz .LBB44_50
; %bb.47:
	v_cmp_eq_u32_e32 vcc, v11, v0
	s_and_saveexec_b64 s[16:17], vcc
	s_cbranch_execz .LBB44_49
; %bb.48:
	v_mul_u32_u24_e32 v4, 34, v0
	v_lshlrev_b32_e32 v4, 3, v4
	v_mov_b32_e32 v5, 0
	ds_write_b32 v4, v5 offset:4
.LBB44_49:
	s_or_b64 exec, exec, s[16:17]
.LBB44_50:
	s_andn2_saveexec_b64 s[14:15], s[14:15]
	s_cbranch_execz .LBB44_52
; %bb.51:
	v_mul_u32_u24_e32 v4, 33, v11
	v_add_lshl_u32 v4, v4, v0, 3
	ds_read_b64 v[4:5], v4
	s_waitcnt lgkmcnt(0)
	v_xor_b32_e32 v5, 0x80000000, v5
	ds_write_b64 v12, v[4:5] offset:16
.LBB44_52:
	s_or_b64 exec, exec, s[14:15]
	v_or_b32_e32 v13, 3, v9
	v_cmp_ge_u32_e64 s[14:15], v13, v0
	s_and_saveexec_b64 s[16:17], s[14:15]
	s_xor_b64 s[16:17], exec, s[16:17]
	s_cbranch_execz .LBB44_56
; %bb.53:
	v_cmp_eq_u32_e32 vcc, v13, v0
	s_and_saveexec_b64 s[18:19], vcc
	s_cbranch_execz .LBB44_55
; %bb.54:
	v_mul_u32_u24_e32 v4, 34, v0
	v_lshlrev_b32_e32 v4, 3, v4
	v_mov_b32_e32 v5, 0
	ds_write_b32 v4, v5 offset:4
.LBB44_55:
	s_or_b64 exec, exec, s[18:19]
.LBB44_56:
	s_andn2_saveexec_b64 s[16:17], s[16:17]
	s_cbranch_execz .LBB44_58
; %bb.57:
	v_mul_u32_u24_e32 v4, 33, v13
	v_add_lshl_u32 v4, v4, v0, 3
	ds_read_b64 v[4:5], v4
	s_waitcnt lgkmcnt(0)
	v_xor_b32_e32 v5, 0x80000000, v5
	ds_write_b64 v12, v[4:5] offset:24
.LBB44_58:
	s_or_b64 exec, exec, s[16:17]
	v_mul_u32_u24_e32 v4, 0x84, v8
	v_lshlrev_b32_e32 v24, 3, v9
	s_waitcnt lgkmcnt(0)
	s_barrier
	v_add_lshl_u32 v15, v4, v0, 3
	v_add_lshl_u32 v14, v1, v0, 3
	ds_read_b128 v[4:7], v24 offset:9088
	ds_read_b64 v[18:19], v15
	ds_read2_b64 v[30:33], v14 offset1:33
	ds_read_b64 v[38:39], v14 offset:528
	ds_read_b128 v[34:37], v24 offset:9104
	s_mov_b32 s16, 0
	s_waitcnt lgkmcnt(3)
	v_pk_mul_f32 v[40:41], v[4:5], v[18:19] op_sel:[0,1]
	v_pk_fma_f32 v[42:43], v[4:5], v[18:19], v[40:41] op_sel:[0,0,1] op_sel_hi:[1,1,0] neg_lo:[0,0,1] neg_hi:[0,0,1]
	v_pk_fma_f32 v[4:5], v[4:5], v[18:19], v[40:41] op_sel:[0,0,1] op_sel_hi:[1,0,0]
	s_waitcnt lgkmcnt(2)
	v_pk_mul_f32 v[18:19], v[6:7], v[30:31] op_sel:[0,1]
	v_pk_fma_f32 v[40:41], v[6:7], v[30:31], v[18:19] op_sel:[0,0,1] op_sel_hi:[1,1,0] neg_lo:[0,0,1] neg_hi:[0,0,1]
	v_pk_fma_f32 v[6:7], v[6:7], v[30:31], v[18:19] op_sel:[0,0,1] op_sel_hi:[1,0,0]
	v_mov_b32_e32 v43, v5
	v_mov_b32_e32 v41, v7
	s_waitcnt lgkmcnt(0)
	v_pk_mul_f32 v[6:7], v[34:35], v[32:33] op_sel:[0,1]
	v_pk_add_f32 v[4:5], v[42:43], 0 op_sel_hi:[1,0]
	v_pk_fma_f32 v[18:19], v[34:35], v[32:33], v[6:7] op_sel:[0,0,1] op_sel_hi:[1,1,0] neg_lo:[0,0,1] neg_hi:[0,0,1]
	v_pk_fma_f32 v[6:7], v[34:35], v[32:33], v[6:7] op_sel:[0,0,1] op_sel_hi:[1,0,0]
	v_pk_add_f32 v[4:5], v[4:5], v[40:41]
	v_mov_b32_e32 v19, v7
	v_pk_mul_f32 v[6:7], v[36:37], v[38:39] op_sel:[0,1]
	v_pk_add_f32 v[4:5], v[4:5], v[18:19]
	v_pk_fma_f32 v[18:19], v[36:37], v[38:39], v[6:7] op_sel:[0,0,1] op_sel_hi:[1,1,0] neg_lo:[0,0,1] neg_hi:[0,0,1]
	v_pk_fma_f32 v[6:7], v[36:37], v[38:39], v[6:7] op_sel:[0,0,1] op_sel_hi:[1,0,0]
	s_mov_b32 s17, s16
	v_mov_b32_e32 v19, v7
	v_add_lshl_u32 v29, v8, v28, 3
	v_pk_add_f32 v[4:5], v[4:5], v[18:19]
	v_cmp_gt_u32_e64 s[20:21], 32, v27
	v_pk_mov_b32 v[18:19], s[16:17], s[16:17] op_sel:[0,1]
	s_barrier
	ds_write_b64 v29, v[4:5]
	s_waitcnt lgkmcnt(0)
	s_barrier
	s_and_saveexec_b64 s[16:17], s[20:21]
	s_cbranch_execz .LBB44_60
; %bb.59:
	v_lshlrev_b32_e32 v1, 3, v28
	ds_read2_b64 v[4:7], v1 offset1:7
	ds_read2_b64 v[30:33], v1 offset0:1 offset1:2
	ds_read2_b64 v[34:37], v1 offset0:3 offset1:4
	s_waitcnt lgkmcnt(1)
	v_add_f32_e32 v4, v30, v4
	v_add_f32_e32 v5, v31, v5
	;; [unrolled: 1-line block ×4, first 2 shown]
	ds_read2_b64 v[30:33], v1 offset0:5 offset1:6
	s_waitcnt lgkmcnt(1)
	v_add_f32_e32 v1, v4, v34
	v_add_f32_e32 v4, v5, v35
	;; [unrolled: 1-line block ×4, first 2 shown]
	s_waitcnt lgkmcnt(0)
	v_add_f32_e32 v1, v1, v30
	v_add_f32_e32 v5, v4, v31
	;; [unrolled: 1-line block ×4, first 2 shown]
	v_pk_add_f32 v[18:19], v[4:5], v[6:7]
.LBB44_60:
	s_or_b64 exec, exec, s[16:17]
	s_lshl_b64 s[24:25], s[26:27], 8
	v_mov_b32_e32 v1, s25
	v_add_co_u32_e32 v4, vcc, s24, v2
	v_addc_co_u32_e32 v5, vcc, v3, v1, vcc
	v_add_co_u32_e32 v2, vcc, 0x100, v4
	v_cndmask_b32_e64 v1, 0, 1, s[40:41]
	s_mov_b64 s[18:19], vcc
	v_cmp_ne_u32_e64 s[16:17], 1, v1
	s_andn2_b64 vcc, exec, s[40:41]
	v_addc_co_u32_e64 v1, s[18:19], 0, v5, s[18:19]
	s_barrier
	s_cbranch_vccnz .LBB44_62
; %bb.61:
	flat_load_dwordx2 v[6:7], v[4:5] offset:256
	v_mul_u32_u24_e32 v3, 33, v8
	s_lshl_b64 s[18:19], s[26:27], 6
	v_add_lshl_u32 v3, v3, v0, 3
	v_mov_b32_e32 v25, s19
	v_add_co_u32_e32 v30, vcc, s18, v4
	v_addc_co_u32_e32 v31, vcc, v5, v25, vcc
	s_mul_i32 s31, s27, 0xc0
	s_waitcnt vmcnt(0) lgkmcnt(0)
	ds_write_b64 v3, v[6:7]
	flat_load_dwordx2 v[6:7], v[30:31] offset:256
	v_add_co_u32_e32 v30, vcc, s18, v30
	v_addc_co_u32_e32 v31, vcc, v31, v25, vcc
	v_mov_b32_e32 v25, 0xc0
	v_mad_u64_u32 v[4:5], s[18:19], s26, v25, v[4:5]
	v_add_u32_e32 v5, s31, v5
	s_waitcnt vmcnt(0) lgkmcnt(0)
	ds_write_b64 v3, v[6:7] offset:2112
	flat_load_dwordx2 v[6:7], v[30:31] offset:256
	s_waitcnt vmcnt(0) lgkmcnt(0)
	ds_write_b64 v3, v[6:7] offset:4224
	flat_load_dwordx2 v[4:5], v[4:5] offset:256
	s_waitcnt vmcnt(0) lgkmcnt(0)
	ds_write_b64 v3, v[4:5] offset:6336
	s_cbranch_execz .LBB44_63
	s_branch .LBB44_78
.LBB44_62:
.LBB44_63:
	v_or_b32_e32 v3, 32, v0
	v_lshlrev_b32_e32 v4, 3, v3
	v_sub_co_u32_e32 v4, vcc, v2, v4
	s_ashr_i32 s31, s30, 31
	v_subbrev_co_u32_e32 v5, vcc, 0, v1, vcc
	s_lshl_b64 s[40:41], s[30:31], 3
	v_mov_b32_e32 v6, s41
	v_add_co_u32_e32 v4, vcc, s40, v4
	v_addc_co_u32_e32 v5, vcc, v5, v6, vcc
	v_add_co_u32_e32 v4, vcc, -8, v4
	v_addc_co_u32_e32 v5, vcc, -1, v5, vcc
	v_cmp_gt_i32_e64 s[18:19], s30, v3
	s_sub_i32 s31, s30, 32
	v_mov_b32_e32 v6, 0
	v_cndmask_b32_e64 v5, v5, v1, s[18:19]
	v_cndmask_b32_e64 v4, v4, v2, s[18:19]
	v_cmp_gt_i32_e32 vcc, s31, v8
	v_mov_b32_e32 v7, v6
	s_and_saveexec_b64 s[42:43], vcc
	s_cbranch_execz .LBB44_65
; %bb.64:
	flat_load_dwordx2 v[6:7], v[4:5]
.LBB44_65:
	s_or_b64 exec, exec, s[42:43]
	v_mul_u32_u24_e32 v3, 33, v8
	v_add_lshl_u32 v3, v3, v0, 3
	s_waitcnt vmcnt(0) lgkmcnt(0)
	ds_write_b64 v3, v[6:7]
	v_add_u32_e32 v6, 8, v8
	v_cmp_le_i32_e32 vcc, s31, v6
	s_and_saveexec_b64 s[42:43], vcc
	s_xor_b64 s[42:43], exec, s[42:43]
	s_cbranch_execz .LBB44_67
; %bb.66:
	v_mul_u32_u24_e32 v6, 33, v6
	v_add_lshl_u32 v25, v6, v0, 3
	v_mov_b32_e32 v6, 0
	v_mov_b32_e32 v7, v6
	ds_write_b64 v25, v[6:7]
.LBB44_67:
	s_andn2_saveexec_b64 s[42:43], s[42:43]
	s_cbranch_execz .LBB44_69
; %bb.68:
	s_lshl_b64 s[44:45], s[26:27], 6
	v_mov_b32_e32 v7, s45
	v_add_co_u32_e32 v6, vcc, s44, v4
	v_addc_co_u32_e32 v7, vcc, v5, v7, vcc
	flat_load_dwordx2 v[6:7], v[6:7]
	s_waitcnt vmcnt(0) lgkmcnt(0)
	ds_write_b64 v3, v[6:7] offset:2112
.LBB44_69:
	s_or_b64 exec, exec, s[42:43]
	v_add_u32_e32 v6, 16, v8
	v_cmp_le_i32_e32 vcc, s31, v6
	s_and_saveexec_b64 s[42:43], vcc
	s_xor_b64 s[42:43], exec, s[42:43]
	s_cbranch_execz .LBB44_71
; %bb.70:
	v_mov_b32_e32 v6, 0
	v_mov_b32_e32 v7, v6
	ds_write_b64 v3, v[6:7] offset:4224
.LBB44_71:
	s_andn2_saveexec_b64 s[42:43], s[42:43]
	s_cbranch_execz .LBB44_73
; %bb.72:
	s_lshl_b64 s[44:45], s[26:27], 7
	v_mov_b32_e32 v7, s45
	v_add_co_u32_e32 v6, vcc, s44, v4
	v_addc_co_u32_e32 v7, vcc, v5, v7, vcc
	flat_load_dwordx2 v[6:7], v[6:7]
	s_waitcnt vmcnt(0) lgkmcnt(0)
	ds_write_b64 v3, v[6:7] offset:4224
.LBB44_73:
	s_or_b64 exec, exec, s[42:43]
	v_add_u32_e32 v6, 24, v8
	v_cmp_le_i32_e32 vcc, s31, v6
	s_and_saveexec_b64 s[42:43], vcc
	s_xor_b64 s[42:43], exec, s[42:43]
	s_cbranch_execz .LBB44_75
; %bb.74:
	v_mov_b32_e32 v6, 0
	v_mov_b32_e32 v7, v6
	ds_write_b64 v3, v[6:7] offset:6336
                                        ; implicit-def: $vgpr3
.LBB44_75:
	s_andn2_saveexec_b64 s[42:43], s[42:43]
	s_cbranch_execz .LBB44_77
; %bb.76:
	v_mov_b32_e32 v6, 0xc0
	v_mad_u64_u32 v[6:7], s[44:45], s26, v6, v[4:5]
	s_mul_i32 s31, s27, 0xc0
	v_add_u32_e32 v7, s31, v7
	flat_load_dwordx2 v[6:7], v[6:7]
	s_waitcnt vmcnt(0) lgkmcnt(0)
	ds_write_b64 v3, v[6:7] offset:6336
.LBB44_77:
	s_or_b64 exec, exec, s[42:43]
	v_lshlrev_b32_e32 v3, 3, v0
	v_add_co_u32_e32 v3, vcc, v4, v3
	v_addc_co_u32_e32 v4, vcc, 0, v5, vcc
	v_mov_b32_e32 v5, s41
	v_subrev_co_u32_e32 v3, vcc, s40, v3
	v_subb_co_u32_e32 v4, vcc, v4, v5, vcc
	v_add_co_u32_e32 v3, vcc, 0x108, v3
	v_addc_co_u32_e32 v4, vcc, 0, v4, vcc
	v_cndmask_b32_e64 v1, v4, v1, s[18:19]
	v_cndmask_b32_e64 v2, v3, v2, s[18:19]
.LBB44_78:
	v_add_u32_e32 v6, 0x2380, v24
	s_lshl_b64 s[18:19], s[26:27], 5
	s_waitcnt lgkmcnt(0)
	s_barrier
	s_and_saveexec_b64 s[40:41], s[8:9]
	s_xor_b64 s[8:9], exec, s[40:41]
	s_cbranch_execnz .LBB44_91
; %bb.79:
	s_andn2_saveexec_b64 s[8:9], s[8:9]
	s_cbranch_execnz .LBB44_94
.LBB44_80:
	s_or_b64 exec, exec, s[8:9]
	s_and_saveexec_b64 s[8:9], s[10:11]
	s_xor_b64 s[8:9], exec, s[8:9]
	s_cbranch_execnz .LBB44_95
.LBB44_81:
	s_andn2_saveexec_b64 s[8:9], s[8:9]
	s_cbranch_execnz .LBB44_98
.LBB44_82:
	s_or_b64 exec, exec, s[8:9]
	s_and_saveexec_b64 s[8:9], s[12:13]
	s_xor_b64 s[8:9], exec, s[8:9]
	s_cbranch_execnz .LBB44_99
.LBB44_83:
	s_andn2_saveexec_b64 s[8:9], s[8:9]
	s_cbranch_execnz .LBB44_102
.LBB44_84:
	s_or_b64 exec, exec, s[8:9]
	s_and_saveexec_b64 s[8:9], s[14:15]
	s_xor_b64 s[8:9], exec, s[8:9]
	s_cbranch_execnz .LBB44_103
.LBB44_85:
	s_andn2_saveexec_b64 s[8:9], s[8:9]
	s_cbranch_execz .LBB44_87
.LBB44_86:
	ds_read_b64 v[4:5], v14 offset:528
	s_waitcnt lgkmcnt(0)
	v_xor_b32_e32 v5, 0x80000000, v5
	ds_write_b64 v12, v[4:5] offset:24
.LBB44_87:
	s_or_b64 exec, exec, s[8:9]
	s_waitcnt lgkmcnt(0)
	s_barrier
	ds_read_b64 v[4:5], v15
	ds_read_b128 v[30:33], v6 offset:256
	ds_read2_b64 v[34:37], v14 offset1:33
	ds_read_b64 v[10:11], v14 offset:528
	ds_read_b128 v[38:41], v6 offset:272
	v_cmp_eq_u32_e64 s[8:9], 1, v8
	s_waitcnt lgkmcnt(3)
	v_pk_mul_f32 v[14:15], v[30:31], v[4:5] op_sel:[0,1]
	v_pk_fma_f32 v[24:25], v[30:31], v[4:5], v[14:15] op_sel:[0,0,1] op_sel_hi:[1,1,0] neg_lo:[0,0,1] neg_hi:[0,0,1]
	v_pk_fma_f32 v[4:5], v[30:31], v[4:5], v[14:15] op_sel:[0,0,1] op_sel_hi:[1,0,0]
	v_mov_b32_e32 v25, v5
	s_waitcnt lgkmcnt(2)
	v_pk_mul_f32 v[14:15], v[32:33], v[34:35] op_sel:[0,1]
	v_pk_add_f32 v[4:5], v[24:25], 0 op_sel_hi:[1,0]
	v_pk_fma_f32 v[24:25], v[32:33], v[34:35], v[14:15] op_sel:[0,0,1] op_sel_hi:[1,1,0] neg_lo:[0,0,1] neg_hi:[0,0,1]
	v_pk_fma_f32 v[14:15], v[32:33], v[34:35], v[14:15] op_sel:[0,0,1] op_sel_hi:[1,0,0]
	v_mov_b32_e32 v25, v15
	s_waitcnt lgkmcnt(0)
	v_pk_mul_f32 v[14:15], v[38:39], v[36:37] op_sel:[0,1]
	v_pk_add_f32 v[4:5], v[4:5], v[24:25]
	v_pk_fma_f32 v[24:25], v[38:39], v[36:37], v[14:15] op_sel:[0,0,1] op_sel_hi:[1,1,0] neg_lo:[0,0,1] neg_hi:[0,0,1]
	v_pk_fma_f32 v[14:15], v[38:39], v[36:37], v[14:15] op_sel:[0,0,1] op_sel_hi:[1,0,0]
	v_mov_b32_e32 v25, v15
	v_pk_mul_f32 v[14:15], v[40:41], v[10:11] op_sel:[0,1]
	v_pk_add_f32 v[4:5], v[4:5], v[24:25]
	v_pk_fma_f32 v[24:25], v[40:41], v[10:11], v[14:15] op_sel:[0,0,1] op_sel_hi:[1,1,0] neg_lo:[0,0,1] neg_hi:[0,0,1]
	v_pk_fma_f32 v[10:11], v[40:41], v[10:11], v[14:15] op_sel:[0,0,1] op_sel_hi:[1,0,0]
	v_mov_b32_e32 v25, v11
	v_pk_add_f32 v[4:5], v[4:5], v[24:25]
	s_barrier
	ds_write_b64 v29, v[4:5]
	s_waitcnt lgkmcnt(0)
	s_barrier
	s_and_saveexec_b64 s[10:11], s[8:9]
	s_cbranch_execz .LBB44_89
; %bb.88:
	v_lshlrev_b32_e32 v3, 3, v28
	ds_read2_b64 v[30:33], v3 offset1:7
	ds_read2_b64 v[34:37], v3 offset0:1 offset1:2
	ds_read2_b64 v[38:41], v3 offset0:3 offset1:4
	s_waitcnt lgkmcnt(1)
	v_add_f32_e32 v4, v34, v30
	v_add_f32_e32 v5, v35, v31
	;; [unrolled: 1-line block ×4, first 2 shown]
	ds_read2_b64 v[34:37], v3 offset0:5 offset1:6
	s_waitcnt lgkmcnt(1)
	v_add_f32_e32 v3, v4, v38
	v_add_f32_e32 v4, v5, v39
	;; [unrolled: 1-line block ×4, first 2 shown]
	s_waitcnt lgkmcnt(0)
	v_add_f32_e32 v4, v3, v34
	v_add_f32_e32 v5, v5, v35
	v_pk_add_f32 v[4:5], v[4:5], v[36:37]
	v_pk_add_f32 v[18:19], v[4:5], v[32:33]
.LBB44_89:
	s_or_b64 exec, exec, s[10:11]
	s_lshl_b64 s[10:11], s[18:19], 3
	v_mov_b32_e32 v3, s11
	v_subrev_co_u32_e64 v24, s[10:11], s10, v2
	s_and_b64 vcc, exec, s[16:17]
	v_subb_co_u32_e64 v25, s[10:11], v1, v3, s[10:11]
	s_barrier
	s_cbranch_vccnz .LBB44_106
; %bb.90:
	flat_load_dwordx2 v[2:3], v[24:25]
	v_mad_u32_u24 v1, v8, 33, v0
	s_lshl_b64 s[10:11], s[26:27], 6
	v_lshlrev_b32_e32 v13, 3, v1
	v_mov_b32_e32 v7, s11
	v_add_co_u32_e32 v4, vcc, s10, v24
	v_addc_co_u32_e32 v5, vcc, v25, v7, vcc
	s_mul_i32 s12, s27, 0xc0
	v_add_u32_e32 v9, 0x318, v1
	s_waitcnt vmcnt(0) lgkmcnt(0)
	ds_write_b64 v13, v[2:3]
	flat_load_dwordx2 v[2:3], v[4:5]
	v_add_co_u32_e32 v4, vcc, s10, v4
	v_addc_co_u32_e32 v5, vcc, v5, v7, vcc
	v_add_u32_e32 v7, 24, v8
	s_waitcnt vmcnt(0) lgkmcnt(0)
	ds_write_b64 v13, v[2:3] offset:2112
	flat_load_dwordx2 v[2:3], v[4:5]
	v_mov_b32_e32 v4, 0xc0
	v_mad_u64_u32 v[4:5], s[10:11], s26, v4, v[24:25]
	v_add_u32_e32 v5, s12, v5
	s_waitcnt vmcnt(0) lgkmcnt(0)
	ds_write_b64 v13, v[2:3] offset:4224
	flat_load_dwordx2 v[10:11], v[4:5]
	v_add_u32_e32 v4, 8, v8
	v_add_u32_e32 v5, 16, v8
	;; [unrolled: 1-line block ×4, first 2 shown]
	s_waitcnt vmcnt(0) lgkmcnt(0)
	ds_write_b64 v13, v[10:11] offset:6336
	s_cbranch_execz .LBB44_107
	s_branch .LBB44_122
.LBB44_91:
	v_cmp_eq_u32_e32 vcc, v9, v0
	s_and_saveexec_b64 s[40:41], vcc
	s_cbranch_execz .LBB44_93
; %bb.92:
	v_mul_u32_u24_e32 v3, 34, v0
	v_lshlrev_b32_e32 v3, 3, v3
	v_mov_b32_e32 v4, 0
	ds_write_b32 v3, v4 offset:4
.LBB44_93:
	s_or_b64 exec, exec, s[40:41]
	s_andn2_saveexec_b64 s[8:9], s[8:9]
	s_cbranch_execz .LBB44_80
.LBB44_94:
	ds_read_b64 v[4:5], v15
	s_waitcnt lgkmcnt(0)
	v_xor_b32_e32 v5, 0x80000000, v5
	ds_write_b64 v12, v[4:5]
	s_or_b64 exec, exec, s[8:9]
	s_and_saveexec_b64 s[8:9], s[10:11]
	s_xor_b64 s[8:9], exec, s[8:9]
	s_cbranch_execz .LBB44_81
.LBB44_95:
	v_cmp_eq_u32_e32 vcc, v10, v0
	s_and_saveexec_b64 s[10:11], vcc
	s_cbranch_execz .LBB44_97
; %bb.96:
	v_mul_u32_u24_e32 v3, 34, v0
	v_lshlrev_b32_e32 v3, 3, v3
	v_mov_b32_e32 v4, 0
	ds_write_b32 v3, v4 offset:4
.LBB44_97:
	s_or_b64 exec, exec, s[10:11]
	s_andn2_saveexec_b64 s[8:9], s[8:9]
	s_cbranch_execz .LBB44_82
.LBB44_98:
	ds_read_b64 v[4:5], v14
	s_waitcnt lgkmcnt(0)
	v_xor_b32_e32 v5, 0x80000000, v5
	ds_write_b64 v12, v[4:5] offset:8
	s_or_b64 exec, exec, s[8:9]
	s_and_saveexec_b64 s[8:9], s[12:13]
	s_xor_b64 s[8:9], exec, s[8:9]
	s_cbranch_execz .LBB44_83
.LBB44_99:
	v_cmp_eq_u32_e32 vcc, v11, v0
	s_and_saveexec_b64 s[10:11], vcc
	s_cbranch_execz .LBB44_101
; %bb.100:
	v_mul_u32_u24_e32 v3, 34, v0
	v_lshlrev_b32_e32 v3, 3, v3
	v_mov_b32_e32 v4, 0
	ds_write_b32 v3, v4 offset:4
.LBB44_101:
	s_or_b64 exec, exec, s[10:11]
	s_andn2_saveexec_b64 s[8:9], s[8:9]
	s_cbranch_execz .LBB44_84
.LBB44_102:
	ds_read_b64 v[4:5], v14 offset:264
	s_waitcnt lgkmcnt(0)
	v_xor_b32_e32 v5, 0x80000000, v5
	ds_write_b64 v12, v[4:5] offset:16
	s_or_b64 exec, exec, s[8:9]
	s_and_saveexec_b64 s[8:9], s[14:15]
	s_xor_b64 s[8:9], exec, s[8:9]
	s_cbranch_execz .LBB44_85
.LBB44_103:
	v_cmp_eq_u32_e32 vcc, v13, v0
	s_and_saveexec_b64 s[10:11], vcc
	s_cbranch_execz .LBB44_105
; %bb.104:
	v_mul_u32_u24_e32 v3, 34, v0
	v_lshlrev_b32_e32 v3, 3, v3
	v_mov_b32_e32 v4, 0
	ds_write_b32 v3, v4 offset:4
.LBB44_105:
	s_or_b64 exec, exec, s[10:11]
	s_andn2_saveexec_b64 s[8:9], s[8:9]
	s_cbranch_execnz .LBB44_86
	s_branch .LBB44_87
.LBB44_106:
                                        ; implicit-def: $vgpr1
                                        ; implicit-def: $vgpr4
                                        ; implicit-def: $vgpr2
                                        ; implicit-def: $vgpr5
                                        ; implicit-def: $vgpr3
                                        ; implicit-def: $vgpr7
                                        ; implicit-def: $vgpr9
.LBB44_107:
	v_or_b32_e32 v1, 32, v0
	v_lshlrev_b32_e32 v2, 3, v1
	v_sub_co_u32_e32 v2, vcc, v24, v2
	s_ashr_i32 s31, s30, 31
	v_subbrev_co_u32_e32 v3, vcc, 0, v25, vcc
	s_lshl_b64 s[12:13], s[30:31], 3
	v_mov_b32_e32 v4, s13
	v_add_co_u32_e32 v2, vcc, s12, v2
	v_addc_co_u32_e32 v3, vcc, v3, v4, vcc
	v_add_co_u32_e32 v2, vcc, -8, v2
	v_addc_co_u32_e32 v3, vcc, -1, v3, vcc
	v_cmp_gt_i32_e64 s[10:11], s30, v1
	v_mov_b32_e32 v4, 0
	v_cndmask_b32_e64 v3, v3, v25, s[10:11]
	v_cndmask_b32_e64 v2, v2, v24, s[10:11]
	v_cmp_gt_i32_e32 vcc, s30, v8
	v_mov_b32_e32 v5, v4
	s_and_saveexec_b64 s[14:15], vcc
	s_cbranch_execz .LBB44_109
; %bb.108:
	flat_load_dwordx2 v[4:5], v[2:3]
.LBB44_109:
	s_or_b64 exec, exec, s[14:15]
	v_mad_u32_u24 v1, v8, 33, v0
	v_lshlrev_b32_e32 v10, 3, v1
	s_waitcnt vmcnt(0) lgkmcnt(0)
	ds_write_b64 v10, v[4:5]
	v_add_u32_e32 v4, 8, v8
	v_cmp_le_i32_e32 vcc, s30, v4
	s_and_saveexec_b64 s[14:15], vcc
	s_xor_b64 s[14:15], exec, s[14:15]
	s_cbranch_execz .LBB44_111
; %bb.110:
	v_mul_u32_u24_e32 v5, 33, v4
	v_mov_b32_e32 v14, 0
	v_add_lshl_u32 v5, v5, v0, 3
	v_mov_b32_e32 v15, v14
	ds_write_b64 v5, v[14:15]
.LBB44_111:
	s_andn2_saveexec_b64 s[14:15], s[14:15]
	s_cbranch_execz .LBB44_113
; %bb.112:
	s_lshl_b64 s[16:17], s[26:27], 6
	v_mov_b32_e32 v5, s17
	v_add_co_u32_e32 v14, vcc, s16, v2
	v_addc_co_u32_e32 v15, vcc, v3, v5, vcc
	flat_load_dwordx2 v[14:15], v[14:15]
	s_waitcnt vmcnt(0) lgkmcnt(0)
	ds_write_b64 v10, v[14:15] offset:2112
.LBB44_113:
	s_or_b64 exec, exec, s[14:15]
	v_add_u32_e32 v5, 16, v8
	v_cmp_le_i32_e32 vcc, s30, v5
	s_and_saveexec_b64 s[14:15], vcc
	s_xor_b64 s[14:15], exec, s[14:15]
	s_cbranch_execz .LBB44_115
; %bb.114:
	v_mul_u32_u24_e32 v7, 33, v5
	v_mov_b32_e32 v14, 0
	v_add_lshl_u32 v7, v7, v0, 3
	v_mov_b32_e32 v15, v14
	ds_write_b64 v7, v[14:15]
.LBB44_115:
	s_andn2_saveexec_b64 s[14:15], s[14:15]
	s_cbranch_execz .LBB44_117
; %bb.116:
	s_lshl_b64 s[16:17], s[26:27], 7
	v_mov_b32_e32 v7, s17
	v_add_co_u32_e32 v14, vcc, s16, v2
	v_addc_co_u32_e32 v15, vcc, v3, v7, vcc
	flat_load_dwordx2 v[14:15], v[14:15]
	s_waitcnt vmcnt(0) lgkmcnt(0)
	ds_write_b64 v10, v[14:15] offset:4224
.LBB44_117:
	s_or_b64 exec, exec, s[14:15]
	v_add_u32_e32 v7, 24, v8
	v_cmp_le_i32_e32 vcc, s30, v7
                                        ; implicit-def: $vgpr9
	s_and_saveexec_b64 s[14:15], vcc
	s_xor_b64 s[14:15], exec, s[14:15]
	s_cbranch_execz .LBB44_119
; %bb.118:
	v_mov_b32_e32 v14, 0
	v_add_u32_e32 v9, 0x318, v1
	v_mov_b32_e32 v15, v14
	ds_write_b64 v10, v[14:15] offset:6336
                                        ; implicit-def: $vgpr10
.LBB44_119:
	s_andn2_saveexec_b64 s[14:15], s[14:15]
	s_cbranch_execz .LBB44_121
; %bb.120:
	v_mov_b32_e32 v9, 0xc0
	v_mad_u64_u32 v[14:15], s[16:17], s26, v9, v[2:3]
	s_mul_i32 s16, s27, 0xc0
	v_add_u32_e32 v15, s16, v15
	flat_load_dwordx2 v[14:15], v[14:15]
	v_add_u32_e32 v9, 0x318, v1
	s_waitcnt vmcnt(0) lgkmcnt(0)
	ds_write_b64 v10, v[14:15] offset:6336
.LBB44_121:
	s_or_b64 exec, exec, s[14:15]
	v_lshlrev_b32_e32 v0, 3, v0
	v_add_co_u32_e32 v0, vcc, v2, v0
	v_addc_co_u32_e32 v2, vcc, 0, v3, vcc
	v_mov_b32_e32 v3, s13
	v_subrev_co_u32_e32 v0, vcc, s12, v0
	v_subb_co_u32_e32 v2, vcc, v2, v3, vcc
	v_add_co_u32_e32 v0, vcc, 0x108, v0
	v_addc_co_u32_e32 v2, vcc, 0, v2, vcc
	v_cndmask_b32_e64 v25, v2, v25, s[10:11]
	v_cndmask_b32_e64 v24, v0, v24, s[10:11]
	v_add_u32_e32 v2, 0x108, v1
	v_add_u32_e32 v3, 0x210, v1
.LBB44_122:
	v_lshlrev_b32_e32 v0, 3, v1
	s_waitcnt lgkmcnt(0)
	s_barrier
	ds_read_b64 v[30:31], v0
	v_lshlrev_b32_e32 v13, 3, v8
	v_lshlrev_b32_e32 v14, 3, v2
	;; [unrolled: 1-line block ×7, first 2 shown]
	ds_read_b64 v[32:33], v0
	ds_read2_b64 v[8:11], v12 offset1:1
	ds_read2_b64 v[0:3], v12 offset0:2 offset1:3
	ds_read_b64 v[34:35], v4 offset:9088
	ds_read_b64 v[36:37], v14
	ds_read_b64 v[38:39], v13 offset:9088
	ds_read_b128 v[12:15], v6 offset:256
	ds_read_b128 v[4:7], v6 offset:272
	ds_read_b64 v[40:41], v40 offset:9088
	ds_read_b64 v[42:43], v42
	ds_read_b64 v[44:45], v44 offset:9088
	s_waitcnt lgkmcnt(5)
	v_pk_mul_f32 v[46:47], v[38:39], v[30:31] op_sel:[0,1]
	v_pk_fma_f32 v[48:49], v[38:39], v[30:31], v[46:47] op_sel:[0,0,1] op_sel_hi:[1,1,0] neg_lo:[0,0,1] neg_hi:[0,0,1]
	v_pk_fma_f32 v[30:31], v[38:39], v[30:31], v[46:47] op_sel:[0,0,1] op_sel_hi:[1,0,0]
	v_pk_mul_f32 v[38:39], v[34:35], v[36:37] op_sel:[0,1]
	v_pk_fma_f32 v[46:47], v[34:35], v[36:37], v[38:39] op_sel:[0,0,1] op_sel_hi:[1,1,0] neg_lo:[0,0,1] neg_hi:[0,0,1]
	v_pk_fma_f32 v[34:35], v[34:35], v[36:37], v[38:39] op_sel:[0,0,1] op_sel_hi:[1,0,0]
	v_mov_b32_e32 v47, v35
	s_waitcnt lgkmcnt(0)
	v_pk_mul_f32 v[34:35], v[44:45], v[32:33] op_sel:[0,1]
	v_mov_b32_e32 v49, v31
	v_pk_fma_f32 v[36:37], v[44:45], v[32:33], v[34:35] op_sel:[0,0,1] op_sel_hi:[1,1,0] neg_lo:[0,0,1] neg_hi:[0,0,1]
	v_pk_fma_f32 v[32:33], v[44:45], v[32:33], v[34:35] op_sel:[0,0,1] op_sel_hi:[1,0,0]
	v_pk_add_f32 v[30:31], v[48:49], 0 op_sel_hi:[1,0]
	v_mov_b32_e32 v37, v33
	v_pk_mul_f32 v[32:33], v[40:41], v[42:43] op_sel:[0,1]
	v_pk_add_f32 v[30:31], v[30:31], v[46:47]
	v_pk_fma_f32 v[34:35], v[40:41], v[42:43], v[32:33] op_sel:[0,0,1] op_sel_hi:[1,1,0] neg_lo:[0,0,1] neg_hi:[0,0,1]
	v_pk_fma_f32 v[32:33], v[40:41], v[42:43], v[32:33] op_sel:[0,0,1] op_sel_hi:[1,0,0]
	v_pk_add_f32 v[30:31], v[30:31], v[36:37]
	v_mov_b32_e32 v35, v33
	v_pk_add_f32 v[30:31], v[30:31], v[34:35]
	s_barrier
	ds_write_b64 v29, v[30:31]
	s_waitcnt lgkmcnt(0)
	s_barrier
	s_and_saveexec_b64 s[10:11], s[8:9]
	s_cbranch_execz .LBB44_124
; %bb.123:
	v_lshlrev_b32_e32 v42, 3, v28
	ds_read2_b64 v[30:33], v42 offset1:1
	ds_read2_b64 v[34:37], v42 offset0:2 offset1:3
	ds_read2_b64 v[38:41], v42 offset0:4 offset1:5
	s_waitcnt lgkmcnt(2)
	v_pk_add_f32 v[18:19], v[18:19], v[30:31]
	v_pk_add_f32 v[18:19], v[18:19], v[32:33]
	ds_read2_b64 v[30:33], v42 offset0:6 offset1:7
	s_waitcnt lgkmcnt(2)
	v_pk_add_f32 v[18:19], v[18:19], v[34:35]
	v_pk_add_f32 v[18:19], v[18:19], v[36:37]
	s_waitcnt lgkmcnt(1)
	v_pk_add_f32 v[18:19], v[18:19], v[38:39]
	v_pk_add_f32 v[18:19], v[18:19], v[40:41]
	;; [unrolled: 3-line block ×3, first 2 shown]
.LBB44_124:
	s_or_b64 exec, exec, s[10:11]
	v_pk_mul_f32 v[30:31], v[8:9], v[12:13] op_sel:[1,0]
	v_pk_fma_f32 v[32:33], v[8:9], v[12:13], v[30:31] op_sel:[0,0,1] op_sel_hi:[1,1,0]
	v_pk_fma_f32 v[8:9], v[8:9], v[12:13], v[30:31] op_sel:[0,0,1] op_sel_hi:[0,1,0] neg_lo:[0,0,1] neg_hi:[0,0,1]
	v_mov_b32_e32 v12, v11
	v_pk_mul_f32 v[12:13], v[12:13], v[14:15] op_sel_hi:[0,1]
	v_pk_fma_f32 v[30:31], v[10:11], v[14:15], v[12:13] op_sel:[0,0,1] op_sel_hi:[1,1,0]
	v_pk_fma_f32 v[10:11], v[10:11], v[14:15], v[12:13] op_sel:[0,0,1] op_sel_hi:[0,1,0] neg_lo:[0,0,1] neg_hi:[0,0,1]
	v_mov_b32_e32 v33, v9
	v_mov_b32_e32 v31, v11
	v_pk_mul_f32 v[10:11], v[0:1], v[4:5] op_sel:[1,0]
	v_pk_add_f32 v[8:9], v[32:33], 0 op_sel_hi:[1,0]
	v_pk_fma_f32 v[12:13], v[0:1], v[4:5], v[10:11] op_sel:[0,0,1] op_sel_hi:[1,1,0]
	v_pk_fma_f32 v[0:1], v[0:1], v[4:5], v[10:11] op_sel:[0,0,1] op_sel_hi:[0,1,0] neg_lo:[0,0,1] neg_hi:[0,0,1]
	v_mov_b32_e32 v4, v3
	v_pk_add_f32 v[8:9], v[8:9], v[30:31]
	v_mov_b32_e32 v13, v1
	v_pk_mul_f32 v[4:5], v[4:5], v[6:7] op_sel_hi:[0,1]
	v_pk_add_f32 v[0:1], v[8:9], v[12:13]
	v_pk_fma_f32 v[8:9], v[2:3], v[6:7], v[4:5] op_sel:[0,0,1] op_sel_hi:[1,1,0]
	v_pk_fma_f32 v[2:3], v[2:3], v[6:7], v[4:5] op_sel:[0,0,1] op_sel_hi:[0,1,0] neg_lo:[0,0,1] neg_hi:[0,0,1]
	v_mov_b32_e32 v9, v3
	v_pk_add_f32 v[0:1], v[0:1], v[8:9]
	s_barrier
	ds_write_b64 v29, v[0:1]
	s_waitcnt lgkmcnt(0)
	s_barrier
	s_and_saveexec_b64 s[8:9], s[20:21]
	s_cbranch_execz .LBB44_126
; %bb.125:
	v_lshlrev_b32_e32 v14, 3, v28
	ds_read2_b64 v[0:3], v14 offset1:1
	ds_read2_b64 v[4:7], v14 offset0:2 offset1:3
	ds_read2_b64 v[8:11], v14 offset0:4 offset1:5
	s_waitcnt lgkmcnt(2)
	v_pk_add_f32 v[0:1], v[18:19], v[0:1]
	v_pk_add_f32 v[12:13], v[0:1], v[2:3]
	ds_read2_b64 v[0:3], v14 offset0:6 offset1:7
	s_waitcnt lgkmcnt(2)
	v_pk_add_f32 v[4:5], v[12:13], v[4:5]
	v_pk_add_f32 v[4:5], v[4:5], v[6:7]
	s_waitcnt lgkmcnt(1)
	v_pk_add_f32 v[4:5], v[4:5], v[8:9]
	v_pk_add_f32 v[4:5], v[4:5], v[10:11]
	;; [unrolled: 3-line block ×3, first 2 shown]
.LBB44_126:
	s_or_b64 exec, exec, s[8:9]
	s_load_dwordx2 s[4:5], s[4:5], 0x68
	s_mul_hi_u32 s8, s7, s28
	s_mul_i32 s33, s33, s28
	s_add_i32 s8, s8, s33
	s_mul_i32 s10, s7, s28
	s_mul_i32 s8, s8, s29
	s_mul_hi_u32 s9, s10, s29
	s_add_i32 s9, s9, s8
	s_mul_i32 s8, s10, s29
	s_lshl_b64 s[8:9], s[8:9], 3
	s_waitcnt lgkmcnt(0)
	s_add_u32 s8, s4, s8
	s_mul_i32 s4, s6, s7
	s_addc_u32 s9, s5, s9
	s_ashr_i32 s5, s4, 31
	s_lshl_b64 s[4:5], s[4:5], 3
	s_add_u32 s7, s8, s4
	v_cmp_le_i32_e32 vcc, s30, v26
	s_addc_u32 s20, s9, s5
	s_and_b64 vcc, s[38:39], vcc
	s_cmp_lt_i32 s6, 1
	v_lshlrev_b32_e32 v73, 3, v26
	s_barrier
	s_cbranch_scc1 .LBB44_133
; %bb.127:
	s_mul_i32 s4, s34, s23
	s_mul_hi_u32 s5, s34, s22
	s_add_i32 s4, s5, s4
	s_mul_i32 s5, s35, s22
	s_add_i32 s5, s4, s5
	s_mul_i32 s4, s34, s22
	s_lshl_b64 s[4:5], s[4:5], 3
	v_mov_b32_e32 v0, s5
	v_subrev_co_u32_e64 v74, s[4:5], s4, v20
	v_subb_co_u32_e64 v75, s[4:5], v21, v0, s[4:5]
	v_mov_b32_e32 v0, s37
	v_subrev_co_u32_e64 v1, s[4:5], s36, v24
	v_subb_co_u32_e64 v0, s[4:5], v25, v0, s[4:5]
	v_lshlrev_b32_e32 v3, 2, v72
	v_sub_co_u32_e64 v6, s[4:5], v1, v22
	v_subb_co_u32_e64 v7, s[4:5], v0, v23, s[4:5]
	v_mad_u64_u32 v[0:1], s[4:5], v3, s26, 0
	v_mov_b32_e32 v2, v1
	v_mad_u64_u32 v[2:3], s[4:5], v3, s27, v[2:3]
	v_mov_b32_e32 v1, v2
	v_lshlrev_b64 v[0:1], 3, v[0:1]
	v_add_co_u32_e64 v0, s[4:5], v6, v0
	v_addc_co_u32_e64 v1, s[4:5], v7, v1, s[4:5]
	s_movk_i32 s4, 0xff00
	v_add_co_u32_e64 v0, s[4:5], s4, v0
	v_addc_co_u32_e64 v1, s[4:5], -1, v1, s[4:5]
	s_ashr_i32 s31, s30, 31
	s_lshl_b64 s[4:5], s[30:31], 3
	v_mov_b32_e32 v2, s5
	v_add_co_u32_e64 v3, s[4:5], s4, v0
	v_addc_co_u32_e64 v2, s[4:5], v1, v2, s[4:5]
	v_add_co_u32_e64 v3, s[4:5], -8, v3
	v_addc_co_u32_e64 v2, s[4:5], -1, v2, s[4:5]
	v_add_co_u32_e64 v0, s[4:5], v0, v73
	v_addc_co_u32_e64 v1, s[4:5], 0, v1, s[4:5]
	v_cndmask_b32_e32 v14, v0, v3, vcc
	v_and_b32_e32 v0, 48, v26
	v_and_b32_e32 v4, 15, v26
	v_cndmask_b32_e32 v15, v1, v2, vcc
	v_lshlrev_b32_e32 v1, 3, v0
	s_movk_i32 s8, 0x218
	v_lshrrev_b32_e32 v5, 4, v27
	v_mad_u32_u24 v78, v4, s8, v1
	v_or_b32_e32 v1, 0x78, v73
	v_mad_u32_u24 v79, v4, s8, v1
	v_lshlrev_b32_e32 v1, 5, v5
	v_mad_u32_u24 v80, v4, s8, v1
	v_mov_b32_e32 v1, 0x2180
	v_lshl_add_u32 v81, v72, 5, v1
	s_movk_i32 s9, 0x860
	v_lshlrev_b32_e32 v1, 3, v5
	v_mad_u32_u24 v82, v72, s9, v73
	v_mad_u32_u24 v83, v4, s8, v1
	s_mul_i32 s8, s27, 24
	s_mul_hi_u32 s9, s26, 24
	s_add_i32 s8, s9, s8
	s_mul_i32 s9, s27, 0x90
	s_mul_hi_u32 s16, s26, 0x90
	s_add_i32 s9, s16, s9
	;; [unrolled: 3-line block ×10, first 2 shown]
	s_mul_i32 s16, s27, 0x88
	s_mul_hi_u32 s17, s26, 0x88
	s_lshl_b64 s[10:11], s[26:27], 3
	s_lshl_b64 s[14:15], s[26:27], 4
	s_add_i32 s45, s17, s16
	s_lshl_b64 s[16:17], s[26:27], 7
	v_mov_b32_e32 v13, 0
	v_add_u32_e32 v76, 0x2180, v73
	v_add_u32_e32 v77, 0x2380, v73
	v_cmp_gt_u32_e64 s[4:5], 64, v27
	s_lshl_b64 s[12:13], s[26:27], 9
	s_mul_i32 s21, s26, 24
	s_mul_i32 s28, s26, 0x90
	;; [unrolled: 1-line block ×11, first 2 shown]
	v_or_b32_e32 v84, v0, v4
	s_mov_b32 s26, 0
	v_mov_b32_e32 v85, s11
	v_mov_b32_e32 v86, s15
	;; [unrolled: 1-line block ×15, first 2 shown]
	s_branch .LBB44_129
.LBB44_128:                             ;   in Loop: Header=BB44_129 Depth=1
	s_or_b64 exec, exec, s[18:19]
	v_mul_f32_e32 v12, v20, v22
	v_fma_f32 v12, -v21, v23, v12
	v_pk_mul_f32 v[20:21], v[20:21], v[22:23] op_sel:[1,0] op_sel_hi:[0,1]
	v_add_f32_e32 v12, v18, v12
	v_add_f32_e32 v18, v20, v21
	;; [unrolled: 1-line block ×3, first 2 shown]
	v_mul_f32_e32 v18, v24, v26
	v_fma_f32 v18, -v25, v27, v18
	v_add_f32_e32 v12, v12, v18
	v_pk_mul_f32 v[18:19], v[24:25], v[26:27] op_sel:[1,0] op_sel_hi:[0,1]
	v_add_f32_e32 v18, v18, v19
	v_add_f32_e32 v20, v20, v18
	v_mul_f32_e32 v18, v28, v30
	v_fma_f32 v18, -v29, v31, v18
	v_add_f32_e32 v12, v12, v18
	v_pk_mul_f32 v[18:19], v[28:29], v[30:31] op_sel:[1,0] op_sel_hi:[0,1]
	v_add_f32_e32 v18, v18, v19
	v_add_f32_e32 v20, v20, v18
	;; [unrolled: 6-line block ×4, first 2 shown]
	v_mul_f32_e32 v18, v40, v42
	v_fma_f32 v18, -v41, v43, v18
	v_pk_mul_f32 v[20:21], v[40:41], v[42:43] op_sel:[1,0] op_sel_hi:[0,1]
	v_add_f32_e32 v18, v12, v18
	v_add_f32_e32 v12, v20, v21
	;; [unrolled: 1-line block ×3, first 2 shown]
	v_mov_b32_e32 v12, v47
	v_pk_mul_f32 v[20:21], v[44:45], v[12:13] op_sel:[1,0] op_sel_hi:[0,1]
	v_pk_fma_f32 v[20:21], v[44:45], v[46:47], v[20:21] neg_lo:[0,0,1] neg_hi:[0,0,1]
	v_pk_mul_f32 v[22:23], v[44:45], v[46:47] op_sel:[1,0] op_sel_hi:[0,1]
	v_mov_b32_e32 v21, v22
	v_pk_mul_f32 v[26:27], v[48:49], v[50:51] op_sel:[1,0] op_sel_hi:[0,1]
	v_pk_fma_f32 v[22:23], v[44:45], v[46:47], v[20:21] op_sel:[1,0,0] op_sel_hi:[0,1,1]
	v_mov_b32_e32 v12, v51
	v_mov_b32_e32 v21, v26
	v_pk_mul_f32 v[24:25], v[48:49], v[12:13] op_sel:[1,0] op_sel_hi:[0,1]
	v_pk_fma_f32 v[26:27], v[48:49], v[50:51], v[20:21] op_sel:[1,0,0] op_sel_hi:[0,1,1]
	v_mov_b32_e32 v21, v23
	v_pk_fma_f32 v[24:25], v[48:49], v[50:51], v[24:25] neg_lo:[0,0,1] neg_hi:[0,0,1]
	v_pk_add_f32 v[18:19], v[18:19], v[20:21]
	v_pk_mul_f32 v[20:21], v[52:53], v[58:59] op_sel:[1,1] op_sel_hi:[0,1]
	v_mov_b32_e32 v25, v27
	v_pk_mul_f32 v[22:23], v[60:61], v[0:1] op_sel:[0,1]
	v_pk_fma_f32 v[28:29], v[52:53], v[58:59], v[20:21] neg_lo:[0,0,1] neg_hi:[0,0,1]
	v_pk_fma_f32 v[20:21], v[52:53], v[58:59], v[20:21] op_sel_hi:[1,0,1]
	v_pk_add_f32 v[18:19], v[18:19], v[24:25]
	v_mov_b32_e32 v12, v3
	v_mov_b32_e32 v29, v21
	v_pk_fma_f32 v[20:21], v[60:61], v[0:1], v[22:23] op_sel:[0,0,1] op_sel_hi:[1,1,0] neg_lo:[0,0,1] neg_hi:[0,0,1]
	v_pk_fma_f32 v[0:1], v[60:61], v[0:1], v[22:23] op_sel:[0,0,1] op_sel_hi:[1,0,0]
	v_pk_mul_f32 v[24:25], v[54:55], v[12:13] op_sel_hi:[1,0]
	v_pk_add_f32 v[18:19], v[18:19], v[28:29]
	v_mov_b32_e32 v21, v1
	v_pk_add_f32 v[0:1], v[18:19], v[20:21]
	v_pk_fma_f32 v[18:19], v[54:55], v[2:3], v[24:25] op_sel:[0,0,1] op_sel_hi:[1,1,0] neg_lo:[0,0,1] neg_hi:[0,0,1]
	v_pk_fma_f32 v[2:3], v[54:55], v[2:3], v[24:25] op_sel:[0,0,1] op_sel_hi:[1,0,0]
	v_pk_mul_f32 v[26:27], v[56:57], v[62:63] op_sel:[0,1]
	v_mov_b32_e32 v19, v3
	v_pk_add_f32 v[0:1], v[0:1], v[18:19]
	v_pk_fma_f32 v[2:3], v[56:57], v[62:63], v[26:27] op_sel:[0,0,1] op_sel_hi:[1,1,0] neg_lo:[0,0,1] neg_hi:[0,0,1]
	v_pk_fma_f32 v[18:19], v[56:57], v[62:63], v[26:27] op_sel:[0,0,1] op_sel_hi:[1,0,0]
	v_mov_b32_e32 v3, v19
	v_pk_add_f32 v[0:1], v[0:1], v[2:3]
	v_pk_mul_f32 v[2:3], v[70:71], v[4:5] op_sel:[0,1]
	v_pk_mul_f32 v[18:19], v[68:69], v[10:11] op_sel:[0,1]
	v_pk_fma_f32 v[24:25], v[70:71], v[4:5], v[2:3] op_sel:[0,0,1] op_sel_hi:[1,1,0] neg_lo:[0,0,1] neg_hi:[0,0,1]
	v_pk_fma_f32 v[2:3], v[70:71], v[4:5], v[2:3] op_sel:[0,0,1] op_sel_hi:[1,0,0]
	v_pk_mul_f32 v[20:21], v[64:65], v[8:9] op_sel:[0,1]
	v_mov_b32_e32 v25, v3
	v_pk_fma_f32 v[2:3], v[68:69], v[10:11], v[18:19] op_sel:[0,0,1] op_sel_hi:[1,1,0] neg_lo:[0,0,1] neg_hi:[0,0,1]
	v_pk_fma_f32 v[4:5], v[68:69], v[10:11], v[18:19] op_sel:[0,0,1] op_sel_hi:[1,0,0]
	v_pk_mul_f32 v[22:23], v[66:67], v[6:7] op_sel:[0,1]
	v_mov_b32_e32 v3, v5
	v_pk_fma_f32 v[4:5], v[64:65], v[8:9], v[20:21] op_sel:[0,0,1] op_sel_hi:[1,1,0] neg_lo:[0,0,1] neg_hi:[0,0,1]
	v_pk_fma_f32 v[8:9], v[64:65], v[8:9], v[20:21] op_sel:[0,0,1] op_sel_hi:[1,0,0]
	v_pk_add_f32 v[0:1], v[0:1], v[24:25]
	v_mov_b32_e32 v5, v9
	v_pk_fma_f32 v[8:9], v[66:67], v[6:7], v[22:23] op_sel:[0,0,1] op_sel_hi:[1,1,0] neg_lo:[0,0,1] neg_hi:[0,0,1]
	v_pk_fma_f32 v[6:7], v[66:67], v[6:7], v[22:23] op_sel:[0,0,1] op_sel_hi:[1,0,0]
	v_pk_add_f32 v[0:1], v[0:1], v[2:3]
	v_mov_b32_e32 v9, v7
	v_pk_add_f32 v[0:1], v[0:1], v[4:5]
	v_pk_add_f32 v[18:19], v[0:1], v[8:9]
	v_mov_b32_e32 v0, s13
	s_add_i32 s26, s26, 64
	s_add_i32 s6, s6, -1
	v_add_co_u32_e64 v14, s[8:9], s12, v14
	s_cmp_eq_u32 s6, 0
	v_addc_co_u32_e64 v15, s[8:9], v15, v0, s[8:9]
	s_barrier
	s_cbranch_scc1 .LBB44_133
.LBB44_129:                             ; =>This Inner Loop Header: Depth=1
	s_and_saveexec_b64 s[18:19], s[2:3]
	s_cbranch_execz .LBB44_131
; %bb.130:                              ;   in Loop: Header=BB44_129 Depth=1
	s_mul_i32 s8, s26, s23
	s_mul_hi_u32 s9, s26, s22
	s_add_i32 s9, s9, s8
	s_mul_i32 s8, s26, s22
	s_lshl_b64 s[8:9], s[8:9], 3
	v_mov_b32_e32 v1, s9
	v_add_co_u32_e64 v0, s[8:9], s8, v74
	v_addc_co_u32_e64 v1, s[8:9], v75, v1, s[8:9]
	flat_load_dwordx2 v[0:1], v[0:1]
	s_waitcnt vmcnt(0) lgkmcnt(0)
	ds_write_b64 v76, v[0:1]
.LBB44_131:                             ;   in Loop: Header=BB44_129 Depth=1
	s_or_b64 exec, exec, s[18:19]
	s_waitcnt lgkmcnt(0)
	s_barrier
	flat_load_dwordx2 v[20:21], v[14:15]
	ds_read_b64 v[0:1], v77
	ds_read_b64 v[22:23], v81
	v_add_co_u32_e64 v2, s[8:9], s10, v14
	v_addc_co_u32_e64 v3, s[8:9], v15, v85, s[8:9]
	s_waitcnt vmcnt(0) lgkmcnt(0)
	v_mul_f32_e32 v4, v21, v1
	v_mul_f32_e32 v5, v21, v0
	v_fmac_f32_e32 v4, v20, v0
	v_fma_f32 v5, v20, v1, -v5
	ds_write_b64 v82, v[4:5]
	flat_load_dwordx2 v[24:25], v[2:3]
	v_add_co_u32_e64 v2, s[8:9], s14, v14
	v_addc_co_u32_e64 v3, s[8:9], v15, v86, s[8:9]
	ds_read_b64 v[26:27], v81 offset:8
	s_waitcnt vmcnt(0) lgkmcnt(0)
	v_mul_f32_e32 v4, v25, v1
	v_mul_f32_e32 v5, v25, v0
	v_fmac_f32_e32 v4, v24, v0
	v_fma_f32 v5, v24, v1, -v5
	ds_write_b64 v82, v[4:5] offset:536
	flat_load_dwordx2 v[28:29], v[2:3]
	v_add_co_u32_e64 v2, s[8:9], s21, v14
	v_addc_co_u32_e64 v3, s[8:9], v15, v87, s[8:9]
	ds_read_b64 v[30:31], v81 offset:16
	s_waitcnt vmcnt(0) lgkmcnt(0)
	v_mul_f32_e32 v4, v29, v1
	v_mul_f32_e32 v5, v29, v0
	v_fmac_f32_e32 v4, v28, v0
	v_fma_f32 v5, v28, v1, -v5
	ds_write_b64 v82, v[4:5] offset:1072
	flat_load_dwordx2 v[32:33], v[2:3]
	v_add_co_u32_e64 v2, s[8:9], s16, v14
	v_addc_co_u32_e64 v3, s[8:9], v15, v88, s[8:9]
	ds_read_b64 v[34:35], v81 offset:24
	s_waitcnt vmcnt(0) lgkmcnt(0)
	v_mul_f32_e32 v4, v33, v1
	v_mul_f32_e32 v5, v33, v0
	v_fmac_f32_e32 v4, v32, v0
	v_fma_f32 v5, v32, v1, -v5
	ds_write_b64 v82, v[4:5] offset:1608
	s_waitcnt lgkmcnt(0)
	s_barrier
	ds_read2_b64 v[4:7], v80 offset1:1
	ds_read2_b64 v[8:11], v80 offset0:2 offset1:3
	s_waitcnt lgkmcnt(0)
	s_barrier
	flat_load_dwordx2 v[36:37], v[2:3]
	ds_read_b64 v[0:1], v77
	ds_read_b64 v[38:39], v81 offset:128
	v_add_co_u32_e64 v2, s[8:9], s38, v14
	v_addc_co_u32_e64 v3, s[8:9], v15, v89, s[8:9]
	v_pk_add_f32 v[4:5], v[4:5], 0 op_sel_hi:[1,0]
	v_pk_add_f32 v[4:5], v[4:5], v[6:7]
	v_pk_add_f32 v[4:5], v[4:5], v[8:9]
	s_waitcnt vmcnt(0) lgkmcnt(0)
	v_mul_f32_e32 v40, v37, v1
	v_mul_f32_e32 v12, v37, v0
	v_fmac_f32_e32 v40, v36, v0
	v_fma_f32 v41, v36, v1, -v12
	ds_write_b64 v82, v[40:41]
	flat_load_dwordx2 v[40:41], v[2:3]
	v_add_co_u32_e64 v2, s[8:9], s28, v14
	v_addc_co_u32_e64 v3, s[8:9], v15, v90, s[8:9]
	ds_read_b64 v[42:43], v81 offset:136
	s_waitcnt vmcnt(0) lgkmcnt(0)
	v_mul_f32_e32 v44, v41, v1
	v_mul_f32_e32 v12, v41, v0
	v_fmac_f32_e32 v44, v40, v0
	v_fma_f32 v45, v40, v1, -v12
	ds_write_b64 v82, v[44:45] offset:536
	flat_load_dwordx2 v[44:45], v[2:3]
	v_add_co_u32_e64 v2, s[8:9], s29, v14
	v_addc_co_u32_e64 v3, s[8:9], v15, v91, s[8:9]
	ds_read_b64 v[46:47], v81 offset:144
	s_waitcnt vmcnt(0) lgkmcnt(0)
	v_mul_f32_e32 v48, v45, v1
	v_mul_f32_e32 v12, v45, v0
	v_fmac_f32_e32 v48, v44, v0
	v_fma_f32 v49, v44, v1, -v12
	ds_write_b64 v82, v[48:49] offset:1072
	;; [unrolled: 10-line block ×3, first 2 shown]
	s_waitcnt lgkmcnt(0)
	s_barrier
	ds_read2_b64 v[100:103], v80 offset1:1
	ds_read2_b64 v[104:107], v80 offset0:2 offset1:3
	s_waitcnt lgkmcnt(0)
	s_barrier
	flat_load_dwordx2 v[52:53], v[2:3]
	ds_read_b64 v[64:65], v77
	ds_read_b64 v[58:59], v81 offset:256
	v_add_co_u32_e64 v0, s[8:9], s37, v14
	v_addc_co_u32_e64 v1, s[8:9], v15, v93, s[8:9]
	v_add_co_u32_e64 v2, s[8:9], s30, v14
	v_addc_co_u32_e64 v3, s[8:9], v15, v94, s[8:9]
	s_waitcnt vmcnt(0) lgkmcnt(0)
	v_mul_f32_e32 v54, v53, v65
	v_mul_f32_e32 v12, v53, v64
	v_fmac_f32_e32 v54, v52, v64
	v_fma_f32 v55, v52, v65, -v12
	ds_write_b64 v82, v[54:55]
	flat_load_dwordx2 v[60:61], v[0:1]
	flat_load_dwordx2 v[54:55], v[2:3]
	v_add_co_u32_e64 v0, s[8:9], s31, v14
	v_addc_co_u32_e64 v1, s[8:9], v15, v95, s[8:9]
	flat_load_dwordx2 v[56:57], v[0:1]
	v_add_co_u32_e64 v66, s[8:9], s36, v14
	v_addc_co_u32_e64 v67, s[8:9], v15, v96, s[8:9]
	v_add_co_u32_e64 v116, s[8:9], s35, v14
	v_addc_co_u32_e64 v117, s[8:9], v15, v97, s[8:9]
	;; [unrolled: 2-line block ×3, first 2 shown]
	ds_read_b64 v[62:63], v81 offset:280
	ds_read2_b64 v[0:3], v81 offset0:33 offset1:34
	s_waitcnt vmcnt(0) lgkmcnt(0)
	v_mul_f32_e32 v68, v61, v65
	v_mul_f32_e32 v12, v61, v64
	;; [unrolled: 1-line block ×4, first 2 shown]
	v_fma_f32 v69, v60, v65, -v12
	v_fma_f32 v71, v54, v65, -v71
	v_mul_f32_e32 v109, v57, v64
	v_mul_f32_e32 v108, v57, v65
	v_fmac_f32_e32 v68, v60, v64
	v_fmac_f32_e32 v70, v54, v64
	v_fma_f32 v109, v56, v65, -v109
	v_fmac_f32_e32 v108, v56, v64
	ds_write2_b64 v82, v[68:69], v[70:71] offset0:67 offset1:134
	ds_write_b64 v82, v[108:109] offset:1608
	s_waitcnt lgkmcnt(0)
	s_barrier
	ds_read2_b64 v[108:111], v80 offset1:1
	ds_read2_b64 v[112:115], v80 offset0:2 offset1:3
	s_waitcnt lgkmcnt(0)
	s_barrier
	flat_load_dwordx2 v[70:71], v[66:67]
	flat_load_dwordx2 v[68:69], v[116:117]
	;; [unrolled: 1-line block ×3, first 2 shown]
	v_add_co_u32_e64 v66, s[8:9], s34, v14
	v_addc_co_u32_e64 v67, s[8:9], v15, v99, s[8:9]
	flat_load_dwordx2 v[66:67], v[66:67]
	v_pk_add_f32 v[116:117], v[4:5], v[10:11]
	v_pk_add_f32 v[4:5], v[100:101], 0 op_sel_hi:[1,0]
	v_pk_add_f32 v[4:5], v[4:5], v[102:103]
	v_pk_add_f32 v[4:5], v[4:5], v[104:105]
	v_pk_add_f32 v[118:119], v[4:5], v[106:107]
	ds_read_b64 v[6:7], v77
	ds_read_b64 v[4:5], v81 offset:384
	v_pk_add_f32 v[8:9], v[108:109], 0 op_sel_hi:[1,0]
	v_pk_add_f32 v[8:9], v[8:9], v[110:111]
	v_pk_add_f32 v[8:9], v[8:9], v[112:113]
	;; [unrolled: 1-line block ×3, first 2 shown]
	s_waitcnt vmcnt(0) lgkmcnt(0)
	v_mul_f32_e32 v9, v71, v6
	v_mul_f32_e32 v8, v71, v7
	;; [unrolled: 1-line block ×4, first 2 shown]
	v_fma_f32 v9, v70, v7, -v9
	v_fmac_f32_e32 v8, v70, v6
	v_mul_f32_e32 v11, v65, v6
	v_mul_f32_e32 v102, v65, v7
	v_fma_f32 v101, v68, v7, -v10
	v_fmac_f32_e32 v100, v68, v6
	ds_write_b64 v82, v[8:9]
	v_mul_f32_e32 v12, v67, v6
	v_mul_f32_e32 v104, v67, v7
	v_fma_f32 v103, v64, v7, -v11
	v_fmac_f32_e32 v102, v64, v6
	ds_read_b64 v[10:11], v81 offset:392
	ds_write_b64 v82, v[100:101] offset:536
	v_fma_f32 v105, v66, v7, -v12
	v_fmac_f32_e32 v104, v66, v6
	ds_read_b64 v[8:9], v81 offset:400
	ds_write_b64 v82, v[102:103] offset:1072
	ds_read_b64 v[6:7], v81 offset:408
	ds_write_b64 v82, v[104:105] offset:1608
	s_waitcnt lgkmcnt(0)
	s_barrier
	ds_read2_b64 v[100:103], v80 offset1:1
	ds_read2_b64 v[104:107], v80 offset0:2 offset1:3
	s_waitcnt lgkmcnt(0)
	s_barrier
	v_pk_add_f32 v[100:101], v[100:101], 0 op_sel_hi:[1,0]
	v_pk_add_f32 v[100:101], v[100:101], v[102:103]
	v_pk_add_f32 v[100:101], v[100:101], v[104:105]
	;; [unrolled: 1-line block ×3, first 2 shown]
	ds_write2_b64 v83, v[116:117], v[118:119] offset1:16
	ds_write2_b64 v83, v[108:109], v[100:101] offset0:32 offset1:48
	s_waitcnt lgkmcnt(0)
	s_barrier
	s_and_saveexec_b64 s[18:19], s[4:5]
	s_cbranch_execz .LBB44_128
; %bb.132:                              ;   in Loop: Header=BB44_129 Depth=1
	ds_read_b64 v[108:109], v78
	ds_read2_b64 v[100:103], v78 offset0:1 offset1:2
	ds_read2_b64 v[104:107], v78 offset0:3 offset1:4
	s_waitcnt lgkmcnt(1)
	v_add_f32_e32 v12, v100, v108
	v_add_f32_e32 v100, v101, v109
	;; [unrolled: 1-line block ×4, first 2 shown]
	ds_read2_b64 v[100:103], v78 offset0:5 offset1:6
	s_waitcnt lgkmcnt(1)
	v_add_f32_e32 v12, v12, v104
	v_add_f32_e32 v104, v108, v105
	v_add_f32_e32 v108, v12, v106
	v_add_f32_e32 v109, v104, v107
	v_add_u32_e32 v12, s26, v84
	ds_read2_b64 v[104:107], v78 offset0:7 offset1:8
	v_lshlrev_b64 v[110:111], 3, v[12:13]
	v_mov_b32_e32 v12, s20
	v_add_co_u32_e64 v112, s[8:9], s7, v110
	v_addc_co_u32_e64 v113, s[8:9], v12, v111, s[8:9]
	s_waitcnt lgkmcnt(1)
	v_pk_add_f32 v[100:101], v[108:109], v[100:101]
	ds_read2_b64 v[108:111], v78 offset0:9 offset1:10
	v_pk_add_f32 v[100:101], v[100:101], v[102:103]
	s_waitcnt lgkmcnt(1)
	v_pk_add_f32 v[100:101], v[100:101], v[104:105]
	v_pk_add_f32 v[104:105], v[100:101], v[106:107]
	ds_read2_b64 v[100:103], v78 offset0:11 offset1:12
	s_waitcnt lgkmcnt(1)
	v_pk_add_f32 v[108:109], v[104:105], v[108:109]
	ds_read2_b64 v[104:107], v78 offset0:13 offset1:14
	v_pk_add_f32 v[108:109], v[108:109], v[110:111]
	ds_read_b64 v[110:111], v79
	s_waitcnt lgkmcnt(2)
	v_pk_add_f32 v[100:101], v[108:109], v[100:101]
	v_pk_add_f32 v[100:101], v[100:101], v[102:103]
	s_waitcnt lgkmcnt(1)
	v_pk_add_f32 v[100:101], v[100:101], v[104:105]
	v_pk_add_f32 v[100:101], v[100:101], v[106:107]
	s_waitcnt lgkmcnt(0)
	v_pk_add_f32 v[100:101], v[100:101], v[110:111]
	global_store_dwordx2 v[112:113], v[100:101], off
	s_branch .LBB44_128
.LBB44_133:
	s_movk_i32 s2, 0x218
	s_or_b64 s[0:1], s[0:1], vcc
	v_mad_u32_u24 v0, v72, s2, v73
	s_xor_b64 s[0:1], s[0:1], -1
	ds_write_b64 v0, v[18:19]
	s_waitcnt lgkmcnt(0)
	s_barrier
	s_and_saveexec_b64 s[2:3], s[0:1]
	s_cbranch_execz .LBB44_135
; %bb.134:
	ds_read2_b64 v[0:3], v73 offset1:67
	ds_read2_b64 v[4:7], v73 offset0:134 offset1:201
	v_lshlrev_b64 v[8:9], 3, v[16:17]
	v_mov_b32_e32 v10, s20
	v_add_co_u32_e32 v8, vcc, s7, v8
	s_waitcnt lgkmcnt(1)
	v_pk_add_f32 v[0:1], v[2:3], v[0:1]
	s_waitcnt lgkmcnt(0)
	v_pk_add_f32 v[0:1], v[0:1], v[4:5]
	v_addc_co_u32_e32 v9, vcc, v10, v9, vcc
	v_pk_add_f32 v[0:1], v[0:1], v[6:7]
	global_store_dwordx2 v[8:9], v[0:1], off
.LBB44_135:
	s_endpgm
	.section	.rodata,"a",@progbits
	.p2align	6, 0x0
	.amdhsa_kernel _ZL26rocblas_hemvn_kernel_lowerILb1ELi64ELi4ELi33ELi32ELi16El19rocblas_complex_numIfEPKPKS1_PS1_EviT6_lT7_lT5_lS8_lS9_lS7_lT8_i
		.amdhsa_group_segment_fixed_size 9600
		.amdhsa_private_segment_fixed_size 0
		.amdhsa_kernarg_size 376
		.amdhsa_user_sgpr_count 6
		.amdhsa_user_sgpr_private_segment_buffer 1
		.amdhsa_user_sgpr_dispatch_ptr 0
		.amdhsa_user_sgpr_queue_ptr 0
		.amdhsa_user_sgpr_kernarg_segment_ptr 1
		.amdhsa_user_sgpr_dispatch_id 0
		.amdhsa_user_sgpr_flat_scratch_init 0
		.amdhsa_user_sgpr_kernarg_preload_length 0
		.amdhsa_user_sgpr_kernarg_preload_offset 0
		.amdhsa_user_sgpr_private_segment_size 0
		.amdhsa_uses_dynamic_stack 0
		.amdhsa_system_sgpr_private_segment_wavefront_offset 0
		.amdhsa_system_sgpr_workgroup_id_x 1
		.amdhsa_system_sgpr_workgroup_id_y 0
		.amdhsa_system_sgpr_workgroup_id_z 1
		.amdhsa_system_sgpr_workgroup_info 0
		.amdhsa_system_vgpr_workitem_id 1
		.amdhsa_next_free_vgpr 120
		.amdhsa_next_free_sgpr 46
		.amdhsa_accum_offset 120
		.amdhsa_reserve_vcc 1
		.amdhsa_reserve_flat_scratch 0
		.amdhsa_float_round_mode_32 0
		.amdhsa_float_round_mode_16_64 0
		.amdhsa_float_denorm_mode_32 3
		.amdhsa_float_denorm_mode_16_64 3
		.amdhsa_dx10_clamp 1
		.amdhsa_ieee_mode 1
		.amdhsa_fp16_overflow 0
		.amdhsa_tg_split 0
		.amdhsa_exception_fp_ieee_invalid_op 0
		.amdhsa_exception_fp_denorm_src 0
		.amdhsa_exception_fp_ieee_div_zero 0
		.amdhsa_exception_fp_ieee_overflow 0
		.amdhsa_exception_fp_ieee_underflow 0
		.amdhsa_exception_fp_ieee_inexact 0
		.amdhsa_exception_int_div_zero 0
	.end_amdhsa_kernel
	.section	.text._ZL26rocblas_hemvn_kernel_lowerILb1ELi64ELi4ELi33ELi32ELi16El19rocblas_complex_numIfEPKPKS1_PS1_EviT6_lT7_lT5_lS8_lS9_lS7_lT8_i,"axG",@progbits,_ZL26rocblas_hemvn_kernel_lowerILb1ELi64ELi4ELi33ELi32ELi16El19rocblas_complex_numIfEPKPKS1_PS1_EviT6_lT7_lT5_lS8_lS9_lS7_lT8_i,comdat
.Lfunc_end44:
	.size	_ZL26rocblas_hemvn_kernel_lowerILb1ELi64ELi4ELi33ELi32ELi16El19rocblas_complex_numIfEPKPKS1_PS1_EviT6_lT7_lT5_lS8_lS9_lS7_lT8_i, .Lfunc_end44-_ZL26rocblas_hemvn_kernel_lowerILb1ELi64ELi4ELi33ELi32ELi16El19rocblas_complex_numIfEPKPKS1_PS1_EviT6_lT7_lT5_lS8_lS9_lS7_lT8_i
                                        ; -- End function
	.section	.AMDGPU.csdata,"",@progbits
; Kernel info:
; codeLenInByte = 8396
; NumSgprs: 50
; NumVgprs: 120
; NumAgprs: 0
; TotalNumVgprs: 120
; ScratchSize: 0
; MemoryBound: 1
; FloatMode: 240
; IeeeMode: 1
; LDSByteSize: 9600 bytes/workgroup (compile time only)
; SGPRBlocks: 6
; VGPRBlocks: 14
; NumSGPRsForWavesPerEU: 50
; NumVGPRsForWavesPerEU: 120
; AccumOffset: 120
; Occupancy: 4
; WaveLimiterHint : 0
; COMPUTE_PGM_RSRC2:SCRATCH_EN: 0
; COMPUTE_PGM_RSRC2:USER_SGPR: 6
; COMPUTE_PGM_RSRC2:TRAP_HANDLER: 0
; COMPUTE_PGM_RSRC2:TGID_X_EN: 1
; COMPUTE_PGM_RSRC2:TGID_Y_EN: 0
; COMPUTE_PGM_RSRC2:TGID_Z_EN: 1
; COMPUTE_PGM_RSRC2:TIDIG_COMP_CNT: 1
; COMPUTE_PGM_RSRC3_GFX90A:ACCUM_OFFSET: 29
; COMPUTE_PGM_RSRC3_GFX90A:TG_SPLIT: 0
	.section	.text._ZL36rocblas_hemvn_kernel_lower_block_sumILi64El19rocblas_complex_numIfEPKPS1_S1_EviT1_lS5_lT2_lT0_lPT3_i,"axG",@progbits,_ZL36rocblas_hemvn_kernel_lower_block_sumILi64El19rocblas_complex_numIfEPKPS1_S1_EviT1_lS5_lT2_lT0_lPT3_i,comdat
	.globl	_ZL36rocblas_hemvn_kernel_lower_block_sumILi64El19rocblas_complex_numIfEPKPS1_S1_EviT1_lS5_lT2_lT0_lPT3_i ; -- Begin function _ZL36rocblas_hemvn_kernel_lower_block_sumILi64El19rocblas_complex_numIfEPKPS1_S1_EviT1_lS5_lT2_lT0_lPT3_i
	.p2align	8
	.type	_ZL36rocblas_hemvn_kernel_lower_block_sumILi64El19rocblas_complex_numIfEPKPS1_S1_EviT1_lS5_lT2_lT0_lPT3_i,@function
_ZL36rocblas_hemvn_kernel_lower_block_sumILi64El19rocblas_complex_numIfEPKPS1_S1_EviT1_lS5_lT2_lT0_lPT3_i: ; @_ZL36rocblas_hemvn_kernel_lower_block_sumILi64El19rocblas_complex_numIfEPKPS1_S1_EviT1_lS5_lT2_lT0_lPT3_i
; %bb.0:
	s_load_dwordx4 s[8:11], s[4:5], 0x0
	s_load_dwordx2 s[12:13], s[4:5], 0x18
	s_mov_b32 s17, 0
	s_waitcnt lgkmcnt(0)
	s_or_b32 s0, s9, s10
	s_bitset0_b32 s0, 31
	s_cmp_eq_u32 s0, 0
	v_cmp_eq_f32_e64 s[0:1], s12, 1.0
	v_cmp_eq_f32_e64 s[2:3], s13, 0
	s_mov_b32 s15, s10
	s_cselect_b64 s[10:11], -1, 0
	s_and_b64 s[0:1], s[0:1], s[2:3]
	s_and_b64 s[0:1], s[10:11], s[0:1]
	s_and_b64 vcc, exec, s[0:1]
	s_cbranch_vccnz .LBB45_17
; %bb.1:
	s_load_dwordx2 s[18:19], s[4:5], 0x28
	s_load_dwordx4 s[0:3], s[4:5], 0x30
	s_mov_b32 s16, s7
	s_lshl_b64 s[20:21], s[16:17], 3
	v_lshl_or_b32 v8, s6, 6, v0
	s_waitcnt lgkmcnt(0)
	s_add_u32 s18, s18, s20
	s_addc_u32 s19, s19, s21
	s_load_dwordx2 s[20:21], s[18:19], 0x0
	s_lshl_b64 s[0:1], s[0:1], 3
	s_mov_b32 s14, s9
	s_mov_b64 s[18:19], -1
	s_waitcnt lgkmcnt(0)
	s_add_u32 s7, s20, s0
	s_addc_u32 s17, s21, s1
	s_andn2_b64 vcc, exec, s[10:11]
	v_cmp_gt_i32_e64 s[0:1], s8, v8
	s_cbranch_vccnz .LBB45_7
; %bb.2:
	s_and_saveexec_b64 s[10:11], s[0:1]
	s_cbranch_execz .LBB45_6
; %bb.3:
	v_ashrrev_i32_e32 v0, 31, v8
	v_cmp_neq_f32_e64 s[0:1], s12, 0
	v_cmp_neq_f32_e64 s[18:19], s13, 0
	v_mul_lo_u32 v2, v8, s3
	v_mul_lo_u32 v3, v0, s2
	v_mad_u64_u32 v[0:1], s[20:21], v8, s2, 0
	v_add3_u32 v1, v1, v2, v3
	s_or_b64 s[0:1], s[0:1], s[18:19]
	s_andn2_b64 vcc, exec, s[0:1]
	v_mov_b32_e32 v2, 0
	v_lshlrev_b64 v[0:1], 3, v[0:1]
	v_mov_b32_e32 v3, 0
	s_cbranch_vccnz .LBB45_5
; %bb.4:
	v_mov_b32_e32 v3, s17
	v_add_co_u32_e32 v2, vcc, s7, v0
	v_addc_co_u32_e32 v3, vcc, v3, v1, vcc
	global_load_dwordx2 v[4:5], v[2:3], off
	s_waitcnt vmcnt(0)
	v_pk_mul_f32 v[6:7], v[4:5], s[12:13] op_sel:[1,0]
	v_pk_fma_f32 v[2:3], v[4:5], s[12:13], v[6:7] op_sel:[0,0,1] op_sel_hi:[1,1,0] neg_lo:[0,0,1] neg_hi:[0,0,1]
	v_pk_fma_f32 v[4:5], v[4:5], s[12:13], v[6:7] op_sel:[0,0,1] op_sel_hi:[0,1,0]
	v_mov_b32_e32 v3, v5
.LBB45_5:
	v_mov_b32_e32 v4, s17
	v_add_co_u32_e32 v0, vcc, s7, v0
	v_addc_co_u32_e32 v1, vcc, v4, v1, vcc
	global_store_dwordx2 v[0:1], v[2:3], off
.LBB45_6:
	s_or_b64 exec, exec, s[10:11]
	s_mov_b64 s[18:19], 0
.LBB45_7:
	s_andn2_b64 vcc, exec, s[18:19]
	s_cbranch_vccnz .LBB45_17
; %bb.8:
	v_cmp_gt_i32_e32 vcc, s8, v8
	s_and_saveexec_b64 s[0:1], vcc
	s_cbranch_execz .LBB45_17
; %bb.9:
	s_load_dword s10, s[4:5], 0x58
	v_mov_b32_e32 v1, 0
	v_mov_b32_e32 v0, v1
	s_waitcnt lgkmcnt(0)
	s_cmp_ge_i32 s6, s10
	s_cbranch_scc1 .LBB45_12
; %bb.10:
	s_load_dwordx2 s[0:1], s[4:5], 0x48
	s_ashr_i32 s9, s8, 31
	s_mul_i32 s4, s6, s8
	v_add_u32_e32 v0, s4, v8
	s_mul_hi_u32 s4, s8, s16
	s_mul_i32 s5, s9, s16
	s_add_i32 s4, s4, s5
	s_mul_i32 s11, s8, s16
	s_mul_i32 s4, s4, s10
	s_mul_hi_u32 s5, s11, s10
	s_add_i32 s5, s5, s4
	s_mul_i32 s4, s11, s10
	s_lshl_b64 s[4:5], s[4:5], 3
	v_ashrrev_i32_e32 v1, 31, v0
	s_waitcnt lgkmcnt(0)
	s_add_u32 s0, s0, s4
	v_lshlrev_b64 v[0:1], 3, v[0:1]
	s_addc_u32 s1, s1, s5
	v_mov_b32_e32 v3, s1
	v_add_co_u32_e32 v2, vcc, s0, v0
	s_lshl_b64 s[0:1], s[8:9], 3
	v_mov_b32_e32 v0, 0
	v_addc_co_u32_e32 v3, vcc, v3, v1, vcc
	v_mov_b32_e32 v4, s1
	v_mov_b32_e32 v1, v0
.LBB45_11:                              ; =>This Inner Loop Header: Depth=1
	global_load_dwordx2 v[6:7], v[2:3], off
	s_add_i32 s6, s6, 1
	v_add_co_u32_e32 v2, vcc, s0, v2
	v_addc_co_u32_e32 v3, vcc, v3, v4, vcc
	s_cmp_ge_i32 s6, s10
	s_waitcnt vmcnt(0)
	v_pk_add_f32 v[0:1], v[0:1], v[6:7]
	s_cbranch_scc0 .LBB45_11
.LBB45_12:
	v_cmp_neq_f32_e64 s[0:1], s12, 0
	v_cmp_neq_f32_e64 s[4:5], s13, 0
	s_or_b64 s[0:1], s[0:1], s[4:5]
	v_pk_mul_f32 v[6:7], v[0:1], s[14:15] op_sel:[1,0]
	v_ashrrev_i32_e32 v4, 31, v8
	s_andn2_b64 vcc, exec, s[0:1]
	v_pk_fma_f32 v[2:3], v[0:1], s[14:15], v[6:7] op_sel:[0,0,1] op_sel_hi:[0,1,0]
	v_mul_lo_u32 v9, v8, s3
	v_mul_lo_u32 v10, v4, s2
	s_cbranch_vccz .LBB45_14
; %bb.13:
	v_pk_mul_f32 v[12:13], v[0:1], s[14:15] op_sel_hi:[0,1]
	v_mad_u64_u32 v[4:5], s[0:1], v8, s2, 0
	v_add3_u32 v5, v5, v9, v10
	v_sub_f32_e32 v2, v12, v7
	s_cbranch_execz .LBB45_15
	s_branch .LBB45_16
.LBB45_14:
                                        ; implicit-def: $vgpr4_vgpr5
.LBB45_15:
	v_mad_u64_u32 v[4:5], s[0:1], v8, s2, 0
	v_add3_u32 v5, v5, v9, v10
	v_lshlrev_b64 v[8:9], 3, v[4:5]
	v_mov_b32_e32 v2, s17
	v_add_co_u32_e32 v8, vcc, s7, v8
	v_addc_co_u32_e32 v9, vcc, v2, v9, vcc
	global_load_dwordx2 v[8:9], v[8:9], off
	v_pk_fma_f32 v[0:1], v[0:1], s[14:15], v[6:7] op_sel:[0,0,1] op_sel_hi:[1,1,0] neg_lo:[0,0,1] neg_hi:[0,0,1]
	v_mov_b32_e32 v1, v3
	s_waitcnt vmcnt(0)
	v_pk_mul_f32 v[6:7], v[8:9], s[12:13] op_sel:[1,0]
	v_pk_fma_f32 v[10:11], v[8:9], s[12:13], v[6:7] op_sel:[0,0,1] op_sel_hi:[1,1,0] neg_lo:[0,0,1] neg_hi:[0,0,1]
	v_pk_fma_f32 v[6:7], v[8:9], s[12:13], v[6:7] op_sel:[0,0,1] op_sel_hi:[0,1,0]
	v_mov_b32_e32 v11, v7
	v_pk_add_f32 v[2:3], v[0:1], v[10:11]
.LBB45_16:
	v_lshlrev_b64 v[0:1], 3, v[4:5]
	v_mov_b32_e32 v4, s17
	v_add_co_u32_e32 v0, vcc, s7, v0
	v_addc_co_u32_e32 v1, vcc, v4, v1, vcc
	global_store_dwordx2 v[0:1], v[2:3], off
.LBB45_17:
	s_endpgm
	.section	.rodata,"a",@progbits
	.p2align	6, 0x0
	.amdhsa_kernel _ZL36rocblas_hemvn_kernel_lower_block_sumILi64El19rocblas_complex_numIfEPKPS1_S1_EviT1_lS5_lT2_lT0_lPT3_i
		.amdhsa_group_segment_fixed_size 0
		.amdhsa_private_segment_fixed_size 0
		.amdhsa_kernarg_size 344
		.amdhsa_user_sgpr_count 6
		.amdhsa_user_sgpr_private_segment_buffer 1
		.amdhsa_user_sgpr_dispatch_ptr 0
		.amdhsa_user_sgpr_queue_ptr 0
		.amdhsa_user_sgpr_kernarg_segment_ptr 1
		.amdhsa_user_sgpr_dispatch_id 0
		.amdhsa_user_sgpr_flat_scratch_init 0
		.amdhsa_user_sgpr_kernarg_preload_length 0
		.amdhsa_user_sgpr_kernarg_preload_offset 0
		.amdhsa_user_sgpr_private_segment_size 0
		.amdhsa_uses_dynamic_stack 0
		.amdhsa_system_sgpr_private_segment_wavefront_offset 0
		.amdhsa_system_sgpr_workgroup_id_x 1
		.amdhsa_system_sgpr_workgroup_id_y 0
		.amdhsa_system_sgpr_workgroup_id_z 1
		.amdhsa_system_sgpr_workgroup_info 0
		.amdhsa_system_vgpr_workitem_id 0
		.amdhsa_next_free_vgpr 14
		.amdhsa_next_free_sgpr 22
		.amdhsa_accum_offset 16
		.amdhsa_reserve_vcc 1
		.amdhsa_reserve_flat_scratch 0
		.amdhsa_float_round_mode_32 0
		.amdhsa_float_round_mode_16_64 0
		.amdhsa_float_denorm_mode_32 3
		.amdhsa_float_denorm_mode_16_64 3
		.amdhsa_dx10_clamp 1
		.amdhsa_ieee_mode 1
		.amdhsa_fp16_overflow 0
		.amdhsa_tg_split 0
		.amdhsa_exception_fp_ieee_invalid_op 0
		.amdhsa_exception_fp_denorm_src 0
		.amdhsa_exception_fp_ieee_div_zero 0
		.amdhsa_exception_fp_ieee_overflow 0
		.amdhsa_exception_fp_ieee_underflow 0
		.amdhsa_exception_fp_ieee_inexact 0
		.amdhsa_exception_int_div_zero 0
	.end_amdhsa_kernel
	.section	.text._ZL36rocblas_hemvn_kernel_lower_block_sumILi64El19rocblas_complex_numIfEPKPS1_S1_EviT1_lS5_lT2_lT0_lPT3_i,"axG",@progbits,_ZL36rocblas_hemvn_kernel_lower_block_sumILi64El19rocblas_complex_numIfEPKPS1_S1_EviT1_lS5_lT2_lT0_lPT3_i,comdat
.Lfunc_end45:
	.size	_ZL36rocblas_hemvn_kernel_lower_block_sumILi64El19rocblas_complex_numIfEPKPS1_S1_EviT1_lS5_lT2_lT0_lPT3_i, .Lfunc_end45-_ZL36rocblas_hemvn_kernel_lower_block_sumILi64El19rocblas_complex_numIfEPKPS1_S1_EviT1_lS5_lT2_lT0_lPT3_i
                                        ; -- End function
	.section	.AMDGPU.csdata,"",@progbits
; Kernel info:
; codeLenInByte = 760
; NumSgprs: 26
; NumVgprs: 14
; NumAgprs: 0
; TotalNumVgprs: 14
; ScratchSize: 0
; MemoryBound: 0
; FloatMode: 240
; IeeeMode: 1
; LDSByteSize: 0 bytes/workgroup (compile time only)
; SGPRBlocks: 3
; VGPRBlocks: 1
; NumSGPRsForWavesPerEU: 26
; NumVGPRsForWavesPerEU: 14
; AccumOffset: 16
; Occupancy: 8
; WaveLimiterHint : 1
; COMPUTE_PGM_RSRC2:SCRATCH_EN: 0
; COMPUTE_PGM_RSRC2:USER_SGPR: 6
; COMPUTE_PGM_RSRC2:TRAP_HANDLER: 0
; COMPUTE_PGM_RSRC2:TGID_X_EN: 1
; COMPUTE_PGM_RSRC2:TGID_Y_EN: 0
; COMPUTE_PGM_RSRC2:TGID_Z_EN: 1
; COMPUTE_PGM_RSRC2:TIDIG_COMP_CNT: 0
; COMPUTE_PGM_RSRC3_GFX90A:ACCUM_OFFSET: 3
; COMPUTE_PGM_RSRC3_GFX90A:TG_SPLIT: 0
	.section	.text._ZL26rocblas_hemvn_kernel_lowerILb1ELi64ELi4ELi33ELi32ELi16Ei19rocblas_complex_numIfEPKPKS1_PS1_EviT6_lT7_lT5_lS8_lS9_lS7_lT8_i,"axG",@progbits,_ZL26rocblas_hemvn_kernel_lowerILb1ELi64ELi4ELi33ELi32ELi16Ei19rocblas_complex_numIfEPKPKS1_PS1_EviT6_lT7_lT5_lS8_lS9_lS7_lT8_i,comdat
	.globl	_ZL26rocblas_hemvn_kernel_lowerILb1ELi64ELi4ELi33ELi32ELi16Ei19rocblas_complex_numIfEPKPKS1_PS1_EviT6_lT7_lT5_lS8_lS9_lS7_lT8_i ; -- Begin function _ZL26rocblas_hemvn_kernel_lowerILb1ELi64ELi4ELi33ELi32ELi16Ei19rocblas_complex_numIfEPKPKS1_PS1_EviT6_lT7_lT5_lS8_lS9_lS7_lT8_i
	.p2align	8
	.type	_ZL26rocblas_hemvn_kernel_lowerILb1ELi64ELi4ELi33ELi32ELi16Ei19rocblas_complex_numIfEPKPKS1_PS1_EviT6_lT7_lT5_lS8_lS9_lS7_lT8_i,@function
_ZL26rocblas_hemvn_kernel_lowerILb1ELi64ELi4ELi33ELi32ELi16Ei19rocblas_complex_numIfEPKPKS1_PS1_EviT6_lT7_lT5_lS8_lS9_lS7_lT8_i: ; @_ZL26rocblas_hemvn_kernel_lowerILb1ELi64ELi4ELi33ELi32ELi16Ei19rocblas_complex_numIfEPKPKS1_PS1_EviT6_lT7_lT5_lS8_lS9_lS7_lT8_i
; %bb.0:
	s_load_dwordx2 s[0:1], s[4:5], 0x84
	s_add_u32 s2, s4, 0x78
	s_mov_b32 s22, s7
	s_addc_u32 s3, s5, 0
	s_waitcnt lgkmcnt(0)
	s_lshr_b32 s7, s0, 16
	s_and_b32 s0, s0, 0xffff
	s_and_b32 s1, s1, 0xffff
	s_mul_i32 s0, s7, s0
	s_mul_i32 s0, s0, s1
	s_cmpk_lg_i32 s0, 0x100
	s_cbranch_scc1 .LBB46_135
; %bb.1:
	s_load_dwordx2 s[0:1], s[4:5], 0x4
	s_waitcnt lgkmcnt(0)
	s_or_b32 s0, s0, s1
	s_bitset0_b32 s0, 31
	s_cmp_lg_u32 s0, 0
	s_cselect_b64 s[10:11], -1, 0
	s_and_b64 vcc, exec, s[10:11]
	s_cbranch_vccnz .LBB46_4
; %bb.2:
	s_load_dwordx2 s[0:1], s[4:5], 0x58
	s_mov_b64 s[12:13], 0
	s_waitcnt lgkmcnt(0)
	v_cmp_eq_f32_e64 s[8:9], s0, 1.0
	v_cmp_eq_f32_e64 s[0:1], s1, 0
	s_and_b64 s[0:1], s[8:9], s[0:1]
	s_andn2_b64 vcc, exec, s[0:1]
	s_mov_b64 s[0:1], 0
                                        ; implicit-def: $sgpr8_sgpr9
	s_cbranch_vccz .LBB46_5
; %bb.3:
	s_mov_b64 s[0:1], -1
	s_mov_b64 s[8:9], 0
	s_branch .LBB46_5
.LBB46_4:
	s_mov_b64 s[12:13], -1
	s_mov_b64 s[0:1], 0
                                        ; implicit-def: $sgpr8_sgpr9
.LBB46_5:
	s_and_b64 vcc, exec, s[12:13]
	s_cbranch_vccz .LBB46_7
; %bb.6:
	s_load_dwordx4 s[12:15], s[4:5], 0x18
	s_mov_b32 s23, 0
	s_lshl_b64 s[0:1], s[22:23], 3
	s_waitcnt lgkmcnt(0)
	s_add_u32 s0, s12, s0
	s_addc_u32 s1, s13, s1
	s_load_dwordx2 s[0:1], s[0:1], 0x0
	s_lshl_b64 s[8:9], s[14:15], 3
	s_waitcnt lgkmcnt(0)
	s_add_u32 s8, s0, s8
	s_addc_u32 s9, s1, s9
	s_mov_b64 s[0:1], -1
.LBB46_7:
	s_andn2_b64 vcc, exec, s[0:1]
	s_cbranch_vccnz .LBB46_135
; %bb.8:
	v_cndmask_b32_e64 v1, 0, 1, s[10:11]
	v_cmp_ne_u32_e64 s[0:1], 1, v1
	s_andn2_b64 vcc, exec, s[10:11]
	s_mov_b64 s[10:11], 0
	s_cbranch_vccnz .LBB46_10
; %bb.9:
	s_load_dwordx4 s[12:15], s[4:5], 0x38
	s_mov_b32 s23, 0
	s_lshl_b64 s[10:11], s[22:23], 3
	s_waitcnt lgkmcnt(0)
	s_add_u32 s10, s12, s10
	s_addc_u32 s11, s13, s11
	s_load_dwordx2 s[10:11], s[10:11], 0x0
	s_lshl_b64 s[12:13], s[14:15], 3
	s_waitcnt lgkmcnt(0)
	s_add_u32 s10, s10, s12
	s_addc_u32 s11, s11, s13
.LBB46_10:
	s_and_b64 vcc, exec, s[0:1]
	s_cbranch_vccnz .LBB46_135
; %bb.11:
	s_load_dword s33, s[2:3], 0x0
	s_load_dword s23, s[4:5], 0x0
	;; [unrolled: 1-line block ×3, first 2 shown]
	v_and_b32_e32 v22, 0x3ff, v0
	s_lshl_b32 s28, s6, 6
	v_add_u32_e32 v24, s28, v22
	s_waitcnt lgkmcnt(0)
	s_ashr_i32 s42, s23, 31
	s_lshr_b32 s1, s42, 26
	v_bfe_u32 v25, v0, 10, 10
	s_add_i32 s1, s23, s1
	v_mul_lo_u32 v0, v24, s7
	s_andn2_b32 s1, s1, 63
	v_ashrrev_i32_e32 v1, 31, v0
	s_add_i32 s0, s33, -1
	s_sub_i32 s1, s23, s1
	v_lshlrev_b64 v[0:1], 3, v[0:1]
	s_cmp_eq_u32 s6, s0
	v_mov_b32_e32 v2, s11
	v_add_co_u32_e32 v16, vcc, s10, v0
	s_cselect_b32 s26, s1, 0
	v_addc_co_u32_e32 v17, vcc, v2, v1, vcc
	v_cmp_ne_u32_e64 s[0:1], 0, v25
	v_cmp_eq_u32_e64 s[2:3], 0, v25
	s_and_saveexec_b64 s[10:11], s[2:3]
	s_cbranch_execz .LBB46_16
; %bb.12:
	s_cmp_lg_u32 s26, 0
	s_cselect_b64 s[12:13], -1, 0
	v_cmp_le_i32_e32 vcc, s26, v22
	v_mov_b32_e32 v0, 0x2380
	s_and_b64 s[12:13], s[12:13], vcc
	v_lshl_add_u32 v0, v22, 3, v0
	s_and_saveexec_b64 s[14:15], s[12:13]
	s_xor_b64 s[12:13], exec, s[14:15]
	s_cbranch_execz .LBB46_14
; %bb.13:
	v_mov_b32_e32 v2, 0
	v_mov_b32_e32 v3, v2
	ds_write_b64 v0, v[2:3]
                                        ; implicit-def: $vgpr0
.LBB46_14:
	s_andn2_saveexec_b64 s[12:13], s[12:13]
	s_cbranch_execz .LBB46_16
; %bb.15:
	flat_load_dwordx2 v[2:3], v[16:17]
	s_waitcnt vmcnt(0) lgkmcnt(0)
	ds_write_b64 v0, v[2:3]
.LBB46_16:
	s_or_b64 exec, exec, s[10:11]
	s_load_dword s24, s[4:5], 0x28
	s_ashr_i32 s29, s28, 31
	v_lshl_add_u32 v23, v25, 6, v22
	s_lshl_b64 s[10:11], s[28:29], 3
	v_and_b32_e32 v0, 31, v22
	v_lshrrev_b32_e32 v8, 5, v23
	s_add_u32 s10, s8, s10
	s_addc_u32 s11, s9, s11
	s_waitcnt lgkmcnt(0)
	v_mad_u64_u32 v[2:3], s[8:9], v8, s24, v[0:1]
	s_mul_i32 s8, s28, s24
	s_ashr_i32 s9, s8, 31
	s_lshl_b64 s[30:31], s[8:9], 3
	v_ashrrev_i32_e32 v3, 31, v2
	s_add_u32 s8, s30, s10
	v_lshlrev_b64 v[18:19], 3, v[2:3]
	s_addc_u32 s9, s31, s11
	v_mov_b32_e32 v1, s9
	v_add_co_u32_e32 v2, vcc, s8, v18
	s_cmp_lg_u32 s26, 0
	v_addc_co_u32_e32 v3, vcc, v1, v19, vcc
	s_cselect_b64 s[34:35], -1, 0
	s_cmp_eq_u32 s26, 0
	s_cselect_b64 s[36:37], -1, 0
	s_and_b64 vcc, exec, s[34:35]
	s_cbranch_vccnz .LBB46_18
; %bb.17:
	flat_load_dwordx2 v[4:5], v[2:3]
	s_lshl_b32 s8, s24, 3
	s_ashr_i32 s9, s8, 31
	v_mul_u32_u24_e32 v1, 33, v8
	s_lshl_b64 s[8:9], s[8:9], 3
	v_add_lshl_u32 v1, v1, v0, 3
	v_mov_b32_e32 v7, s9
	v_add_co_u32_e32 v6, vcc, s8, v2
	v_addc_co_u32_e32 v7, vcc, v3, v7, vcc
	s_ashr_i32 s25, s24, 31
	s_lshl_b64 s[8:9], s[24:25], 6
	v_mov_b32_e32 v9, s9
	s_waitcnt vmcnt(0) lgkmcnt(0)
	ds_write_b64 v1, v[4:5]
	flat_load_dwordx2 v[4:5], v[6:7]
	v_add_co_u32_e32 v6, vcc, s8, v6
	v_addc_co_u32_e32 v7, vcc, v7, v9, vcc
	s_waitcnt vmcnt(0) lgkmcnt(0)
	ds_write_b64 v1, v[4:5] offset:2112
	flat_load_dwordx2 v[4:5], v[6:7]
	v_add_co_u32_e32 v6, vcc, s8, v6
	v_addc_co_u32_e32 v7, vcc, v7, v9, vcc
	s_waitcnt vmcnt(0) lgkmcnt(0)
	ds_write_b64 v1, v[4:5] offset:4224
	flat_load_dwordx2 v[4:5], v[6:7]
	s_waitcnt vmcnt(0) lgkmcnt(0)
	ds_write_b64 v1, v[4:5] offset:6336
	s_cbranch_execz .LBB46_19
	s_branch .LBB46_34
.LBB46_18:
.LBB46_19:
	v_lshlrev_b32_e32 v1, 3, v0
	v_sub_co_u32_e32 v4, vcc, v2, v1
	s_ashr_i32 s27, s26, 31
	v_subbrev_co_u32_e32 v5, vcc, 0, v3, vcc
	s_lshl_b64 s[10:11], s[26:27], 3
	v_mov_b32_e32 v6, s11
	v_add_co_u32_e32 v4, vcc, s10, v4
	v_addc_co_u32_e32 v5, vcc, v5, v6, vcc
	v_add_co_u32_e32 v4, vcc, -8, v4
	v_addc_co_u32_e32 v5, vcc, -1, v5, vcc
	v_cmp_gt_i32_e32 vcc, s26, v0
	v_mov_b32_e32 v6, 0
	v_cndmask_b32_e32 v5, v5, v3, vcc
	v_cndmask_b32_e32 v4, v4, v2, vcc
	v_cmp_gt_i32_e64 s[8:9], s26, v8
	v_mov_b32_e32 v7, v6
	s_and_saveexec_b64 s[12:13], s[8:9]
	s_cbranch_execz .LBB46_21
; %bb.20:
	flat_load_dwordx2 v[6:7], v[4:5]
.LBB46_21:
	s_or_b64 exec, exec, s[12:13]
	v_mul_u32_u24_e32 v9, 33, v8
	v_add_lshl_u32 v9, v9, v0, 3
	s_waitcnt vmcnt(0) lgkmcnt(0)
	ds_write_b64 v9, v[6:7]
	v_add_u32_e32 v6, 8, v8
	v_cmp_le_i32_e64 s[8:9], s26, v6
	s_and_saveexec_b64 s[12:13], s[8:9]
	s_xor_b64 s[8:9], exec, s[12:13]
	s_cbranch_execz .LBB46_23
; %bb.22:
	v_mul_u32_u24_e32 v6, 33, v6
	v_add_lshl_u32 v10, v6, v0, 3
	v_mov_b32_e32 v6, 0
	v_mov_b32_e32 v7, v6
	ds_write_b64 v10, v[6:7]
.LBB46_23:
	s_andn2_saveexec_b64 s[12:13], s[8:9]
	s_cbranch_execz .LBB46_25
; %bb.24:
	s_lshl_b32 s8, s24, 3
	s_ashr_i32 s9, s8, 31
	s_lshl_b64 s[8:9], s[8:9], 3
	v_mov_b32_e32 v7, s9
	v_add_co_u32_e64 v6, s[8:9], s8, v4
	v_addc_co_u32_e64 v7, s[8:9], v5, v7, s[8:9]
	flat_load_dwordx2 v[6:7], v[6:7]
	s_waitcnt vmcnt(0) lgkmcnt(0)
	ds_write_b64 v9, v[6:7] offset:2112
.LBB46_25:
	s_or_b64 exec, exec, s[12:13]
	v_add_u32_e32 v6, 16, v8
	v_cmp_le_i32_e64 s[8:9], s26, v6
	s_and_saveexec_b64 s[12:13], s[8:9]
	s_xor_b64 s[8:9], exec, s[12:13]
	s_cbranch_execz .LBB46_27
; %bb.26:
	v_mov_b32_e32 v6, 0
	v_mov_b32_e32 v7, v6
	ds_write_b64 v9, v[6:7] offset:4224
.LBB46_27:
	s_andn2_saveexec_b64 s[12:13], s[8:9]
	s_cbranch_execz .LBB46_29
; %bb.28:
	s_lshl_b32 s8, s24, 4
	s_ashr_i32 s9, s8, 31
	s_lshl_b64 s[8:9], s[8:9], 3
	v_mov_b32_e32 v7, s9
	v_add_co_u32_e64 v6, s[8:9], s8, v4
	v_addc_co_u32_e64 v7, s[8:9], v5, v7, s[8:9]
	flat_load_dwordx2 v[6:7], v[6:7]
	s_waitcnt vmcnt(0) lgkmcnt(0)
	ds_write_b64 v9, v[6:7] offset:4224
.LBB46_29:
	s_or_b64 exec, exec, s[12:13]
	v_add_u32_e32 v6, 24, v8
	v_cmp_le_i32_e64 s[8:9], s26, v6
	s_and_saveexec_b64 s[12:13], s[8:9]
	s_xor_b64 s[8:9], exec, s[12:13]
	s_cbranch_execz .LBB46_31
; %bb.30:
	v_mov_b32_e32 v6, 0
	v_mov_b32_e32 v7, v6
	ds_write_b64 v9, v[6:7] offset:6336
                                        ; implicit-def: $vgpr9
.LBB46_31:
	s_andn2_saveexec_b64 s[12:13], s[8:9]
	s_cbranch_execz .LBB46_33
; %bb.32:
	s_mul_i32 s8, s24, 24
	s_ashr_i32 s9, s8, 31
	s_lshl_b64 s[8:9], s[8:9], 3
	v_mov_b32_e32 v7, s9
	v_add_co_u32_e64 v6, s[8:9], s8, v4
	v_addc_co_u32_e64 v7, s[8:9], v5, v7, s[8:9]
	flat_load_dwordx2 v[6:7], v[6:7]
	s_waitcnt vmcnt(0) lgkmcnt(0)
	ds_write_b64 v9, v[6:7] offset:6336
.LBB46_33:
	s_or_b64 exec, exec, s[12:13]
	v_add_co_u32_e64 v1, s[8:9], v4, v1
	v_addc_co_u32_e64 v4, s[8:9], 0, v5, s[8:9]
	v_mov_b32_e32 v5, s11
	v_subrev_co_u32_e64 v1, s[8:9], s10, v1
	v_subb_co_u32_e64 v4, s[8:9], v4, v5, s[8:9]
	v_add_co_u32_e64 v1, s[8:9], 8, v1
	v_addc_co_u32_e64 v4, s[8:9], 0, v4, s[8:9]
	v_cndmask_b32_e32 v3, v4, v3, vcc
	v_cndmask_b32_e32 v2, v1, v2, vcc
.LBB46_34:
	v_lshlrev_b32_e32 v9, 2, v8
	v_cmp_ge_u32_e64 s[8:9], v9, v0
	s_waitcnt lgkmcnt(0)
	s_barrier
	s_and_saveexec_b64 s[10:11], s[8:9]
	s_xor_b64 s[10:11], exec, s[10:11]
	s_cbranch_execz .LBB46_38
; %bb.35:
	v_cmp_eq_u32_e32 vcc, v9, v0
	s_and_saveexec_b64 s[12:13], vcc
	s_cbranch_execz .LBB46_37
; %bb.36:
	v_mul_u32_u24_e32 v1, 34, v0
	v_lshlrev_b32_e32 v1, 3, v1
	v_mov_b32_e32 v4, 0
	ds_write_b32 v1, v4 offset:4
.LBB46_37:
	s_or_b64 exec, exec, s[12:13]
.LBB46_38:
	s_or_saveexec_b64 s[10:11], s[10:11]
	v_mul_u32_u24_e32 v28, 33, v0
	v_add_lshl_u32 v12, v9, v28, 3
	s_xor_b64 exec, exec, s[10:11]
	s_cbranch_execz .LBB46_40
; %bb.39:
	v_mul_u32_u24_e32 v1, 0x84, v8
	v_add_lshl_u32 v1, v1, v0, 3
	ds_read_b64 v[4:5], v1
	s_waitcnt lgkmcnt(0)
	v_xor_b32_e32 v5, 0x80000000, v5
	ds_write_b64 v12, v[4:5]
.LBB46_40:
	s_or_b64 exec, exec, s[10:11]
	v_or_b32_e32 v10, 1, v9
	v_cmp_ge_u32_e64 s[10:11], v10, v0
	s_and_saveexec_b64 s[12:13], s[10:11]
	s_xor_b64 s[12:13], exec, s[12:13]
	s_cbranch_execz .LBB46_44
; %bb.41:
	v_cmp_eq_u32_e32 vcc, v10, v0
	s_and_saveexec_b64 s[14:15], vcc
	s_cbranch_execz .LBB46_43
; %bb.42:
	v_mul_u32_u24_e32 v1, 34, v0
	v_lshlrev_b32_e32 v1, 3, v1
	v_mov_b32_e32 v4, 0
	ds_write_b32 v1, v4 offset:4
.LBB46_43:
	s_or_b64 exec, exec, s[14:15]
.LBB46_44:
	s_or_saveexec_b64 s[12:13], s[12:13]
	v_mul_u32_u24_e32 v1, 33, v10
	s_xor_b64 exec, exec, s[12:13]
	s_cbranch_execz .LBB46_46
; %bb.45:
	v_add_lshl_u32 v4, v1, v0, 3
	ds_read_b64 v[4:5], v4
	s_waitcnt lgkmcnt(0)
	v_xor_b32_e32 v5, 0x80000000, v5
	ds_write_b64 v12, v[4:5] offset:8
.LBB46_46:
	s_or_b64 exec, exec, s[12:13]
	v_or_b32_e32 v11, 2, v9
	v_cmp_ge_u32_e64 s[12:13], v11, v0
	s_and_saveexec_b64 s[14:15], s[12:13]
	s_xor_b64 s[14:15], exec, s[14:15]
	s_cbranch_execz .LBB46_50
; %bb.47:
	v_cmp_eq_u32_e32 vcc, v11, v0
	s_and_saveexec_b64 s[16:17], vcc
	s_cbranch_execz .LBB46_49
; %bb.48:
	v_mul_u32_u24_e32 v4, 34, v0
	v_lshlrev_b32_e32 v4, 3, v4
	v_mov_b32_e32 v5, 0
	ds_write_b32 v4, v5 offset:4
.LBB46_49:
	s_or_b64 exec, exec, s[16:17]
.LBB46_50:
	s_andn2_saveexec_b64 s[14:15], s[14:15]
	s_cbranch_execz .LBB46_52
; %bb.51:
	v_mul_u32_u24_e32 v4, 33, v11
	v_add_lshl_u32 v4, v4, v0, 3
	ds_read_b64 v[4:5], v4
	s_waitcnt lgkmcnt(0)
	v_xor_b32_e32 v5, 0x80000000, v5
	ds_write_b64 v12, v[4:5] offset:16
.LBB46_52:
	s_or_b64 exec, exec, s[14:15]
	v_or_b32_e32 v13, 3, v9
	v_cmp_ge_u32_e64 s[14:15], v13, v0
	s_and_saveexec_b64 s[16:17], s[14:15]
	s_xor_b64 s[16:17], exec, s[16:17]
	s_cbranch_execz .LBB46_56
; %bb.53:
	v_cmp_eq_u32_e32 vcc, v13, v0
	s_and_saveexec_b64 s[18:19], vcc
	s_cbranch_execz .LBB46_55
; %bb.54:
	v_mul_u32_u24_e32 v4, 34, v0
	v_lshlrev_b32_e32 v4, 3, v4
	v_mov_b32_e32 v5, 0
	ds_write_b32 v4, v5 offset:4
.LBB46_55:
	s_or_b64 exec, exec, s[18:19]
.LBB46_56:
	s_andn2_saveexec_b64 s[16:17], s[16:17]
	s_cbranch_execz .LBB46_58
; %bb.57:
	v_mul_u32_u24_e32 v4, 33, v13
	v_add_lshl_u32 v4, v4, v0, 3
	ds_read_b64 v[4:5], v4
	s_waitcnt lgkmcnt(0)
	v_xor_b32_e32 v5, 0x80000000, v5
	ds_write_b64 v12, v[4:5] offset:24
.LBB46_58:
	s_or_b64 exec, exec, s[16:17]
	v_mul_u32_u24_e32 v4, 0x84, v8
	v_lshlrev_b32_e32 v20, 3, v9
	s_waitcnt lgkmcnt(0)
	s_barrier
	v_add_lshl_u32 v15, v4, v0, 3
	v_add_lshl_u32 v14, v1, v0, 3
	ds_read_b128 v[4:7], v20 offset:9088
	ds_read_b64 v[26:27], v15
	ds_read2_b64 v[30:33], v14 offset1:33
	ds_read_b64 v[38:39], v14 offset:528
	ds_read_b128 v[34:37], v20 offset:9104
	s_mov_b32 s16, 0
	s_waitcnt lgkmcnt(3)
	v_pk_mul_f32 v[40:41], v[4:5], v[26:27] op_sel:[0,1]
	v_pk_fma_f32 v[42:43], v[4:5], v[26:27], v[40:41] op_sel:[0,0,1] op_sel_hi:[1,1,0] neg_lo:[0,0,1] neg_hi:[0,0,1]
	v_pk_fma_f32 v[4:5], v[4:5], v[26:27], v[40:41] op_sel:[0,0,1] op_sel_hi:[1,0,0]
	s_waitcnt lgkmcnt(2)
	v_pk_mul_f32 v[26:27], v[6:7], v[30:31] op_sel:[0,1]
	v_pk_fma_f32 v[40:41], v[6:7], v[30:31], v[26:27] op_sel:[0,0,1] op_sel_hi:[1,1,0] neg_lo:[0,0,1] neg_hi:[0,0,1]
	v_pk_fma_f32 v[6:7], v[6:7], v[30:31], v[26:27] op_sel:[0,0,1] op_sel_hi:[1,0,0]
	v_mov_b32_e32 v43, v5
	v_mov_b32_e32 v41, v7
	s_waitcnt lgkmcnt(0)
	v_pk_mul_f32 v[6:7], v[34:35], v[32:33] op_sel:[0,1]
	v_pk_add_f32 v[4:5], v[42:43], 0 op_sel_hi:[1,0]
	v_pk_fma_f32 v[26:27], v[34:35], v[32:33], v[6:7] op_sel:[0,0,1] op_sel_hi:[1,1,0] neg_lo:[0,0,1] neg_hi:[0,0,1]
	v_pk_fma_f32 v[6:7], v[34:35], v[32:33], v[6:7] op_sel:[0,0,1] op_sel_hi:[1,0,0]
	v_pk_add_f32 v[4:5], v[4:5], v[40:41]
	v_mov_b32_e32 v27, v7
	v_pk_mul_f32 v[6:7], v[36:37], v[38:39] op_sel:[0,1]
	v_pk_add_f32 v[4:5], v[4:5], v[26:27]
	v_pk_fma_f32 v[26:27], v[36:37], v[38:39], v[6:7] op_sel:[0,0,1] op_sel_hi:[1,1,0] neg_lo:[0,0,1] neg_hi:[0,0,1]
	v_pk_fma_f32 v[6:7], v[36:37], v[38:39], v[6:7] op_sel:[0,0,1] op_sel_hi:[1,0,0]
	s_mov_b32 s17, s16
	v_mov_b32_e32 v27, v7
	v_add_lshl_u32 v29, v8, v28, 3
	v_pk_add_f32 v[4:5], v[4:5], v[26:27]
	v_cmp_gt_u32_e64 s[20:21], 32, v23
	v_pk_mov_b32 v[26:27], s[16:17], s[16:17] op_sel:[0,1]
	s_barrier
	ds_write_b64 v29, v[4:5]
	s_waitcnt lgkmcnt(0)
	s_barrier
	s_and_saveexec_b64 s[16:17], s[20:21]
	s_cbranch_execz .LBB46_60
; %bb.59:
	v_lshlrev_b32_e32 v1, 3, v28
	ds_read2_b64 v[4:7], v1 offset1:7
	ds_read2_b64 v[30:33], v1 offset0:1 offset1:2
	ds_read2_b64 v[34:37], v1 offset0:3 offset1:4
	s_waitcnt lgkmcnt(1)
	v_add_f32_e32 v4, v30, v4
	v_add_f32_e32 v5, v31, v5
	;; [unrolled: 1-line block ×4, first 2 shown]
	ds_read2_b64 v[30:33], v1 offset0:5 offset1:6
	s_waitcnt lgkmcnt(1)
	v_add_f32_e32 v1, v4, v34
	v_add_f32_e32 v4, v5, v35
	;; [unrolled: 1-line block ×4, first 2 shown]
	s_waitcnt lgkmcnt(0)
	v_add_f32_e32 v1, v1, v30
	v_add_f32_e32 v5, v4, v31
	;; [unrolled: 1-line block ×4, first 2 shown]
	v_pk_add_f32 v[26:27], v[4:5], v[6:7]
.LBB46_60:
	s_or_b64 exec, exec, s[16:17]
	s_lshl_b32 s16, s24, 5
	s_ashr_i32 s17, s16, 31
	s_lshl_b64 s[38:39], s[16:17], 3
	v_mov_b32_e32 v1, s39
	v_add_co_u32_e32 v4, vcc, s38, v2
	v_addc_co_u32_e32 v5, vcc, v3, v1, vcc
	v_add_co_u32_e32 v2, vcc, 0x100, v4
	v_cndmask_b32_e64 v1, 0, 1, s[36:37]
	s_mov_b64 s[18:19], vcc
	v_cmp_ne_u32_e64 s[16:17], 1, v1
	s_andn2_b64 vcc, exec, s[36:37]
	v_addc_co_u32_e64 v1, s[18:19], 0, v5, s[18:19]
	s_barrier
	s_cbranch_vccnz .LBB46_62
; %bb.61:
	flat_load_dwordx2 v[6:7], v[4:5] offset:256
	s_lshl_b32 s18, s24, 3
	s_ashr_i32 s19, s18, 31
	v_mul_u32_u24_e32 v3, 33, v8
	s_lshl_b64 s[18:19], s[18:19], 3
	v_add_lshl_u32 v3, v3, v0, 3
	v_mov_b32_e32 v21, s19
	v_add_co_u32_e32 v4, vcc, s18, v4
	v_addc_co_u32_e32 v5, vcc, v5, v21, vcc
	s_ashr_i32 s25, s24, 31
	s_lshl_b64 s[18:19], s[24:25], 6
	v_mov_b32_e32 v21, s19
	s_waitcnt vmcnt(0) lgkmcnt(0)
	ds_write_b64 v3, v[6:7]
	flat_load_dwordx2 v[6:7], v[4:5] offset:256
	v_add_co_u32_e32 v4, vcc, s18, v4
	v_addc_co_u32_e32 v5, vcc, v5, v21, vcc
	s_waitcnt vmcnt(0) lgkmcnt(0)
	ds_write_b64 v3, v[6:7] offset:2112
	flat_load_dwordx2 v[6:7], v[4:5] offset:256
	v_add_co_u32_e32 v4, vcc, s18, v4
	v_addc_co_u32_e32 v5, vcc, v5, v21, vcc
	s_waitcnt vmcnt(0) lgkmcnt(0)
	ds_write_b64 v3, v[6:7] offset:4224
	flat_load_dwordx2 v[4:5], v[4:5] offset:256
	s_waitcnt vmcnt(0) lgkmcnt(0)
	ds_write_b64 v3, v[4:5] offset:6336
	s_cbranch_execz .LBB46_63
	s_branch .LBB46_78
.LBB46_62:
.LBB46_63:
	v_or_b32_e32 v3, 32, v0
	v_lshlrev_b32_e32 v4, 3, v3
	v_sub_co_u32_e32 v4, vcc, v2, v4
	s_ashr_i32 s27, s26, 31
	v_subbrev_co_u32_e32 v5, vcc, 0, v1, vcc
	s_lshl_b64 s[36:37], s[26:27], 3
	v_mov_b32_e32 v6, s37
	v_add_co_u32_e32 v4, vcc, s36, v4
	v_addc_co_u32_e32 v5, vcc, v5, v6, vcc
	v_add_co_u32_e32 v4, vcc, -8, v4
	v_addc_co_u32_e32 v5, vcc, -1, v5, vcc
	v_cmp_gt_i32_e64 s[18:19], s26, v3
	s_sub_i32 s25, s26, 32
	v_mov_b32_e32 v6, 0
	v_cndmask_b32_e64 v5, v5, v1, s[18:19]
	v_cndmask_b32_e64 v4, v4, v2, s[18:19]
	v_cmp_gt_i32_e32 vcc, s25, v8
	v_mov_b32_e32 v7, v6
	s_and_saveexec_b64 s[40:41], vcc
	s_cbranch_execz .LBB46_65
; %bb.64:
	flat_load_dwordx2 v[6:7], v[4:5]
.LBB46_65:
	s_or_b64 exec, exec, s[40:41]
	v_mul_u32_u24_e32 v3, 33, v8
	v_add_lshl_u32 v3, v3, v0, 3
	s_waitcnt vmcnt(0) lgkmcnt(0)
	ds_write_b64 v3, v[6:7]
	v_add_u32_e32 v6, 8, v8
	v_cmp_le_i32_e32 vcc, s25, v6
	s_and_saveexec_b64 s[40:41], vcc
	s_xor_b64 s[40:41], exec, s[40:41]
	s_cbranch_execz .LBB46_67
; %bb.66:
	v_mul_u32_u24_e32 v6, 33, v6
	v_add_lshl_u32 v21, v6, v0, 3
	v_mov_b32_e32 v6, 0
	v_mov_b32_e32 v7, v6
	ds_write_b64 v21, v[6:7]
.LBB46_67:
	s_andn2_saveexec_b64 s[40:41], s[40:41]
	s_cbranch_execz .LBB46_69
; %bb.68:
	s_lshl_b32 s44, s24, 3
	s_ashr_i32 s45, s44, 31
	s_lshl_b64 s[44:45], s[44:45], 3
	v_mov_b32_e32 v7, s45
	v_add_co_u32_e32 v6, vcc, s44, v4
	v_addc_co_u32_e32 v7, vcc, v5, v7, vcc
	flat_load_dwordx2 v[6:7], v[6:7]
	s_waitcnt vmcnt(0) lgkmcnt(0)
	ds_write_b64 v3, v[6:7] offset:2112
.LBB46_69:
	s_or_b64 exec, exec, s[40:41]
	v_add_u32_e32 v6, 16, v8
	v_cmp_le_i32_e32 vcc, s25, v6
	s_and_saveexec_b64 s[40:41], vcc
	s_xor_b64 s[40:41], exec, s[40:41]
	s_cbranch_execz .LBB46_71
; %bb.70:
	v_mul_u32_u24_e32 v6, 33, v6
	v_add_lshl_u32 v21, v6, v0, 3
	v_mov_b32_e32 v6, 0
	v_mov_b32_e32 v7, v6
	ds_write_b64 v21, v[6:7]
.LBB46_71:
	s_andn2_saveexec_b64 s[40:41], s[40:41]
	s_cbranch_execz .LBB46_73
; %bb.72:
	s_lshl_b32 s44, s24, 4
	s_ashr_i32 s45, s44, 31
	s_lshl_b64 s[44:45], s[44:45], 3
	v_mov_b32_e32 v7, s45
	v_add_co_u32_e32 v6, vcc, s44, v4
	v_addc_co_u32_e32 v7, vcc, v5, v7, vcc
	flat_load_dwordx2 v[6:7], v[6:7]
	s_waitcnt vmcnt(0) lgkmcnt(0)
	ds_write_b64 v3, v[6:7] offset:4224
.LBB46_73:
	s_or_b64 exec, exec, s[40:41]
	v_add_u32_e32 v6, 24, v8
	v_cmp_le_i32_e32 vcc, s25, v6
	s_and_saveexec_b64 s[40:41], vcc
	s_xor_b64 s[40:41], exec, s[40:41]
	s_cbranch_execz .LBB46_75
; %bb.74:
	v_mov_b32_e32 v6, 0
	v_mov_b32_e32 v7, v6
	ds_write_b64 v3, v[6:7] offset:6336
                                        ; implicit-def: $vgpr3
.LBB46_75:
	s_andn2_saveexec_b64 s[40:41], s[40:41]
	s_cbranch_execz .LBB46_77
; %bb.76:
	s_mul_i32 s44, s24, 24
	s_ashr_i32 s45, s44, 31
	s_lshl_b64 s[44:45], s[44:45], 3
	v_mov_b32_e32 v7, s45
	v_add_co_u32_e32 v6, vcc, s44, v4
	v_addc_co_u32_e32 v7, vcc, v5, v7, vcc
	flat_load_dwordx2 v[6:7], v[6:7]
	s_waitcnt vmcnt(0) lgkmcnt(0)
	ds_write_b64 v3, v[6:7] offset:6336
.LBB46_77:
	s_or_b64 exec, exec, s[40:41]
	v_lshlrev_b32_e32 v3, 3, v0
	v_add_co_u32_e32 v3, vcc, v4, v3
	v_addc_co_u32_e32 v4, vcc, 0, v5, vcc
	v_mov_b32_e32 v5, s37
	v_subrev_co_u32_e32 v3, vcc, s36, v3
	v_subb_co_u32_e32 v4, vcc, v4, v5, vcc
	v_add_co_u32_e32 v3, vcc, 0x108, v3
	v_addc_co_u32_e32 v4, vcc, 0, v4, vcc
	v_cndmask_b32_e64 v1, v4, v1, s[18:19]
	v_cndmask_b32_e64 v2, v3, v2, s[18:19]
.LBB46_78:
	v_add_u32_e32 v6, 0x2380, v20
	s_waitcnt lgkmcnt(0)
	s_barrier
	s_and_saveexec_b64 s[18:19], s[8:9]
	s_xor_b64 s[8:9], exec, s[18:19]
	s_cbranch_execnz .LBB46_91
; %bb.79:
	s_andn2_saveexec_b64 s[8:9], s[8:9]
	s_cbranch_execnz .LBB46_94
.LBB46_80:
	s_or_b64 exec, exec, s[8:9]
	s_and_saveexec_b64 s[8:9], s[10:11]
	s_xor_b64 s[8:9], exec, s[8:9]
	s_cbranch_execnz .LBB46_95
.LBB46_81:
	s_andn2_saveexec_b64 s[8:9], s[8:9]
	s_cbranch_execnz .LBB46_98
.LBB46_82:
	s_or_b64 exec, exec, s[8:9]
	s_and_saveexec_b64 s[8:9], s[12:13]
	s_xor_b64 s[8:9], exec, s[8:9]
	s_cbranch_execnz .LBB46_99
.LBB46_83:
	s_andn2_saveexec_b64 s[8:9], s[8:9]
	s_cbranch_execnz .LBB46_102
.LBB46_84:
	s_or_b64 exec, exec, s[8:9]
	s_and_saveexec_b64 s[8:9], s[14:15]
	s_xor_b64 s[8:9], exec, s[8:9]
	s_cbranch_execnz .LBB46_103
.LBB46_85:
	s_andn2_saveexec_b64 s[8:9], s[8:9]
	s_cbranch_execz .LBB46_87
.LBB46_86:
	ds_read_b64 v[4:5], v14 offset:528
	s_waitcnt lgkmcnt(0)
	v_xor_b32_e32 v5, 0x80000000, v5
	ds_write_b64 v12, v[4:5] offset:24
.LBB46_87:
	s_or_b64 exec, exec, s[8:9]
	s_waitcnt lgkmcnt(0)
	s_barrier
	ds_read_b64 v[4:5], v15
	ds_read_b128 v[30:33], v6 offset:256
	ds_read2_b64 v[34:37], v14 offset1:33
	ds_read_b64 v[10:11], v14 offset:528
	ds_read_b128 v[38:41], v6 offset:272
	v_cmp_eq_u32_e64 s[8:9], 1, v8
	s_waitcnt lgkmcnt(3)
	v_pk_mul_f32 v[14:15], v[30:31], v[4:5] op_sel:[0,1]
	v_pk_fma_f32 v[20:21], v[30:31], v[4:5], v[14:15] op_sel:[0,0,1] op_sel_hi:[1,1,0] neg_lo:[0,0,1] neg_hi:[0,0,1]
	v_pk_fma_f32 v[4:5], v[30:31], v[4:5], v[14:15] op_sel:[0,0,1] op_sel_hi:[1,0,0]
	v_mov_b32_e32 v21, v5
	s_waitcnt lgkmcnt(2)
	v_pk_mul_f32 v[14:15], v[32:33], v[34:35] op_sel:[0,1]
	v_pk_add_f32 v[4:5], v[20:21], 0 op_sel_hi:[1,0]
	v_pk_fma_f32 v[20:21], v[32:33], v[34:35], v[14:15] op_sel:[0,0,1] op_sel_hi:[1,1,0] neg_lo:[0,0,1] neg_hi:[0,0,1]
	v_pk_fma_f32 v[14:15], v[32:33], v[34:35], v[14:15] op_sel:[0,0,1] op_sel_hi:[1,0,0]
	v_mov_b32_e32 v21, v15
	s_waitcnt lgkmcnt(0)
	v_pk_mul_f32 v[14:15], v[38:39], v[36:37] op_sel:[0,1]
	v_pk_add_f32 v[4:5], v[4:5], v[20:21]
	v_pk_fma_f32 v[20:21], v[38:39], v[36:37], v[14:15] op_sel:[0,0,1] op_sel_hi:[1,1,0] neg_lo:[0,0,1] neg_hi:[0,0,1]
	v_pk_fma_f32 v[14:15], v[38:39], v[36:37], v[14:15] op_sel:[0,0,1] op_sel_hi:[1,0,0]
	v_mov_b32_e32 v21, v15
	v_pk_mul_f32 v[14:15], v[40:41], v[10:11] op_sel:[0,1]
	v_pk_add_f32 v[4:5], v[4:5], v[20:21]
	v_pk_fma_f32 v[20:21], v[40:41], v[10:11], v[14:15] op_sel:[0,0,1] op_sel_hi:[1,1,0] neg_lo:[0,0,1] neg_hi:[0,0,1]
	v_pk_fma_f32 v[10:11], v[40:41], v[10:11], v[14:15] op_sel:[0,0,1] op_sel_hi:[1,0,0]
	v_mov_b32_e32 v21, v11
	v_pk_add_f32 v[4:5], v[4:5], v[20:21]
	s_barrier
	ds_write_b64 v29, v[4:5]
	s_waitcnt lgkmcnt(0)
	s_barrier
	s_and_saveexec_b64 s[10:11], s[8:9]
	s_cbranch_execz .LBB46_89
; %bb.88:
	v_lshlrev_b32_e32 v3, 3, v28
	ds_read2_b64 v[30:33], v3 offset1:7
	ds_read2_b64 v[34:37], v3 offset0:1 offset1:2
	ds_read2_b64 v[38:41], v3 offset0:3 offset1:4
	s_waitcnt lgkmcnt(1)
	v_add_f32_e32 v4, v34, v30
	v_add_f32_e32 v5, v35, v31
	;; [unrolled: 1-line block ×4, first 2 shown]
	ds_read2_b64 v[34:37], v3 offset0:5 offset1:6
	s_waitcnt lgkmcnt(1)
	v_add_f32_e32 v3, v4, v38
	v_add_f32_e32 v4, v5, v39
	;; [unrolled: 1-line block ×4, first 2 shown]
	s_waitcnt lgkmcnt(0)
	v_add_f32_e32 v4, v3, v34
	v_add_f32_e32 v5, v5, v35
	v_pk_add_f32 v[4:5], v[4:5], v[36:37]
	v_pk_add_f32 v[26:27], v[4:5], v[32:33]
.LBB46_89:
	s_or_b64 exec, exec, s[10:11]
	v_mov_b32_e32 v3, s39
	v_subrev_co_u32_e64 v20, s[10:11], s38, v2
	s_and_b64 vcc, exec, s[16:17]
	v_subb_co_u32_e64 v21, s[10:11], v1, v3, s[10:11]
	s_barrier
	s_cbranch_vccnz .LBB46_106
; %bb.90:
	flat_load_dwordx2 v[2:3], v[20:21]
	s_lshl_b32 s10, s24, 3
	s_ashr_i32 s11, s10, 31
	v_mad_u32_u24 v1, v8, 33, v0
	s_lshl_b64 s[10:11], s[10:11], 3
	v_lshlrev_b32_e32 v13, 3, v1
	v_mov_b32_e32 v5, s11
	v_add_co_u32_e32 v4, vcc, s10, v20
	v_addc_co_u32_e32 v5, vcc, v21, v5, vcc
	s_ashr_i32 s25, s24, 31
	s_lshl_b64 s[10:11], s[24:25], 6
	v_mov_b32_e32 v7, s11
	v_add_u32_e32 v9, 0x318, v1
	s_waitcnt vmcnt(0) lgkmcnt(0)
	ds_write_b64 v13, v[2:3]
	flat_load_dwordx2 v[2:3], v[4:5]
	v_add_co_u32_e32 v4, vcc, s10, v4
	v_addc_co_u32_e32 v5, vcc, v5, v7, vcc
	s_waitcnt vmcnt(0) lgkmcnt(0)
	ds_write_b64 v13, v[2:3] offset:2112
	flat_load_dwordx2 v[2:3], v[4:5]
	v_add_co_u32_e32 v4, vcc, s10, v4
	v_addc_co_u32_e32 v5, vcc, v5, v7, vcc
	v_add_u32_e32 v7, 24, v8
	s_waitcnt vmcnt(0) lgkmcnt(0)
	ds_write_b64 v13, v[2:3] offset:4224
	flat_load_dwordx2 v[10:11], v[4:5]
	v_add_u32_e32 v4, 8, v8
	v_add_u32_e32 v5, 16, v8
	;; [unrolled: 1-line block ×4, first 2 shown]
	s_waitcnt vmcnt(0) lgkmcnt(0)
	ds_write_b64 v13, v[10:11] offset:6336
	s_cbranch_execz .LBB46_107
	s_branch .LBB46_122
.LBB46_91:
	v_cmp_eq_u32_e32 vcc, v9, v0
	s_and_saveexec_b64 s[18:19], vcc
	s_cbranch_execz .LBB46_93
; %bb.92:
	v_mul_u32_u24_e32 v3, 34, v0
	v_lshlrev_b32_e32 v3, 3, v3
	v_mov_b32_e32 v4, 0
	ds_write_b32 v3, v4 offset:4
.LBB46_93:
	s_or_b64 exec, exec, s[18:19]
	s_andn2_saveexec_b64 s[8:9], s[8:9]
	s_cbranch_execz .LBB46_80
.LBB46_94:
	ds_read_b64 v[4:5], v15
	s_waitcnt lgkmcnt(0)
	v_xor_b32_e32 v5, 0x80000000, v5
	ds_write_b64 v12, v[4:5]
	s_or_b64 exec, exec, s[8:9]
	s_and_saveexec_b64 s[8:9], s[10:11]
	s_xor_b64 s[8:9], exec, s[8:9]
	s_cbranch_execz .LBB46_81
.LBB46_95:
	v_cmp_eq_u32_e32 vcc, v10, v0
	s_and_saveexec_b64 s[10:11], vcc
	s_cbranch_execz .LBB46_97
; %bb.96:
	v_mul_u32_u24_e32 v3, 34, v0
	v_lshlrev_b32_e32 v3, 3, v3
	v_mov_b32_e32 v4, 0
	ds_write_b32 v3, v4 offset:4
.LBB46_97:
	s_or_b64 exec, exec, s[10:11]
	s_andn2_saveexec_b64 s[8:9], s[8:9]
	s_cbranch_execz .LBB46_82
.LBB46_98:
	ds_read_b64 v[4:5], v14
	s_waitcnt lgkmcnt(0)
	v_xor_b32_e32 v5, 0x80000000, v5
	ds_write_b64 v12, v[4:5] offset:8
	s_or_b64 exec, exec, s[8:9]
	s_and_saveexec_b64 s[8:9], s[12:13]
	s_xor_b64 s[8:9], exec, s[8:9]
	s_cbranch_execz .LBB46_83
.LBB46_99:
	v_cmp_eq_u32_e32 vcc, v11, v0
	s_and_saveexec_b64 s[10:11], vcc
	s_cbranch_execz .LBB46_101
; %bb.100:
	v_mul_u32_u24_e32 v3, 34, v0
	v_lshlrev_b32_e32 v3, 3, v3
	v_mov_b32_e32 v4, 0
	ds_write_b32 v3, v4 offset:4
.LBB46_101:
	s_or_b64 exec, exec, s[10:11]
	s_andn2_saveexec_b64 s[8:9], s[8:9]
	s_cbranch_execz .LBB46_84
.LBB46_102:
	ds_read_b64 v[4:5], v14 offset:264
	s_waitcnt lgkmcnt(0)
	v_xor_b32_e32 v5, 0x80000000, v5
	ds_write_b64 v12, v[4:5] offset:16
	s_or_b64 exec, exec, s[8:9]
	s_and_saveexec_b64 s[8:9], s[14:15]
	s_xor_b64 s[8:9], exec, s[8:9]
	s_cbranch_execz .LBB46_85
.LBB46_103:
	v_cmp_eq_u32_e32 vcc, v13, v0
	s_and_saveexec_b64 s[10:11], vcc
	s_cbranch_execz .LBB46_105
; %bb.104:
	v_mul_u32_u24_e32 v3, 34, v0
	v_lshlrev_b32_e32 v3, 3, v3
	v_mov_b32_e32 v4, 0
	ds_write_b32 v3, v4 offset:4
.LBB46_105:
	s_or_b64 exec, exec, s[10:11]
	s_andn2_saveexec_b64 s[8:9], s[8:9]
	s_cbranch_execnz .LBB46_86
	s_branch .LBB46_87
.LBB46_106:
                                        ; implicit-def: $vgpr1
                                        ; implicit-def: $vgpr4
                                        ; implicit-def: $vgpr2
                                        ; implicit-def: $vgpr5
                                        ; implicit-def: $vgpr3
                                        ; implicit-def: $vgpr7
                                        ; implicit-def: $vgpr9
.LBB46_107:
	v_or_b32_e32 v1, 32, v0
	v_lshlrev_b32_e32 v2, 3, v1
	v_sub_co_u32_e32 v2, vcc, v20, v2
	s_ashr_i32 s27, s26, 31
	v_subbrev_co_u32_e32 v3, vcc, 0, v21, vcc
	s_lshl_b64 s[12:13], s[26:27], 3
	v_mov_b32_e32 v4, s13
	v_add_co_u32_e32 v2, vcc, s12, v2
	v_addc_co_u32_e32 v3, vcc, v3, v4, vcc
	v_add_co_u32_e32 v2, vcc, -8, v2
	v_addc_co_u32_e32 v3, vcc, -1, v3, vcc
	v_cmp_gt_i32_e64 s[10:11], s26, v1
	v_mov_b32_e32 v4, 0
	v_cndmask_b32_e64 v3, v3, v21, s[10:11]
	v_cndmask_b32_e64 v2, v2, v20, s[10:11]
	v_cmp_gt_i32_e32 vcc, s26, v8
	v_mov_b32_e32 v5, v4
	s_and_saveexec_b64 s[14:15], vcc
	s_cbranch_execz .LBB46_109
; %bb.108:
	flat_load_dwordx2 v[4:5], v[2:3]
.LBB46_109:
	s_or_b64 exec, exec, s[14:15]
	v_mad_u32_u24 v1, v8, 33, v0
	v_lshlrev_b32_e32 v10, 3, v1
	s_waitcnt vmcnt(0) lgkmcnt(0)
	ds_write_b64 v10, v[4:5]
	v_add_u32_e32 v4, 8, v8
	v_cmp_le_i32_e32 vcc, s26, v4
	s_and_saveexec_b64 s[14:15], vcc
	s_xor_b64 s[14:15], exec, s[14:15]
	s_cbranch_execz .LBB46_111
; %bb.110:
	v_mul_u32_u24_e32 v5, 33, v4
	v_mov_b32_e32 v14, 0
	v_add_lshl_u32 v5, v5, v0, 3
	v_mov_b32_e32 v15, v14
	ds_write_b64 v5, v[14:15]
.LBB46_111:
	s_andn2_saveexec_b64 s[14:15], s[14:15]
	s_cbranch_execz .LBB46_113
; %bb.112:
	s_lshl_b32 s16, s24, 3
	s_ashr_i32 s17, s16, 31
	s_lshl_b64 s[16:17], s[16:17], 3
	v_mov_b32_e32 v5, s17
	v_add_co_u32_e32 v14, vcc, s16, v2
	v_addc_co_u32_e32 v15, vcc, v3, v5, vcc
	flat_load_dwordx2 v[14:15], v[14:15]
	s_waitcnt vmcnt(0) lgkmcnt(0)
	ds_write_b64 v10, v[14:15] offset:2112
.LBB46_113:
	s_or_b64 exec, exec, s[14:15]
	v_add_u32_e32 v5, 16, v8
	v_cmp_le_i32_e32 vcc, s26, v5
	s_and_saveexec_b64 s[14:15], vcc
	s_xor_b64 s[14:15], exec, s[14:15]
	s_cbranch_execz .LBB46_115
; %bb.114:
	v_mul_u32_u24_e32 v7, 33, v5
	v_mov_b32_e32 v14, 0
	v_add_lshl_u32 v7, v7, v0, 3
	v_mov_b32_e32 v15, v14
	ds_write_b64 v7, v[14:15]
.LBB46_115:
	s_andn2_saveexec_b64 s[14:15], s[14:15]
	s_cbranch_execz .LBB46_117
; %bb.116:
	s_lshl_b32 s16, s24, 4
	s_ashr_i32 s17, s16, 31
	s_lshl_b64 s[16:17], s[16:17], 3
	v_mov_b32_e32 v7, s17
	v_add_co_u32_e32 v14, vcc, s16, v2
	v_addc_co_u32_e32 v15, vcc, v3, v7, vcc
	flat_load_dwordx2 v[14:15], v[14:15]
	s_waitcnt vmcnt(0) lgkmcnt(0)
	ds_write_b64 v10, v[14:15] offset:4224
.LBB46_117:
	s_or_b64 exec, exec, s[14:15]
	v_add_u32_e32 v7, 24, v8
	v_cmp_le_i32_e32 vcc, s26, v7
                                        ; implicit-def: $vgpr9
	s_and_saveexec_b64 s[14:15], vcc
	s_xor_b64 s[14:15], exec, s[14:15]
	s_cbranch_execz .LBB46_119
; %bb.118:
	v_mad_u32_u24 v9, v7, 33, v0
	v_mov_b32_e32 v10, 0
	v_lshlrev_b32_e32 v13, 3, v9
	v_mov_b32_e32 v11, v10
	ds_write_b64 v13, v[10:11]
                                        ; implicit-def: $vgpr10
.LBB46_119:
	s_andn2_saveexec_b64 s[14:15], s[14:15]
	s_cbranch_execz .LBB46_121
; %bb.120:
	s_mul_i32 s16, s24, 24
	s_ashr_i32 s17, s16, 31
	s_lshl_b64 s[16:17], s[16:17], 3
	v_mov_b32_e32 v9, s17
	v_add_co_u32_e32 v14, vcc, s16, v2
	v_addc_co_u32_e32 v15, vcc, v3, v9, vcc
	flat_load_dwordx2 v[14:15], v[14:15]
	v_add_u32_e32 v9, 0x318, v1
	s_waitcnt vmcnt(0) lgkmcnt(0)
	ds_write_b64 v10, v[14:15] offset:6336
.LBB46_121:
	s_or_b64 exec, exec, s[14:15]
	v_lshlrev_b32_e32 v0, 3, v0
	v_add_co_u32_e32 v0, vcc, v2, v0
	v_addc_co_u32_e32 v2, vcc, 0, v3, vcc
	v_mov_b32_e32 v3, s13
	v_subrev_co_u32_e32 v0, vcc, s12, v0
	v_subb_co_u32_e32 v2, vcc, v2, v3, vcc
	v_add_co_u32_e32 v0, vcc, 0x108, v0
	v_addc_co_u32_e32 v2, vcc, 0, v2, vcc
	v_cndmask_b32_e64 v21, v2, v21, s[10:11]
	v_cndmask_b32_e64 v20, v0, v20, s[10:11]
	v_add_u32_e32 v2, 0x108, v1
	v_add_u32_e32 v3, 0x210, v1
.LBB46_122:
	v_lshlrev_b32_e32 v0, 3, v1
	s_waitcnt lgkmcnt(0)
	s_barrier
	ds_read_b64 v[30:31], v0
	v_lshlrev_b32_e32 v13, 3, v8
	v_lshlrev_b32_e32 v14, 3, v2
	;; [unrolled: 1-line block ×7, first 2 shown]
	ds_read_b64 v[32:33], v0
	ds_read2_b64 v[8:11], v12 offset1:1
	ds_read2_b64 v[0:3], v12 offset0:2 offset1:3
	ds_read_b64 v[34:35], v4 offset:9088
	ds_read_b64 v[36:37], v14
	ds_read_b64 v[38:39], v13 offset:9088
	ds_read_b128 v[12:15], v6 offset:256
	ds_read_b128 v[4:7], v6 offset:272
	ds_read_b64 v[40:41], v40 offset:9088
	ds_read_b64 v[42:43], v42
	ds_read_b64 v[44:45], v44 offset:9088
	s_waitcnt lgkmcnt(5)
	v_pk_mul_f32 v[46:47], v[38:39], v[30:31] op_sel:[0,1]
	v_pk_fma_f32 v[48:49], v[38:39], v[30:31], v[46:47] op_sel:[0,0,1] op_sel_hi:[1,1,0] neg_lo:[0,0,1] neg_hi:[0,0,1]
	v_pk_fma_f32 v[30:31], v[38:39], v[30:31], v[46:47] op_sel:[0,0,1] op_sel_hi:[1,0,0]
	v_pk_mul_f32 v[38:39], v[34:35], v[36:37] op_sel:[0,1]
	v_pk_fma_f32 v[46:47], v[34:35], v[36:37], v[38:39] op_sel:[0,0,1] op_sel_hi:[1,1,0] neg_lo:[0,0,1] neg_hi:[0,0,1]
	v_pk_fma_f32 v[34:35], v[34:35], v[36:37], v[38:39] op_sel:[0,0,1] op_sel_hi:[1,0,0]
	v_mov_b32_e32 v47, v35
	s_waitcnt lgkmcnt(0)
	v_pk_mul_f32 v[34:35], v[44:45], v[32:33] op_sel:[0,1]
	v_mov_b32_e32 v49, v31
	v_pk_fma_f32 v[36:37], v[44:45], v[32:33], v[34:35] op_sel:[0,0,1] op_sel_hi:[1,1,0] neg_lo:[0,0,1] neg_hi:[0,0,1]
	v_pk_fma_f32 v[32:33], v[44:45], v[32:33], v[34:35] op_sel:[0,0,1] op_sel_hi:[1,0,0]
	v_pk_add_f32 v[30:31], v[48:49], 0 op_sel_hi:[1,0]
	v_mov_b32_e32 v37, v33
	v_pk_mul_f32 v[32:33], v[40:41], v[42:43] op_sel:[0,1]
	v_pk_add_f32 v[30:31], v[30:31], v[46:47]
	v_pk_fma_f32 v[34:35], v[40:41], v[42:43], v[32:33] op_sel:[0,0,1] op_sel_hi:[1,1,0] neg_lo:[0,0,1] neg_hi:[0,0,1]
	v_pk_fma_f32 v[32:33], v[40:41], v[42:43], v[32:33] op_sel:[0,0,1] op_sel_hi:[1,0,0]
	v_pk_add_f32 v[30:31], v[30:31], v[36:37]
	v_mov_b32_e32 v35, v33
	v_pk_add_f32 v[30:31], v[30:31], v[34:35]
	s_barrier
	ds_write_b64 v29, v[30:31]
	s_waitcnt lgkmcnt(0)
	s_barrier
	s_and_saveexec_b64 s[10:11], s[8:9]
	s_cbranch_execz .LBB46_124
; %bb.123:
	v_lshlrev_b32_e32 v42, 3, v28
	ds_read2_b64 v[30:33], v42 offset1:1
	ds_read2_b64 v[34:37], v42 offset0:2 offset1:3
	ds_read2_b64 v[38:41], v42 offset0:4 offset1:5
	s_waitcnt lgkmcnt(2)
	v_pk_add_f32 v[26:27], v[26:27], v[30:31]
	v_pk_add_f32 v[26:27], v[26:27], v[32:33]
	ds_read2_b64 v[30:33], v42 offset0:6 offset1:7
	s_waitcnt lgkmcnt(2)
	v_pk_add_f32 v[26:27], v[26:27], v[34:35]
	v_pk_add_f32 v[26:27], v[26:27], v[36:37]
	s_waitcnt lgkmcnt(1)
	v_pk_add_f32 v[26:27], v[26:27], v[38:39]
	v_pk_add_f32 v[26:27], v[26:27], v[40:41]
	s_waitcnt lgkmcnt(0)
	v_pk_add_f32 v[26:27], v[26:27], v[30:31]
	v_pk_add_f32 v[26:27], v[26:27], v[32:33]
.LBB46_124:
	s_or_b64 exec, exec, s[10:11]
	v_pk_mul_f32 v[30:31], v[8:9], v[12:13] op_sel:[1,0]
	v_pk_fma_f32 v[32:33], v[8:9], v[12:13], v[30:31] op_sel:[0,0,1] op_sel_hi:[1,1,0]
	v_pk_fma_f32 v[8:9], v[8:9], v[12:13], v[30:31] op_sel:[0,0,1] op_sel_hi:[0,1,0] neg_lo:[0,0,1] neg_hi:[0,0,1]
	v_mov_b32_e32 v12, v11
	v_pk_mul_f32 v[12:13], v[12:13], v[14:15] op_sel_hi:[0,1]
	v_pk_fma_f32 v[30:31], v[10:11], v[14:15], v[12:13] op_sel:[0,0,1] op_sel_hi:[1,1,0]
	v_pk_fma_f32 v[10:11], v[10:11], v[14:15], v[12:13] op_sel:[0,0,1] op_sel_hi:[0,1,0] neg_lo:[0,0,1] neg_hi:[0,0,1]
	v_mov_b32_e32 v33, v9
	v_mov_b32_e32 v31, v11
	v_pk_mul_f32 v[10:11], v[0:1], v[4:5] op_sel:[1,0]
	v_pk_add_f32 v[8:9], v[32:33], 0 op_sel_hi:[1,0]
	v_pk_fma_f32 v[12:13], v[0:1], v[4:5], v[10:11] op_sel:[0,0,1] op_sel_hi:[1,1,0]
	v_pk_fma_f32 v[0:1], v[0:1], v[4:5], v[10:11] op_sel:[0,0,1] op_sel_hi:[0,1,0] neg_lo:[0,0,1] neg_hi:[0,0,1]
	v_mov_b32_e32 v4, v3
	v_pk_add_f32 v[8:9], v[8:9], v[30:31]
	v_mov_b32_e32 v13, v1
	v_pk_mul_f32 v[4:5], v[4:5], v[6:7] op_sel_hi:[0,1]
	v_pk_add_f32 v[0:1], v[8:9], v[12:13]
	v_pk_fma_f32 v[8:9], v[2:3], v[6:7], v[4:5] op_sel:[0,0,1] op_sel_hi:[1,1,0]
	v_pk_fma_f32 v[2:3], v[2:3], v[6:7], v[4:5] op_sel:[0,0,1] op_sel_hi:[0,1,0] neg_lo:[0,0,1] neg_hi:[0,0,1]
	v_mov_b32_e32 v9, v3
	v_pk_add_f32 v[0:1], v[0:1], v[8:9]
	s_barrier
	ds_write_b64 v29, v[0:1]
	s_waitcnt lgkmcnt(0)
	s_barrier
	s_and_saveexec_b64 s[8:9], s[20:21]
	s_cbranch_execz .LBB46_126
; %bb.125:
	v_lshlrev_b32_e32 v14, 3, v28
	ds_read2_b64 v[0:3], v14 offset1:1
	ds_read2_b64 v[4:7], v14 offset0:2 offset1:3
	ds_read2_b64 v[8:11], v14 offset0:4 offset1:5
	s_waitcnt lgkmcnt(2)
	v_pk_add_f32 v[0:1], v[26:27], v[0:1]
	v_pk_add_f32 v[12:13], v[0:1], v[2:3]
	ds_read2_b64 v[0:3], v14 offset0:6 offset1:7
	s_waitcnt lgkmcnt(2)
	v_pk_add_f32 v[4:5], v[12:13], v[4:5]
	v_pk_add_f32 v[4:5], v[4:5], v[6:7]
	s_waitcnt lgkmcnt(1)
	v_pk_add_f32 v[4:5], v[4:5], v[8:9]
	v_pk_add_f32 v[4:5], v[4:5], v[10:11]
	;; [unrolled: 3-line block ×3, first 2 shown]
.LBB46_126:
	s_or_b64 exec, exec, s[8:9]
	s_load_dwordx2 s[4:5], s[4:5], 0x68
	s_mul_hi_u32 s8, s23, s22
	s_mul_i32 s42, s42, s22
	s_add_i32 s8, s8, s42
	s_mul_i32 s10, s23, s22
	s_mul_i32 s8, s8, s33
	s_mul_hi_u32 s9, s10, s33
	s_add_i32 s9, s9, s8
	s_mul_i32 s8, s10, s33
	s_lshl_b64 s[8:9], s[8:9], 3
	s_waitcnt lgkmcnt(0)
	s_add_u32 s8, s4, s8
	s_mul_i32 s4, s6, s23
	s_addc_u32 s9, s5, s9
	s_ashr_i32 s5, s4, 31
	s_lshl_b64 s[4:5], s[4:5], 3
	s_add_u32 s29, s8, s4
	v_cmp_le_i32_e32 vcc, s26, v22
	s_addc_u32 s33, s9, s5
	s_and_b64 vcc, s[34:35], vcc
	s_cmp_lt_i32 s6, 1
	v_lshlrev_b32_e32 v72, 3, v22
	s_barrier
	s_cbranch_scc1 .LBB46_133
; %bb.127:
	s_mul_i32 s4, s28, s7
	s_ashr_i32 s5, s4, 31
	s_lshl_b64 s[4:5], s[4:5], 3
	v_mov_b32_e32 v0, s5
	v_subrev_co_u32_e64 v73, s[4:5], s4, v16
	v_subb_co_u32_e64 v74, s[4:5], v17, v0, s[4:5]
	v_mov_b32_e32 v0, s31
	v_subrev_co_u32_e64 v1, s[4:5], s30, v20
	v_subb_co_u32_e64 v0, s[4:5], v21, v0, s[4:5]
	v_sub_co_u32_e64 v4, s[4:5], v1, v18
	v_subb_co_u32_e64 v5, s[4:5], v0, v19, s[4:5]
	v_mul_lo_u32 v0, v25, s24
	v_lshl_add_u32 v0, v0, 2, v22
	v_ashrrev_i32_e32 v1, 31, v0
	v_lshlrev_b64 v[0:1], 3, v[0:1]
	v_add_co_u32_e64 v0, s[4:5], v4, v0
	v_addc_co_u32_e64 v1, s[4:5], v5, v1, s[4:5]
	s_movk_i32 s4, 0xff00
	v_add_co_u32_e64 v0, s[4:5], s4, v0
	v_addc_co_u32_e64 v1, s[4:5], -1, v1, s[4:5]
	v_sub_co_u32_e64 v4, s[4:5], v0, v72
	v_subbrev_co_u32_e64 v5, s[4:5], 0, v1, s[4:5]
	s_ashr_i32 s27, s26, 31
	s_lshl_b64 s[4:5], s[26:27], 3
	v_mov_b32_e32 v6, s5
	v_add_co_u32_e64 v4, s[4:5], s4, v4
	v_addc_co_u32_e64 v5, s[4:5], v5, v6, s[4:5]
	v_add_co_u32_e64 v4, s[4:5], -8, v4
	v_addc_co_u32_e64 v5, s[4:5], -1, v5, s[4:5]
	v_cndmask_b32_e32 v30, v0, v4, vcc
	v_and_b32_e32 v0, 48, v22
	v_and_b32_e32 v2, 15, v22
	v_cndmask_b32_e32 v31, v1, v5, vcc
	v_lshlrev_b32_e32 v1, 3, v0
	s_movk_i32 s8, 0x218
	v_lshrrev_b32_e32 v3, 4, v23
	v_mad_u32_u24 v77, v2, s8, v1
	v_or_b32_e32 v1, 0x78, v72
	v_mad_u32_u24 v78, v2, s8, v1
	v_lshlrev_b32_e32 v1, 5, v3
	v_mad_u32_u24 v79, v2, s8, v1
	v_mov_b32_e32 v1, 0x2180
	s_ashr_i32 s25, s24, 31
	v_lshl_add_u32 v80, v25, 5, v1
	s_movk_i32 s9, 0x860
	v_lshlrev_b32_e32 v1, 3, v3
	v_mad_u32_u24 v81, v25, s9, v72
	v_mad_u32_u24 v82, v2, s8, v1
	s_lshl_b64 s[10:11], s[24:25], 3
	s_lshl_b64 s[14:15], s[24:25], 4
	s_mul_hi_i32 s8, s24, 24
	s_mul_hi_i32 s9, s24, 0x90
	;; [unrolled: 1-line block ×10, first 2 shown]
	s_lshl_b64 s[16:17], s[24:25], 8
	s_mul_hi_i32 s45, s24, 0x88
	s_lshl_b64 s[18:19], s[24:25], 7
	v_mov_b32_e32 v29, 0
	s_lshl_b32 s7, s7, 6
	v_add_u32_e32 v75, 0x2180, v72
	v_add_u32_e32 v76, 0x2380, v72
	v_cmp_gt_u32_e64 s[4:5], 64, v23
	s_lshl_b64 s[12:13], s[24:25], 9
	s_mul_i32 s26, s24, 24
	s_mul_i32 s27, s24, 0x90
	;; [unrolled: 1-line block ×11, first 2 shown]
	v_or_b32_e32 v28, v0, v2
	s_mov_b32 s20, 0
	v_mov_b32_e32 v83, s11
	v_mov_b32_e32 v84, s15
	v_mov_b32_e32 v85, s8
	v_mov_b32_e32 v86, s19
	v_mov_b32_e32 v87, s45
	v_mov_b32_e32 v88, s9
	v_mov_b32_e32 v89, s21
	v_mov_b32_e32 v90, s17
	v_mov_b32_e32 v91, s44
	v_mov_b32_e32 v92, s22
	v_mov_b32_e32 v93, s23
	v_mov_b32_e32 v94, s43
	v_mov_b32_e32 v95, s42
	v_mov_b32_e32 v96, s40
	v_mov_b32_e32 v97, s41
	s_branch .LBB46_129
.LBB46_128:                             ;   in Loop: Header=BB46_129 Depth=1
	s_or_b64 exec, exec, s[22:23]
	v_mul_f32_e32 v98, v32, v0
	v_fma_f32 v98, -v33, v1, v98
	v_pk_mul_f32 v[0:1], v[32:33], v[0:1] op_sel:[1,0] op_sel_hi:[0,1]
	v_add_f32_e32 v0, v0, v1
	v_add_f32_e32 v27, v27, v0
	v_mul_f32_e32 v0, v34, v2
	v_add_f32_e32 v26, v26, v98
	v_fma_f32 v0, -v35, v3, v0
	v_add_f32_e32 v26, v26, v0
	v_pk_mul_f32 v[0:1], v[34:35], v[2:3] op_sel:[1,0] op_sel_hi:[0,1]
	v_add_f32_e32 v0, v0, v1
	v_add_f32_e32 v2, v27, v0
	v_mul_f32_e32 v0, v36, v40
	v_fma_f32 v0, -v37, v41, v0
	v_add_f32_e32 v3, v26, v0
	v_pk_mul_f32 v[0:1], v[36:37], v[40:41] op_sel:[1,0] op_sel_hi:[0,1]
	v_add_f32_e32 v0, v0, v1
	v_add_f32_e32 v2, v2, v0
	v_mul_f32_e32 v0, v38, v48
	;; [unrolled: 6-line block ×4, first 2 shown]
	v_fma_f32 v0, -v47, v7, v0
	v_add_f32_e32 v0, v3, v0
	v_pk_mul_f32 v[2:3], v[46:47], v[6:7] op_sel:[1,0] op_sel_hi:[0,1]
	v_add_f32_e32 v2, v2, v3
	v_add_f32_e32 v1, v1, v2
	v_mov_b32_e32 v2, v59
	v_pk_mul_f32 v[2:3], v[42:43], v[2:3] op_sel:[1,0] op_sel_hi:[0,1]
	v_pk_fma_f32 v[2:3], v[42:43], v[58:59], v[2:3] neg_lo:[0,0,1] neg_hi:[0,0,1]
	v_pk_mul_f32 v[4:5], v[42:43], v[58:59] op_sel:[1,0] op_sel_hi:[0,1]
	v_mov_b32_e32 v3, v4
	v_pk_fma_f32 v[4:5], v[42:43], v[58:59], v[2:3] op_sel:[1,0,0] op_sel_hi:[0,1,1]
	v_pk_mul_f32 v[26:27], v[44:45], v[62:63] op_sel:[1,0] op_sel_hi:[0,1]
	v_mov_b32_e32 v4, v63
	v_mov_b32_e32 v3, v26
	v_pk_mul_f32 v[6:7], v[44:45], v[4:5] op_sel:[1,0] op_sel_hi:[0,1]
	v_pk_fma_f32 v[26:27], v[44:45], v[62:63], v[2:3] op_sel:[1,0,0] op_sel_hi:[0,1,1]
	v_mov_b32_e32 v3, v5
	v_pk_fma_f32 v[6:7], v[44:45], v[62:63], v[6:7] neg_lo:[0,0,1] neg_hi:[0,0,1]
	v_pk_add_f32 v[0:1], v[0:1], v[2:3]
	v_pk_mul_f32 v[2:3], v[60:61], v[12:13] op_sel:[1,1] op_sel_hi:[0,1]
	v_mov_b32_e32 v4, v15
	v_mov_b32_e32 v7, v27
	v_pk_mul_f32 v[4:5], v[56:57], v[4:5] op_sel_hi:[1,0]
	v_pk_fma_f32 v[32:33], v[60:61], v[12:13], v[2:3] neg_lo:[0,0,1] neg_hi:[0,0,1]
	v_pk_fma_f32 v[2:3], v[60:61], v[12:13], v[2:3] op_sel_hi:[1,0,1]
	v_pk_add_f32 v[0:1], v[0:1], v[6:7]
	v_mov_b32_e32 v33, v3
	v_pk_fma_f32 v[2:3], v[56:57], v[14:15], v[4:5] op_sel:[0,0,1] op_sel_hi:[1,1,0] neg_lo:[0,0,1] neg_hi:[0,0,1]
	v_pk_fma_f32 v[4:5], v[56:57], v[14:15], v[4:5] op_sel:[0,0,1] op_sel_hi:[1,0,0]
	v_pk_mul_f32 v[6:7], v[54:55], v[8:9] op_sel:[0,1]
	v_pk_add_f32 v[0:1], v[0:1], v[32:33]
	v_mov_b32_e32 v3, v5
	v_mov_b32_e32 v26, v11
	v_pk_add_f32 v[0:1], v[0:1], v[2:3]
	v_pk_fma_f32 v[2:3], v[54:55], v[8:9], v[6:7] op_sel:[0,0,1] op_sel_hi:[1,1,0] neg_lo:[0,0,1] neg_hi:[0,0,1]
	v_pk_fma_f32 v[4:5], v[54:55], v[8:9], v[6:7] op_sel:[0,0,1] op_sel_hi:[1,0,0]
	v_pk_mul_f32 v[26:27], v[52:53], v[26:27] op_sel_hi:[1,0]
	v_mov_b32_e32 v3, v5
	v_pk_add_f32 v[0:1], v[0:1], v[2:3]
	v_pk_fma_f32 v[2:3], v[52:53], v[10:11], v[26:27] op_sel:[0,0,1] op_sel_hi:[1,1,0] neg_lo:[0,0,1] neg_hi:[0,0,1]
	v_pk_fma_f32 v[4:5], v[52:53], v[10:11], v[26:27] op_sel:[0,0,1] op_sel_hi:[1,0,0]
	v_mov_b32_e32 v3, v5
	v_pk_add_f32 v[0:1], v[0:1], v[2:3]
	v_pk_mul_f32 v[2:3], v[70:71], v[16:17] op_sel:[0,1]
	v_pk_mul_f32 v[4:5], v[68:69], v[22:23] op_sel:[0,1]
	v_pk_fma_f32 v[10:11], v[70:71], v[16:17], v[2:3] op_sel:[0,0,1] op_sel_hi:[1,1,0] neg_lo:[0,0,1] neg_hi:[0,0,1]
	v_pk_fma_f32 v[2:3], v[70:71], v[16:17], v[2:3] op_sel:[0,0,1] op_sel_hi:[1,0,0]
	v_pk_mul_f32 v[6:7], v[64:65], v[20:21] op_sel:[0,1]
	v_mov_b32_e32 v11, v3
	v_pk_fma_f32 v[2:3], v[68:69], v[22:23], v[4:5] op_sel:[0,0,1] op_sel_hi:[1,1,0] neg_lo:[0,0,1] neg_hi:[0,0,1]
	v_pk_fma_f32 v[4:5], v[68:69], v[22:23], v[4:5] op_sel:[0,0,1] op_sel_hi:[1,0,0]
	v_pk_mul_f32 v[8:9], v[66:67], v[18:19] op_sel:[0,1]
	v_mov_b32_e32 v3, v5
	v_pk_fma_f32 v[4:5], v[64:65], v[20:21], v[6:7] op_sel:[0,0,1] op_sel_hi:[1,1,0] neg_lo:[0,0,1] neg_hi:[0,0,1]
	v_pk_fma_f32 v[6:7], v[64:65], v[20:21], v[6:7] op_sel:[0,0,1] op_sel_hi:[1,0,0]
	v_pk_add_f32 v[0:1], v[0:1], v[10:11]
	v_mov_b32_e32 v5, v7
	v_pk_fma_f32 v[6:7], v[66:67], v[18:19], v[8:9] op_sel:[0,0,1] op_sel_hi:[1,1,0] neg_lo:[0,0,1] neg_hi:[0,0,1]
	v_pk_fma_f32 v[8:9], v[66:67], v[18:19], v[8:9] op_sel:[0,0,1] op_sel_hi:[1,0,0]
	v_pk_add_f32 v[0:1], v[0:1], v[2:3]
	v_mov_b32_e32 v7, v9
	v_pk_add_f32 v[0:1], v[0:1], v[4:5]
	v_pk_add_f32 v[26:27], v[0:1], v[6:7]
	v_mov_b32_e32 v0, s13
	v_add_co_u32_e64 v30, s[8:9], s12, v30
	s_add_i32 s6, s6, -1
	s_add_i32 s20, s20, s7
	v_addc_co_u32_e64 v31, s[8:9], v31, v0, s[8:9]
	s_cmp_eq_u32 s6, 0
	v_add_u32_e32 v28, 64, v28
	s_barrier
	s_cbranch_scc1 .LBB46_133
.LBB46_129:                             ; =>This Inner Loop Header: Depth=1
	s_and_saveexec_b64 s[22:23], s[2:3]
	s_cbranch_execz .LBB46_131
; %bb.130:                              ;   in Loop: Header=BB46_129 Depth=1
	s_ashr_i32 s21, s20, 31
	s_lshl_b64 s[8:9], s[20:21], 3
	v_mov_b32_e32 v1, s9
	v_add_co_u32_e64 v0, s[8:9], s8, v73
	v_addc_co_u32_e64 v1, s[8:9], v74, v1, s[8:9]
	flat_load_dwordx2 v[0:1], v[0:1]
	s_waitcnt vmcnt(0) lgkmcnt(0)
	ds_write_b64 v75, v[0:1]
.LBB46_131:                             ;   in Loop: Header=BB46_129 Depth=1
	s_or_b64 exec, exec, s[22:23]
	v_add_co_u32_e64 v0, s[8:9], s10, v30
	v_addc_co_u32_e64 v1, s[8:9], v31, v83, s[8:9]
	v_add_co_u32_e64 v2, s[8:9], s14, v30
	v_addc_co_u32_e64 v3, s[8:9], v31, v84, s[8:9]
	s_waitcnt lgkmcnt(0)
	s_barrier
	flat_load_dwordx2 v[32:33], v[30:31]
	flat_load_dwordx2 v[34:35], v[0:1]
	;; [unrolled: 1-line block ×3, first 2 shown]
	v_add_co_u32_e64 v0, s[8:9], s26, v30
	v_addc_co_u32_e64 v1, s[8:9], v31, v85, s[8:9]
	flat_load_dwordx2 v[38:39], v[0:1]
	v_add_co_u32_e64 v6, s[8:9], s18, v30
	v_addc_co_u32_e64 v7, s[8:9], v31, v86, s[8:9]
	ds_read_b64 v[4:5], v76
	ds_read_b128 v[0:3], v80
	ds_read_b64 v[40:41], v80 offset:16
	v_add_co_u32_e64 v8, s[8:9], s39, v30
	v_addc_co_u32_e64 v9, s[8:9], v31, v87, s[8:9]
	v_add_co_u32_e64 v10, s[8:9], s27, v30
	v_addc_co_u32_e64 v11, s[8:9], v31, v88, s[8:9]
	s_waitcnt vmcnt(0) lgkmcnt(0)
	v_mul_f32_e32 v12, v33, v5
	v_mul_f32_e32 v13, v33, v4
	;; [unrolled: 1-line block ×5, first 2 shown]
	v_fmac_f32_e32 v12, v32, v4
	v_mul_f32_e32 v18, v39, v5
	v_fma_f32 v13, v32, v5, -v13
	v_mul_f32_e32 v17, v37, v4
	v_mul_f32_e32 v19, v39, v4
	v_fmac_f32_e32 v14, v34, v4
	v_fma_f32 v15, v34, v5, -v15
	v_fmac_f32_e32 v16, v36, v4
	v_fmac_f32_e32 v18, v38, v4
	v_add_co_u32_e64 v4, s[8:9], s28, v30
	v_fma_f32 v17, v36, v5, -v17
	v_fma_f32 v19, v38, v5, -v19
	ds_write2_b64 v81, v[12:13], v[14:15] offset1:67
	ds_write_b64 v81, v[16:17] offset:1072
	v_addc_co_u32_e64 v5, s[8:9], v31, v89, s[8:9]
	ds_read_b64 v[48:49], v80 offset:24
	ds_write_b64 v81, v[18:19] offset:1608
	s_waitcnt lgkmcnt(0)
	s_barrier
	ds_read2_b64 v[20:23], v79 offset1:1
	ds_read2_b64 v[16:19], v79 offset0:2 offset1:3
	s_waitcnt lgkmcnt(0)
	s_barrier
	flat_load_dwordx2 v[50:51], v[6:7]
	flat_load_dwordx2 v[46:47], v[8:9]
	;; [unrolled: 1-line block ×4, first 2 shown]
	ds_read_b64 v[12:13], v76
	v_add_co_u32_e64 v8, s[8:9], s16, v30
	v_addc_co_u32_e64 v9, s[8:9], v31, v90, s[8:9]
	v_add_co_u32_e64 v10, s[8:9], s38, v30
	v_addc_co_u32_e64 v11, s[8:9], v31, v91, s[8:9]
	;; [unrolled: 2-line block ×3, first 2 shown]
	ds_read_b128 v[4:7], v80 offset:128
	ds_read_b64 v[58:59], v80 offset:144
	v_pk_add_f32 v[20:21], v[20:21], 0 op_sel_hi:[1,0]
	v_pk_add_f32 v[20:21], v[20:21], v[22:23]
	v_pk_add_f32 v[16:17], v[20:21], v[16:17]
	s_waitcnt vmcnt(0) lgkmcnt(0)
	v_mul_f32_e32 v52, v51, v13
	v_mul_f32_e32 v53, v51, v12
	;; [unrolled: 1-line block ×8, first 2 shown]
	v_fma_f32 v53, v50, v13, -v53
	v_fma_f32 v55, v46, v13, -v55
	v_fmac_f32_e32 v52, v50, v12
	v_fmac_f32_e32 v54, v46, v12
	;; [unrolled: 1-line block ×3, first 2 shown]
	v_fma_f32 v57, v42, v13, -v57
	v_fmac_f32_e32 v60, v44, v12
	v_fma_f32 v61, v44, v13, -v61
	ds_write2_b64 v81, v[52:53], v[54:55] offset1:67
	ds_write_b64 v81, v[56:57] offset:1072
	ds_read_b64 v[62:63], v80 offset:152
	ds_write_b64 v81, v[60:61] offset:1608
	s_waitcnt lgkmcnt(0)
	s_barrier
	ds_read2_b64 v[98:101], v79 offset1:1
	ds_read2_b64 v[102:105], v79 offset0:2 offset1:3
	s_waitcnt lgkmcnt(0)
	s_barrier
	flat_load_dwordx2 v[60:61], v[8:9]
	flat_load_dwordx2 v[56:57], v[10:11]
	;; [unrolled: 1-line block ×3, first 2 shown]
	v_add_co_u32_e64 v8, s[8:9], s31, v30
	v_addc_co_u32_e64 v9, s[8:9], v31, v93, s[8:9]
	flat_load_dwordx2 v[52:53], v[8:9]
	ds_read_b64 v[64:65], v76
	v_add_co_u32_e64 v66, s[8:9], s37, v30
	v_addc_co_u32_e64 v67, s[8:9], v31, v94, s[8:9]
	v_add_co_u32_e64 v114, s[8:9], s36, v30
	v_addc_co_u32_e64 v115, s[8:9], v31, v95, s[8:9]
	;; [unrolled: 2-line block ×3, first 2 shown]
	ds_read_b128 v[12:15], v80 offset:256
	ds_read_b128 v[8:11], v80 offset:272
	s_waitcnt vmcnt(0) lgkmcnt(0)
	v_mul_f32_e32 v68, v61, v65
	v_mul_f32_e32 v69, v61, v64
	;; [unrolled: 1-line block ×6, first 2 shown]
	v_fma_f32 v69, v60, v65, -v69
	v_mul_f32_e32 v109, v53, v64
	v_mul_f32_e32 v108, v53, v65
	v_fma_f32 v71, v56, v65, -v71
	v_fmac_f32_e32 v68, v60, v64
	v_fmac_f32_e32 v70, v56, v64
	v_fma_f32 v107, v54, v65, -v107
	v_fma_f32 v109, v52, v65, -v109
	v_fmac_f32_e32 v106, v54, v64
	v_fmac_f32_e32 v108, v52, v64
	ds_write2_b64 v81, v[68:69], v[70:71] offset1:67
	ds_write2_b64 v81, v[106:107], v[108:109] offset0:134 offset1:201
	s_waitcnt lgkmcnt(0)
	s_barrier
	ds_read2_b64 v[106:109], v79 offset1:1
	ds_read2_b64 v[110:113], v79 offset0:2 offset1:3
	s_waitcnt lgkmcnt(0)
	s_barrier
	flat_load_dwordx2 v[70:71], v[66:67]
	flat_load_dwordx2 v[68:69], v[114:115]
	;; [unrolled: 1-line block ×3, first 2 shown]
	v_add_co_u32_e64 v66, s[8:9], s35, v30
	v_addc_co_u32_e64 v67, s[8:9], v31, v97, s[8:9]
	flat_load_dwordx2 v[66:67], v[66:67]
	v_pk_add_f32 v[114:115], v[16:17], v[18:19]
	v_pk_add_f32 v[16:17], v[98:99], 0 op_sel_hi:[1,0]
	v_pk_add_f32 v[16:17], v[16:17], v[100:101]
	v_pk_add_f32 v[16:17], v[16:17], v[102:103]
	v_pk_add_f32 v[116:117], v[16:17], v[104:105]
	ds_read_b64 v[18:19], v76
	ds_read_b64 v[16:17], v80 offset:384
	v_pk_add_f32 v[20:21], v[106:107], 0 op_sel_hi:[1,0]
	v_pk_add_f32 v[20:21], v[20:21], v[108:109]
	v_pk_add_f32 v[20:21], v[20:21], v[110:111]
	;; [unrolled: 1-line block ×3, first 2 shown]
	s_waitcnt vmcnt(0) lgkmcnt(0)
	v_mul_f32_e32 v21, v71, v18
	v_mul_f32_e32 v20, v71, v19
	;; [unrolled: 1-line block ×4, first 2 shown]
	v_fma_f32 v21, v70, v19, -v21
	v_fmac_f32_e32 v20, v70, v18
	v_mul_f32_e32 v23, v65, v18
	v_mul_f32_e32 v100, v65, v19
	v_fma_f32 v99, v68, v19, -v22
	v_fmac_f32_e32 v98, v68, v18
	ds_write_b64 v81, v[20:21]
	v_mul_f32_e32 v103, v67, v18
	v_mul_f32_e32 v102, v67, v19
	v_fma_f32 v101, v64, v19, -v23
	v_fmac_f32_e32 v100, v64, v18
	ds_read_b64 v[22:23], v80 offset:392
	ds_write_b64 v81, v[98:99] offset:536
	v_fma_f32 v103, v66, v19, -v103
	v_fmac_f32_e32 v102, v66, v18
	ds_read_b64 v[20:21], v80 offset:400
	ds_write_b64 v81, v[100:101] offset:1072
	ds_read_b64 v[18:19], v80 offset:408
	ds_write_b64 v81, v[102:103] offset:1608
	s_waitcnt lgkmcnt(0)
	s_barrier
	ds_read2_b64 v[98:101], v79 offset1:1
	ds_read2_b64 v[102:105], v79 offset0:2 offset1:3
	s_waitcnt lgkmcnt(0)
	s_barrier
	v_pk_add_f32 v[98:99], v[98:99], 0 op_sel_hi:[1,0]
	v_pk_add_f32 v[98:99], v[98:99], v[100:101]
	v_pk_add_f32 v[98:99], v[98:99], v[102:103]
	;; [unrolled: 1-line block ×3, first 2 shown]
	ds_write2_b64 v82, v[114:115], v[116:117] offset1:16
	ds_write2_b64 v82, v[106:107], v[98:99] offset0:32 offset1:48
	s_waitcnt lgkmcnt(0)
	s_barrier
	s_and_saveexec_b64 s[22:23], s[4:5]
	s_cbranch_execz .LBB46_128
; %bb.132:                              ;   in Loop: Header=BB46_129 Depth=1
	ds_read_b64 v[106:107], v77
	ds_read2_b64 v[98:101], v77 offset0:1 offset1:2
	ds_read2_b64 v[102:105], v77 offset0:3 offset1:4
	v_lshlrev_b64 v[108:109], 3, v[28:29]
	v_mov_b32_e32 v111, s33
	v_add_co_u32_e64 v110, s[8:9], s29, v108
	s_waitcnt lgkmcnt(1)
	v_add_f32_e32 v98, v98, v106
	v_add_f32_e32 v99, v99, v107
	;; [unrolled: 1-line block ×4, first 2 shown]
	ds_read2_b64 v[98:101], v77 offset0:5 offset1:6
	s_waitcnt lgkmcnt(1)
	v_add_f32_e32 v102, v106, v102
	v_add_f32_e32 v103, v107, v103
	;; [unrolled: 1-line block ×4, first 2 shown]
	ds_read2_b64 v[102:105], v77 offset0:7 offset1:8
	v_addc_co_u32_e64 v111, s[8:9], v111, v109, s[8:9]
	s_waitcnt lgkmcnt(1)
	v_pk_add_f32 v[98:99], v[106:107], v[98:99]
	ds_read2_b64 v[106:109], v77 offset0:9 offset1:10
	v_pk_add_f32 v[98:99], v[98:99], v[100:101]
	s_waitcnt lgkmcnt(1)
	v_pk_add_f32 v[98:99], v[98:99], v[102:103]
	v_pk_add_f32 v[102:103], v[98:99], v[104:105]
	ds_read2_b64 v[98:101], v77 offset0:11 offset1:12
	s_waitcnt lgkmcnt(1)
	v_pk_add_f32 v[106:107], v[102:103], v[106:107]
	ds_read2_b64 v[102:105], v77 offset0:13 offset1:14
	v_pk_add_f32 v[106:107], v[106:107], v[108:109]
	ds_read_b64 v[108:109], v78
	s_waitcnt lgkmcnt(2)
	v_pk_add_f32 v[98:99], v[106:107], v[98:99]
	v_pk_add_f32 v[98:99], v[98:99], v[100:101]
	s_waitcnt lgkmcnt(1)
	v_pk_add_f32 v[98:99], v[98:99], v[102:103]
	v_pk_add_f32 v[98:99], v[98:99], v[104:105]
	s_waitcnt lgkmcnt(0)
	v_pk_add_f32 v[98:99], v[98:99], v[108:109]
	global_store_dwordx2 v[110:111], v[98:99], off
	s_branch .LBB46_128
.LBB46_133:
	s_movk_i32 s2, 0x218
	s_or_b64 s[0:1], s[0:1], vcc
	v_mad_u32_u24 v0, v25, s2, v72
	s_xor_b64 s[0:1], s[0:1], -1
	ds_write_b64 v0, v[26:27]
	s_waitcnt lgkmcnt(0)
	s_barrier
	s_and_saveexec_b64 s[2:3], s[0:1]
	s_cbranch_execz .LBB46_135
; %bb.134:
	ds_read2_b64 v[0:3], v72 offset1:67
	ds_read2_b64 v[4:7], v72 offset0:134 offset1:201
	v_ashrrev_i32_e32 v25, 31, v24
	v_lshlrev_b64 v[8:9], 3, v[24:25]
	v_mov_b32_e32 v10, s33
	s_waitcnt lgkmcnt(1)
	v_pk_add_f32 v[0:1], v[2:3], v[0:1]
	v_add_co_u32_e32 v8, vcc, s29, v8
	s_waitcnt lgkmcnt(0)
	v_pk_add_f32 v[0:1], v[0:1], v[4:5]
	v_addc_co_u32_e32 v9, vcc, v10, v9, vcc
	v_pk_add_f32 v[0:1], v[0:1], v[6:7]
	global_store_dwordx2 v[8:9], v[0:1], off
.LBB46_135:
	s_endpgm
	.section	.rodata,"a",@progbits
	.p2align	6, 0x0
	.amdhsa_kernel _ZL26rocblas_hemvn_kernel_lowerILb1ELi64ELi4ELi33ELi32ELi16Ei19rocblas_complex_numIfEPKPKS1_PS1_EviT6_lT7_lT5_lS8_lS9_lS7_lT8_i
		.amdhsa_group_segment_fixed_size 9600
		.amdhsa_private_segment_fixed_size 0
		.amdhsa_kernarg_size 376
		.amdhsa_user_sgpr_count 6
		.amdhsa_user_sgpr_private_segment_buffer 1
		.amdhsa_user_sgpr_dispatch_ptr 0
		.amdhsa_user_sgpr_queue_ptr 0
		.amdhsa_user_sgpr_kernarg_segment_ptr 1
		.amdhsa_user_sgpr_dispatch_id 0
		.amdhsa_user_sgpr_flat_scratch_init 0
		.amdhsa_user_sgpr_kernarg_preload_length 0
		.amdhsa_user_sgpr_kernarg_preload_offset 0
		.amdhsa_user_sgpr_private_segment_size 0
		.amdhsa_uses_dynamic_stack 0
		.amdhsa_system_sgpr_private_segment_wavefront_offset 0
		.amdhsa_system_sgpr_workgroup_id_x 1
		.amdhsa_system_sgpr_workgroup_id_y 0
		.amdhsa_system_sgpr_workgroup_id_z 1
		.amdhsa_system_sgpr_workgroup_info 0
		.amdhsa_system_vgpr_workitem_id 1
		.amdhsa_next_free_vgpr 118
		.amdhsa_next_free_sgpr 46
		.amdhsa_accum_offset 120
		.amdhsa_reserve_vcc 1
		.amdhsa_reserve_flat_scratch 0
		.amdhsa_float_round_mode_32 0
		.amdhsa_float_round_mode_16_64 0
		.amdhsa_float_denorm_mode_32 3
		.amdhsa_float_denorm_mode_16_64 3
		.amdhsa_dx10_clamp 1
		.amdhsa_ieee_mode 1
		.amdhsa_fp16_overflow 0
		.amdhsa_tg_split 0
		.amdhsa_exception_fp_ieee_invalid_op 0
		.amdhsa_exception_fp_denorm_src 0
		.amdhsa_exception_fp_ieee_div_zero 0
		.amdhsa_exception_fp_ieee_overflow 0
		.amdhsa_exception_fp_ieee_underflow 0
		.amdhsa_exception_fp_ieee_inexact 0
		.amdhsa_exception_int_div_zero 0
	.end_amdhsa_kernel
	.section	.text._ZL26rocblas_hemvn_kernel_lowerILb1ELi64ELi4ELi33ELi32ELi16Ei19rocblas_complex_numIfEPKPKS1_PS1_EviT6_lT7_lT5_lS8_lS9_lS7_lT8_i,"axG",@progbits,_ZL26rocblas_hemvn_kernel_lowerILb1ELi64ELi4ELi33ELi32ELi16Ei19rocblas_complex_numIfEPKPKS1_PS1_EviT6_lT7_lT5_lS8_lS9_lS7_lT8_i,comdat
.Lfunc_end46:
	.size	_ZL26rocblas_hemvn_kernel_lowerILb1ELi64ELi4ELi33ELi32ELi16Ei19rocblas_complex_numIfEPKPKS1_PS1_EviT6_lT7_lT5_lS8_lS9_lS7_lT8_i, .Lfunc_end46-_ZL26rocblas_hemvn_kernel_lowerILb1ELi64ELi4ELi33ELi32ELi16Ei19rocblas_complex_numIfEPKPKS1_PS1_EviT6_lT7_lT5_lS8_lS9_lS7_lT8_i
                                        ; -- End function
	.section	.AMDGPU.csdata,"",@progbits
; Kernel info:
; codeLenInByte = 8188
; NumSgprs: 50
; NumVgprs: 118
; NumAgprs: 0
; TotalNumVgprs: 118
; ScratchSize: 0
; MemoryBound: 1
; FloatMode: 240
; IeeeMode: 1
; LDSByteSize: 9600 bytes/workgroup (compile time only)
; SGPRBlocks: 6
; VGPRBlocks: 14
; NumSGPRsForWavesPerEU: 50
; NumVGPRsForWavesPerEU: 118
; AccumOffset: 120
; Occupancy: 4
; WaveLimiterHint : 1
; COMPUTE_PGM_RSRC2:SCRATCH_EN: 0
; COMPUTE_PGM_RSRC2:USER_SGPR: 6
; COMPUTE_PGM_RSRC2:TRAP_HANDLER: 0
; COMPUTE_PGM_RSRC2:TGID_X_EN: 1
; COMPUTE_PGM_RSRC2:TGID_Y_EN: 0
; COMPUTE_PGM_RSRC2:TGID_Z_EN: 1
; COMPUTE_PGM_RSRC2:TIDIG_COMP_CNT: 1
; COMPUTE_PGM_RSRC3_GFX90A:ACCUM_OFFSET: 29
; COMPUTE_PGM_RSRC3_GFX90A:TG_SPLIT: 0
	.section	.text._ZL36rocblas_hemvn_kernel_lower_block_sumILi64Ei19rocblas_complex_numIfEPKPS1_S1_EviT1_lS5_lT2_lT0_lPT3_i,"axG",@progbits,_ZL36rocblas_hemvn_kernel_lower_block_sumILi64Ei19rocblas_complex_numIfEPKPS1_S1_EviT1_lS5_lT2_lT0_lPT3_i,comdat
	.globl	_ZL36rocblas_hemvn_kernel_lower_block_sumILi64Ei19rocblas_complex_numIfEPKPS1_S1_EviT1_lS5_lT2_lT0_lPT3_i ; -- Begin function _ZL36rocblas_hemvn_kernel_lower_block_sumILi64Ei19rocblas_complex_numIfEPKPS1_S1_EviT1_lS5_lT2_lT0_lPT3_i
	.p2align	8
	.type	_ZL36rocblas_hemvn_kernel_lower_block_sumILi64Ei19rocblas_complex_numIfEPKPS1_S1_EviT1_lS5_lT2_lT0_lPT3_i,@function
_ZL36rocblas_hemvn_kernel_lower_block_sumILi64Ei19rocblas_complex_numIfEPKPS1_S1_EviT1_lS5_lT2_lT0_lPT3_i: ; @_ZL36rocblas_hemvn_kernel_lower_block_sumILi64Ei19rocblas_complex_numIfEPKPS1_S1_EviT1_lS5_lT2_lT0_lPT3_i
; %bb.0:
	s_load_dwordx4 s[8:11], s[4:5], 0x0
	s_load_dwordx2 s[2:3], s[4:5], 0x18
	s_mov_b32 s15, 0
	s_waitcnt lgkmcnt(0)
	s_or_b32 s0, s9, s10
	s_bitset0_b32 s0, 31
	s_mov_b32 s13, s10
	s_cmp_eq_u32 s0, 0
	v_cmp_eq_f32_e64 s[10:11], s2, 1.0
	v_cmp_eq_f32_e64 s[16:17], s3, 0
	s_cselect_b64 s[0:1], -1, 0
	s_and_b64 s[10:11], s[10:11], s[16:17]
	s_and_b64 s[10:11], s[0:1], s[10:11]
	s_and_b64 vcc, exec, s[10:11]
	s_cbranch_vccnz .LBB47_17
; %bb.1:
	s_load_dwordx4 s[20:23], s[4:5], 0x28
	s_load_dword s16, s[4:5], 0x38
	s_mov_b32 s14, s7
	s_lshl_b64 s[10:11], s[14:15], 3
	v_lshl_or_b32 v4, s6, 6, v0
	s_waitcnt lgkmcnt(0)
	s_add_u32 s10, s20, s10
	s_addc_u32 s11, s21, s11
	s_load_dwordx2 s[18:19], s[10:11], 0x0
	s_lshl_b64 s[20:21], s[22:23], 3
	s_mov_b32 s12, s9
	s_mov_b64 s[10:11], -1
	s_waitcnt lgkmcnt(0)
	s_add_u32 s7, s18, s20
	s_addc_u32 s15, s19, s21
	s_andn2_b64 vcc, exec, s[0:1]
	v_cmp_gt_i32_e64 s[0:1], s8, v4
	s_cbranch_vccnz .LBB47_7
; %bb.2:
	s_and_saveexec_b64 s[10:11], s[0:1]
	s_cbranch_execz .LBB47_6
; %bb.3:
	v_cmp_neq_f32_e64 s[0:1], s2, 0
	v_cmp_neq_f32_e64 s[18:19], s3, 0
	v_mul_lo_u32 v0, v4, s16
	v_ashrrev_i32_e32 v1, 31, v0
	s_or_b64 s[0:1], s[0:1], s[18:19]
	s_andn2_b64 vcc, exec, s[0:1]
	v_mov_b32_e32 v2, 0
	v_lshlrev_b64 v[0:1], 3, v[0:1]
	v_mov_b32_e32 v3, 0
	s_cbranch_vccnz .LBB47_5
; %bb.4:
	v_mov_b32_e32 v3, s15
	v_add_co_u32_e32 v2, vcc, s7, v0
	v_addc_co_u32_e32 v3, vcc, v3, v1, vcc
	global_load_dwordx2 v[6:7], v[2:3], off
	s_waitcnt vmcnt(0)
	v_pk_mul_f32 v[8:9], v[6:7], s[2:3] op_sel:[1,0]
	v_pk_fma_f32 v[2:3], v[6:7], s[2:3], v[8:9] op_sel:[0,0,1] op_sel_hi:[1,1,0] neg_lo:[0,0,1] neg_hi:[0,0,1]
	v_pk_fma_f32 v[6:7], v[6:7], s[2:3], v[8:9] op_sel:[0,0,1] op_sel_hi:[0,1,0]
	v_mov_b32_e32 v3, v7
.LBB47_5:
	v_mov_b32_e32 v5, s15
	v_add_co_u32_e32 v0, vcc, s7, v0
	v_addc_co_u32_e32 v1, vcc, v5, v1, vcc
	global_store_dwordx2 v[0:1], v[2:3], off
.LBB47_6:
	s_or_b64 exec, exec, s[10:11]
	s_mov_b64 s[10:11], 0
.LBB47_7:
	s_andn2_b64 vcc, exec, s[10:11]
	s_cbranch_vccnz .LBB47_17
; %bb.8:
	v_cmp_gt_i32_e32 vcc, s8, v4
	s_and_saveexec_b64 s[0:1], vcc
	s_cbranch_execz .LBB47_17
; %bb.9:
	s_load_dword s10, s[4:5], 0x58
	v_mov_b32_e32 v1, 0
	v_mov_b32_e32 v0, v1
	s_waitcnt lgkmcnt(0)
	s_cmp_ge_i32 s6, s10
	s_cbranch_scc1 .LBB47_12
; %bb.10:
	s_load_dwordx2 s[0:1], s[4:5], 0x48
	s_ashr_i32 s9, s8, 31
	s_mul_i32 s4, s6, s8
	v_add_u32_e32 v0, s4, v4
	s_mul_hi_u32 s4, s8, s14
	s_mul_i32 s5, s9, s14
	s_add_i32 s4, s4, s5
	s_mul_i32 s11, s8, s14
	s_mul_i32 s4, s4, s10
	s_mul_hi_u32 s5, s11, s10
	s_add_i32 s5, s5, s4
	s_mul_i32 s4, s11, s10
	s_lshl_b64 s[4:5], s[4:5], 3
	v_ashrrev_i32_e32 v1, 31, v0
	s_waitcnt lgkmcnt(0)
	s_add_u32 s0, s0, s4
	v_lshlrev_b64 v[0:1], 3, v[0:1]
	s_addc_u32 s1, s1, s5
	v_mov_b32_e32 v3, s1
	v_add_co_u32_e32 v2, vcc, s0, v0
	s_lshl_b64 s[0:1], s[8:9], 3
	v_mov_b32_e32 v0, 0
	v_addc_co_u32_e32 v3, vcc, v3, v1, vcc
	v_mov_b32_e32 v5, s1
	v_mov_b32_e32 v1, v0
.LBB47_11:                              ; =>This Inner Loop Header: Depth=1
	global_load_dwordx2 v[6:7], v[2:3], off
	s_add_i32 s6, s6, 1
	v_add_co_u32_e32 v2, vcc, s0, v2
	v_addc_co_u32_e32 v3, vcc, v3, v5, vcc
	s_cmp_ge_i32 s6, s10
	s_waitcnt vmcnt(0)
	v_pk_add_f32 v[0:1], v[0:1], v[6:7]
	s_cbranch_scc0 .LBB47_11
.LBB47_12:
	v_cmp_neq_f32_e64 s[0:1], s2, 0
	v_cmp_neq_f32_e64 s[4:5], s3, 0
	s_or_b64 s[0:1], s[0:1], s[4:5]
	v_pk_mul_f32 v[6:7], v[0:1], s[12:13] op_sel:[1,0]
	v_mul_lo_u32 v4, v4, s16
	s_andn2_b64 vcc, exec, s[0:1]
	v_pk_fma_f32 v[2:3], v[0:1], s[12:13], v[6:7] op_sel:[0,0,1] op_sel_hi:[0,1,0]
	v_ashrrev_i32_e32 v5, 31, v4
	s_cbranch_vccz .LBB47_14
; %bb.13:
	v_pk_mul_f32 v[8:9], v[0:1], s[12:13] op_sel_hi:[0,1]
	v_sub_f32_e32 v2, v8, v7
	s_cbranch_execz .LBB47_15
	s_branch .LBB47_16
.LBB47_14:
.LBB47_15:
	v_lshlrev_b64 v[8:9], 3, v[4:5]
	v_mov_b32_e32 v2, s15
	v_add_co_u32_e32 v8, vcc, s7, v8
	v_addc_co_u32_e32 v9, vcc, v2, v9, vcc
	global_load_dwordx2 v[8:9], v[8:9], off
	v_pk_fma_f32 v[0:1], v[0:1], s[12:13], v[6:7] op_sel:[0,0,1] op_sel_hi:[1,1,0] neg_lo:[0,0,1] neg_hi:[0,0,1]
	v_mov_b32_e32 v1, v3
	s_waitcnt vmcnt(0)
	v_pk_mul_f32 v[6:7], v[8:9], s[2:3] op_sel:[1,0]
	v_pk_fma_f32 v[10:11], v[8:9], s[2:3], v[6:7] op_sel:[0,0,1] op_sel_hi:[1,1,0] neg_lo:[0,0,1] neg_hi:[0,0,1]
	v_pk_fma_f32 v[6:7], v[8:9], s[2:3], v[6:7] op_sel:[0,0,1] op_sel_hi:[0,1,0]
	v_mov_b32_e32 v11, v7
	v_pk_add_f32 v[2:3], v[0:1], v[10:11]
.LBB47_16:
	v_lshlrev_b64 v[0:1], 3, v[4:5]
	v_mov_b32_e32 v4, s15
	v_add_co_u32_e32 v0, vcc, s7, v0
	v_addc_co_u32_e32 v1, vcc, v4, v1, vcc
	global_store_dwordx2 v[0:1], v[2:3], off
.LBB47_17:
	s_endpgm
	.section	.rodata,"a",@progbits
	.p2align	6, 0x0
	.amdhsa_kernel _ZL36rocblas_hemvn_kernel_lower_block_sumILi64Ei19rocblas_complex_numIfEPKPS1_S1_EviT1_lS5_lT2_lT0_lPT3_i
		.amdhsa_group_segment_fixed_size 0
		.amdhsa_private_segment_fixed_size 0
		.amdhsa_kernarg_size 344
		.amdhsa_user_sgpr_count 6
		.amdhsa_user_sgpr_private_segment_buffer 1
		.amdhsa_user_sgpr_dispatch_ptr 0
		.amdhsa_user_sgpr_queue_ptr 0
		.amdhsa_user_sgpr_kernarg_segment_ptr 1
		.amdhsa_user_sgpr_dispatch_id 0
		.amdhsa_user_sgpr_flat_scratch_init 0
		.amdhsa_user_sgpr_kernarg_preload_length 0
		.amdhsa_user_sgpr_kernarg_preload_offset 0
		.amdhsa_user_sgpr_private_segment_size 0
		.amdhsa_uses_dynamic_stack 0
		.amdhsa_system_sgpr_private_segment_wavefront_offset 0
		.amdhsa_system_sgpr_workgroup_id_x 1
		.amdhsa_system_sgpr_workgroup_id_y 0
		.amdhsa_system_sgpr_workgroup_id_z 1
		.amdhsa_system_sgpr_workgroup_info 0
		.amdhsa_system_vgpr_workitem_id 0
		.amdhsa_next_free_vgpr 12
		.amdhsa_next_free_sgpr 24
		.amdhsa_accum_offset 12
		.amdhsa_reserve_vcc 1
		.amdhsa_reserve_flat_scratch 0
		.amdhsa_float_round_mode_32 0
		.amdhsa_float_round_mode_16_64 0
		.amdhsa_float_denorm_mode_32 3
		.amdhsa_float_denorm_mode_16_64 3
		.amdhsa_dx10_clamp 1
		.amdhsa_ieee_mode 1
		.amdhsa_fp16_overflow 0
		.amdhsa_tg_split 0
		.amdhsa_exception_fp_ieee_invalid_op 0
		.amdhsa_exception_fp_denorm_src 0
		.amdhsa_exception_fp_ieee_div_zero 0
		.amdhsa_exception_fp_ieee_overflow 0
		.amdhsa_exception_fp_ieee_underflow 0
		.amdhsa_exception_fp_ieee_inexact 0
		.amdhsa_exception_int_div_zero 0
	.end_amdhsa_kernel
	.section	.text._ZL36rocblas_hemvn_kernel_lower_block_sumILi64Ei19rocblas_complex_numIfEPKPS1_S1_EviT1_lS5_lT2_lT0_lPT3_i,"axG",@progbits,_ZL36rocblas_hemvn_kernel_lower_block_sumILi64Ei19rocblas_complex_numIfEPKPS1_S1_EviT1_lS5_lT2_lT0_lPT3_i,comdat
.Lfunc_end47:
	.size	_ZL36rocblas_hemvn_kernel_lower_block_sumILi64Ei19rocblas_complex_numIfEPKPS1_S1_EviT1_lS5_lT2_lT0_lPT3_i, .Lfunc_end47-_ZL36rocblas_hemvn_kernel_lower_block_sumILi64Ei19rocblas_complex_numIfEPKPS1_S1_EviT1_lS5_lT2_lT0_lPT3_i
                                        ; -- End function
	.section	.AMDGPU.csdata,"",@progbits
; Kernel info:
; codeLenInByte = 696
; NumSgprs: 28
; NumVgprs: 12
; NumAgprs: 0
; TotalNumVgprs: 12
; ScratchSize: 0
; MemoryBound: 0
; FloatMode: 240
; IeeeMode: 1
; LDSByteSize: 0 bytes/workgroup (compile time only)
; SGPRBlocks: 3
; VGPRBlocks: 1
; NumSGPRsForWavesPerEU: 28
; NumVGPRsForWavesPerEU: 12
; AccumOffset: 12
; Occupancy: 8
; WaveLimiterHint : 1
; COMPUTE_PGM_RSRC2:SCRATCH_EN: 0
; COMPUTE_PGM_RSRC2:USER_SGPR: 6
; COMPUTE_PGM_RSRC2:TRAP_HANDLER: 0
; COMPUTE_PGM_RSRC2:TGID_X_EN: 1
; COMPUTE_PGM_RSRC2:TGID_Y_EN: 0
; COMPUTE_PGM_RSRC2:TGID_Z_EN: 1
; COMPUTE_PGM_RSRC2:TIDIG_COMP_CNT: 0
; COMPUTE_PGM_RSRC3_GFX90A:ACCUM_OFFSET: 2
; COMPUTE_PGM_RSRC3_GFX90A:TG_SPLIT: 0
	.section	.text._ZL26rocblas_hemvn_kernel_upperILb1ELi64ELi4ELi33ELi32ELi16ElPK19rocblas_complex_numIdEPKS3_PS1_EviT6_lT7_lT5_lS8_lS9_lS7_lT8_i,"axG",@progbits,_ZL26rocblas_hemvn_kernel_upperILb1ELi64ELi4ELi33ELi32ELi16ElPK19rocblas_complex_numIdEPKS3_PS1_EviT6_lT7_lT5_lS8_lS9_lS7_lT8_i,comdat
	.globl	_ZL26rocblas_hemvn_kernel_upperILb1ELi64ELi4ELi33ELi32ELi16ElPK19rocblas_complex_numIdEPKS3_PS1_EviT6_lT7_lT5_lS8_lS9_lS7_lT8_i ; -- Begin function _ZL26rocblas_hemvn_kernel_upperILb1ELi64ELi4ELi33ELi32ELi16ElPK19rocblas_complex_numIdEPKS3_PS1_EviT6_lT7_lT5_lS8_lS9_lS7_lT8_i
	.p2align	8
	.type	_ZL26rocblas_hemvn_kernel_upperILb1ELi64ELi4ELi33ELi32ELi16ElPK19rocblas_complex_numIdEPKS3_PS1_EviT6_lT7_lT5_lS8_lS9_lS7_lT8_i,@function
_ZL26rocblas_hemvn_kernel_upperILb1ELi64ELi4ELi33ELi32ELi16ElPK19rocblas_complex_numIdEPKS3_PS1_EviT6_lT7_lT5_lS8_lS9_lS7_lT8_i: ; @_ZL26rocblas_hemvn_kernel_upperILb1ELi64ELi4ELi33ELi32ELi16ElPK19rocblas_complex_numIdEPKS3_PS1_EviT6_lT7_lT5_lS8_lS9_lS7_lT8_i
; %bb.0:
	s_load_dwordx2 s[0:1], s[4:5], 0x84
	s_add_u32 s18, s4, 0x78
	s_addc_u32 s19, s5, 0
	s_waitcnt lgkmcnt(0)
	s_lshr_b32 s2, s0, 16
	s_and_b32 s0, s0, 0xffff
	s_and_b32 s1, s1, 0xffff
	s_mul_i32 s0, s2, s0
	s_mul_i32 s0, s0, s1
	s_cmpk_lg_i32 s0, 0x100
	s_cbranch_scc1 .LBB48_190
; %bb.1:
	s_load_dwordx8 s[8:15], s[4:5], 0x8
	s_load_dwordx2 s[26:27], s[4:5], 0x68
	s_mov_b32 s24, s7
	s_mov_b32 s25, 0
	s_waitcnt lgkmcnt(0)
	s_mul_i32 s1, s7, s11
	s_mul_hi_u32 s2, s7, s10
	s_mul_i32 s0, s7, s10
	s_add_i32 s1, s2, s1
	s_lshl_b64 s[0:1], s[0:1], 4
	s_add_u32 s8, s8, s0
	s_addc_u32 s9, s9, s1
	s_load_dwordx4 s[28:31], s[8:9], 0x0
	s_load_dwordx2 s[22:23], s[4:5], 0x28
	s_load_dwordx4 s[0:3], s[4:5], 0x58
	s_mov_b64 s[8:9], 0
	s_waitcnt lgkmcnt(0)
	v_cmp_neq_f64_e64 s[10:11], s[28:29], 0
	v_cmp_neq_f64_e64 s[16:17], s[30:31], 0
	s_or_b64 s[20:21], s[10:11], s[16:17]
	s_and_b64 vcc, exec, s[20:21]
	s_cbranch_vccnz .LBB48_3
; %bb.2:
	s_mul_i32 s3, s24, s3
	s_mul_hi_u32 s7, s24, s2
	s_add_i32 s3, s7, s3
	s_mul_i32 s2, s24, s2
	s_lshl_b64 s[2:3], s[2:3], 4
	s_add_u32 s0, s0, s2
	s_addc_u32 s1, s1, s3
	s_load_dwordx4 s[8:11], s[0:1], 0x0
	s_mov_b64 s[2:3], 0
	s_waitcnt lgkmcnt(0)
	v_cmp_neq_f64_e64 s[0:1], s[8:9], 1.0
	v_cmp_neq_f64_e64 s[8:9], s[10:11], 0
	s_or_b64 s[8:9], s[0:1], s[8:9]
	s_cbranch_execz .LBB48_4
	s_branch .LBB48_5
.LBB48_3:
	s_mov_b64 s[2:3], -1
.LBB48_4:
	s_lshl_b64 s[0:1], s[24:25], 3
	s_add_u32 s0, s12, s0
	s_addc_u32 s1, s13, s1
	s_load_dwordx2 s[0:1], s[0:1], 0x0
	s_lshl_b64 s[2:3], s[14:15], 4
	s_mov_b64 s[8:9], -1
	s_waitcnt lgkmcnt(0)
	s_add_u32 s2, s0, s2
	s_addc_u32 s3, s1, s3
.LBB48_5:
	s_andn2_b64 vcc, exec, s[8:9]
	s_cbranch_vccnz .LBB48_190
; %bb.6:
	s_load_dwordx4 s[8:11], s[4:5], 0x38
	s_load_dwordx2 s[16:17], s[4:5], 0x48
	v_cndmask_b32_e64 v1, 0, 1, s[20:21]
	v_cmp_ne_u32_e64 s[0:1], 1, v1
	s_andn2_b64 vcc, exec, s[20:21]
	s_mov_b64 s[12:13], 0
	s_cbranch_vccnz .LBB48_8
; %bb.7:
	s_lshl_b64 s[12:13], s[24:25], 3
	s_waitcnt lgkmcnt(0)
	s_add_u32 s8, s8, s12
	s_addc_u32 s9, s9, s13
	s_load_dwordx2 s[8:9], s[8:9], 0x0
	s_lshl_b64 s[10:11], s[10:11], 4
	s_waitcnt lgkmcnt(0)
	s_add_u32 s12, s8, s10
	s_addc_u32 s13, s9, s11
.LBB48_8:
	s_and_b64 vcc, exec, s[0:1]
	s_cbranch_vccnz .LBB48_190
; %bb.9:
	s_load_dword s7, s[18:19], 0x0
	s_load_dword s33, s[4:5], 0x0
	v_and_b32_e32 v201, 0x3ff, v0
	s_lshl_b32 s28, s6, 6
	v_add_u32_e32 v166, s28, v201
	s_waitcnt lgkmcnt(0)
	s_add_i32 s0, s7, -1
	s_ashr_i32 s38, s33, 31
	s_lshr_b32 s1, s38, 26
	s_add_i32 s1, s33, s1
	s_andn2_b32 s1, s1, 63
	s_sub_i32 s25, s33, s1
	v_ashrrev_i32_e32 v167, 31, v166
	v_bfe_u32 v202, v0, 10, 10
	s_cmp_eq_u32 s6, s0
	v_mul_lo_u32 v2, v167, s16
	v_mul_lo_u32 v3, v166, s17
	v_mad_u64_u32 v[0:1], s[0:1], v166, s16, 0
	v_add3_u32 v1, v1, v3, v2
	v_lshlrev_b64 v[0:1], 4, v[0:1]
	v_mov_b32_e32 v2, s13
	v_add_co_u32_e32 v38, vcc, s12, v0
	s_cselect_b32 s18, s25, 0
	v_addc_co_u32_e32 v39, vcc, v2, v1, vcc
	v_cmp_eq_u32_e64 s[0:1], 0, v202
	s_and_saveexec_b64 s[4:5], s[0:1]
	s_cbranch_execz .LBB48_14
; %bb.10:
	s_cmp_lg_u32 s18, 0
	s_cselect_b64 s[8:9], -1, 0
	v_cmp_le_i32_e32 vcc, s18, v201
	v_mov_b32_e32 v0, 0x4700
	s_and_b64 s[8:9], s[8:9], vcc
	v_lshl_add_u32 v0, v201, 4, v0
	s_and_saveexec_b64 s[10:11], s[8:9]
	s_xor_b64 s[8:9], exec, s[10:11]
	s_cbranch_execz .LBB48_12
; %bb.11:
	v_mov_b32_e32 v2, 0
	v_mov_b32_e32 v3, v2
	;; [unrolled: 1-line block ×4, first 2 shown]
	ds_write_b128 v0, v[2:5]
                                        ; implicit-def: $vgpr0
.LBB48_12:
	s_andn2_saveexec_b64 s[8:9], s[8:9]
	s_cbranch_execz .LBB48_14
; %bb.13:
	flat_load_dwordx4 v[2:5], v[38:39]
	s_waitcnt vmcnt(0) lgkmcnt(0)
	ds_write2_b64 v0, v[2:3], v[4:5] offset1:1
.LBB48_14:
	s_or_b64 exec, exec, s[4:5]
	s_ashr_i32 s29, s28, 31
	v_lshl_add_u32 v42, v202, 6, v201
	s_lshl_b64 s[4:5], s[28:29], 4
	v_and_b32_e32 v4, 31, v201
	v_lshrrev_b32_e32 v12, 5, v42
	s_add_u32 s4, s2, s4
	v_mov_b32_e32 v5, 0
	s_addc_u32 s5, s3, s5
	v_mad_u64_u32 v[0:1], s[2:3], v12, s22, v[4:5]
	v_mov_b32_e32 v2, v1
	v_mad_u64_u32 v[2:3], s[2:3], v12, s23, v[2:3]
	s_mul_i32 s2, s28, s23
	s_mul_hi_u32 s3, s28, s22
	s_add_i32 s2, s3, s2
	s_mul_i32 s3, s29, s22
	s_add_i32 s3, s2, s3
	s_mul_i32 s2, s28, s22
	s_lshl_b64 s[2:3], s[2:3], 4
	s_add_u32 s2, s2, s4
	v_mov_b32_e32 v1, v2
	s_addc_u32 s3, s3, s5
	v_lshlrev_b64 v[36:37], 4, v[0:1]
	s_cmp_eq_u32 s18, 0
	v_mov_b32_e32 v1, s3
	v_add_co_u32_e32 v0, vcc, s2, v36
	s_cselect_b64 s[20:21], -1, 0
	s_cmp_lg_u32 s18, 0
	v_addc_co_u32_e32 v1, vcc, v1, v37, vcc
	s_cselect_b64 s[30:31], -1, 0
	s_and_b64 vcc, exec, s[30:31]
	v_cmp_gt_i32_e64 s[2:3], s18, v4
	v_lshlrev_b32_e32 v13, 4, v4
	v_mul_u32_u24_e32 v5, 33, v12
	s_mul_i32 s39, s23, 0x180
	s_cbranch_vccz .LBB48_32
; %bb.15:
	v_sub_co_u32_e32 v2, vcc, v0, v13
	s_ashr_i32 s19, s18, 31
	v_subbrev_co_u32_e32 v3, vcc, 0, v1, vcc
	s_lshl_b64 s[4:5], s[18:19], 4
	v_mov_b32_e32 v6, s5
	v_add_co_u32_e32 v2, vcc, s4, v2
	v_addc_co_u32_e32 v3, vcc, v3, v6, vcc
	v_add_co_u32_e32 v2, vcc, -16, v2
	v_addc_co_u32_e32 v3, vcc, -1, v3, vcc
	v_cndmask_b32_e64 v3, v3, v1, s[2:3]
	v_cndmask_b32_e64 v2, v2, v0, s[2:3]
	v_cmp_le_i32_e32 vcc, s18, v12
	v_add_lshl_u32 v6, v5, v4, 4
	s_and_saveexec_b64 s[8:9], vcc
	s_xor_b64 s[8:9], exec, s[8:9]
	s_cbranch_execz .LBB48_17
; %bb.16:
	v_mov_b32_e32 v8, 0
	v_mov_b32_e32 v9, v8
	;; [unrolled: 1-line block ×4, first 2 shown]
	ds_write_b128 v6, v[8:11]
.LBB48_17:
	s_andn2_saveexec_b64 s[8:9], s[8:9]
	s_cbranch_execz .LBB48_19
; %bb.18:
	flat_load_dwordx4 v[8:11], v[2:3]
	s_waitcnt vmcnt(0) lgkmcnt(0)
	ds_write2_b64 v6, v[8:9], v[10:11] offset1:1
.LBB48_19:
	s_or_b64 exec, exec, s[8:9]
	v_add_u32_e32 v7, 8, v12
	v_cmp_le_i32_e32 vcc, s18, v7
	s_and_saveexec_b64 s[8:9], vcc
	s_xor_b64 s[8:9], exec, s[8:9]
	s_cbranch_execz .LBB48_21
; %bb.20:
	v_mul_u32_u24_e32 v7, 33, v7
	v_mov_b32_e32 v8, 0
	v_add_lshl_u32 v7, v7, v4, 4
	v_mov_b32_e32 v9, v8
	v_mov_b32_e32 v10, v8
	;; [unrolled: 1-line block ×3, first 2 shown]
	ds_write_b128 v7, v[8:11]
.LBB48_21:
	s_andn2_saveexec_b64 s[8:9], s[8:9]
	s_cbranch_execz .LBB48_23
; %bb.22:
	s_lshl_b64 s[10:11], s[22:23], 7
	v_mov_b32_e32 v7, s11
	v_add_co_u32_e32 v8, vcc, s10, v2
	v_addc_co_u32_e32 v9, vcc, v3, v7, vcc
	flat_load_dwordx4 v[8:11], v[8:9]
	v_add_u32_e32 v7, 0x1080, v6
	s_waitcnt vmcnt(0) lgkmcnt(0)
	ds_write2_b64 v7, v[8:9], v[10:11] offset1:1
.LBB48_23:
	s_or_b64 exec, exec, s[8:9]
	v_add_u32_e32 v7, 16, v12
	v_cmp_le_i32_e32 vcc, s18, v7
	s_and_saveexec_b64 s[8:9], vcc
	s_xor_b64 s[8:9], exec, s[8:9]
	s_cbranch_execz .LBB48_25
; %bb.24:
	v_mov_b32_e32 v8, 0
	v_mov_b32_e32 v9, v8
	;; [unrolled: 1-line block ×4, first 2 shown]
	ds_write_b128 v6, v[8:11] offset:8448
.LBB48_25:
	s_andn2_saveexec_b64 s[8:9], s[8:9]
	s_cbranch_execz .LBB48_27
; %bb.26:
	s_lshl_b64 s[10:11], s[22:23], 8
	v_mov_b32_e32 v7, s11
	v_add_co_u32_e32 v8, vcc, s10, v2
	v_addc_co_u32_e32 v9, vcc, v3, v7, vcc
	flat_load_dwordx4 v[8:11], v[8:9]
	v_add_u32_e32 v7, 0x2100, v6
	s_waitcnt vmcnt(0) lgkmcnt(0)
	ds_write2_b64 v7, v[8:9], v[10:11] offset1:1
.LBB48_27:
	s_or_b64 exec, exec, s[8:9]
	v_add_u32_e32 v7, 24, v12
	v_cmp_le_i32_e32 vcc, s18, v7
	s_and_saveexec_b64 s[8:9], vcc
	s_xor_b64 s[8:9], exec, s[8:9]
	s_cbranch_execz .LBB48_29
; %bb.28:
	v_mov_b32_e32 v8, 0
	v_mov_b32_e32 v9, v8
	;; [unrolled: 1-line block ×4, first 2 shown]
	ds_write_b128 v6, v[8:11] offset:12672
                                        ; implicit-def: $vgpr6
.LBB48_29:
	s_andn2_saveexec_b64 s[8:9], s[8:9]
	s_cbranch_execz .LBB48_31
; %bb.30:
	v_mov_b32_e32 v7, 0x180
	v_mad_u64_u32 v[8:9], s[10:11], s22, v7, v[2:3]
	v_add_u32_e32 v9, s39, v9
	flat_load_dwordx4 v[8:11], v[8:9]
	v_add_u32_e32 v6, 0x3180, v6
	s_waitcnt vmcnt(0) lgkmcnt(0)
	ds_write2_b64 v6, v[8:9], v[10:11] offset1:1
.LBB48_31:
	s_or_b64 exec, exec, s[8:9]
	v_add_co_u32_e32 v2, vcc, v2, v13
	v_addc_co_u32_e32 v3, vcc, 0, v3, vcc
	v_mov_b32_e32 v6, s5
	v_subrev_co_u32_e32 v2, vcc, s4, v2
	v_subb_co_u32_e32 v3, vcc, v3, v6, vcc
	v_add_co_u32_e32 v2, vcc, 16, v2
	v_addc_co_u32_e32 v3, vcc, 0, v3, vcc
	v_cndmask_b32_e64 v7, v3, v1, s[2:3]
	v_cndmask_b32_e64 v6, v2, v0, s[2:3]
	s_branch .LBB48_34
.LBB48_32:
                                        ; implicit-def: $vgpr6_vgpr7
	s_cbranch_execz .LBB48_34
; %bb.33:
	flat_load_dwordx4 v[6:9], v[0:1]
	s_lshl_b64 s[2:3], s[22:23], 7
	v_add_lshl_u32 v10, v5, v4, 4
	v_mov_b32_e32 v11, s3
	v_add_co_u32_e32 v2, vcc, s2, v0
	v_addc_co_u32_e32 v3, vcc, v1, v11, vcc
	v_add_u32_e32 v14, 0x1080, v10
	s_waitcnt vmcnt(0) lgkmcnt(0)
	ds_write2_b64 v10, v[6:7], v[8:9] offset1:1
	flat_load_dwordx4 v[6:9], v[2:3]
	v_add_co_u32_e32 v2, vcc, s2, v2
	v_addc_co_u32_e32 v3, vcc, v3, v11, vcc
	v_add_u32_e32 v11, 0x2100, v10
	s_waitcnt vmcnt(0) lgkmcnt(0)
	ds_write2_b64 v14, v[6:7], v[8:9] offset1:1
	flat_load_dwordx4 v[6:9], v[2:3]
	v_mov_b32_e32 v2, 0x180
	v_mad_u64_u32 v[2:3], s[2:3], s22, v2, v[0:1]
	v_add_u32_e32 v3, s39, v3
	s_waitcnt vmcnt(0) lgkmcnt(0)
	ds_write2_b64 v11, v[6:7], v[8:9] offset1:1
	flat_load_dwordx4 v[6:9], v[2:3]
	v_add_u32_e32 v2, 0x3180, v10
	s_waitcnt vmcnt(0) lgkmcnt(0)
	ds_write2_b64 v2, v[6:7], v[8:9] offset1:1
	v_pk_mov_b32 v[6:7], v[0:1], v[0:1] op_sel:[0,1]
.LBB48_34:
	v_lshlrev_b32_e32 v18, 2, v12
	v_cmp_le_u32_e64 s[4:5], v18, v4
	s_waitcnt lgkmcnt(0)
	s_barrier
	s_and_saveexec_b64 s[2:3], s[4:5]
	s_xor_b64 s[2:3], exec, s[2:3]
	s_cbranch_execz .LBB48_38
; %bb.35:
	v_cmp_eq_u32_e32 vcc, v18, v4
	s_and_saveexec_b64 s[8:9], vcc
	s_cbranch_execz .LBB48_37
; %bb.36:
	v_mul_u32_u24_e32 v0, 34, v4
	v_lshlrev_b32_e32 v2, 4, v0
	v_mov_b32_e32 v0, 0
	v_mov_b32_e32 v1, v0
	ds_write_b64 v2, v[0:1] offset:8
.LBB48_37:
	s_or_b64 exec, exec, s[8:9]
.LBB48_38:
	s_or_saveexec_b64 s[2:3], s[2:3]
	v_mul_u32_u24_e32 v14, 33, v4
	v_add_lshl_u32 v15, v18, v14, 4
	s_xor_b64 exec, exec, s[2:3]
	s_cbranch_execz .LBB48_40
; %bb.39:
	v_mul_u32_u24_e32 v0, 0x84, v12
	v_add_lshl_u32 v0, v0, v4, 4
	ds_read_b128 v[0:3], v0
	s_waitcnt lgkmcnt(0)
	v_xor_b32_e32 v3, 0x80000000, v3
	ds_write_b128 v15, v[0:3]
.LBB48_40:
	s_or_b64 exec, exec, s[2:3]
	v_or_b32_e32 v17, 1, v18
	v_cmp_ge_u32_e64 s[14:15], v18, v4
	v_mul_u32_u24_e32 v0, 33, v17
	s_and_saveexec_b64 s[2:3], s[14:15]
	s_xor_b64 s[2:3], exec, s[2:3]
	s_cbranch_execz .LBB48_42
; %bb.41:
	v_add_lshl_u32 v1, v0, v4, 4
	ds_read_b128 v[8:11], v1
	s_waitcnt lgkmcnt(0)
	v_xor_b32_e32 v11, 0x80000000, v11
	ds_write_b128 v15, v[8:11] offset:16
.LBB48_42:
	s_andn2_saveexec_b64 s[2:3], s[2:3]
	s_cbranch_execz .LBB48_46
; %bb.43:
	v_cmp_eq_u32_e32 vcc, v17, v4
	s_and_saveexec_b64 s[8:9], vcc
	s_cbranch_execz .LBB48_45
; %bb.44:
	v_mul_u32_u24_e32 v1, 34, v4
	v_mov_b32_e32 v2, 0
	v_lshlrev_b32_e32 v1, 4, v1
	v_mov_b32_e32 v3, v2
	ds_write_b64 v1, v[2:3] offset:8
.LBB48_45:
	s_or_b64 exec, exec, s[8:9]
.LBB48_46:
	s_or_b64 exec, exec, s[2:3]
	v_or_b32_e32 v19, 2, v18
	v_cmp_le_u32_e64 s[8:9], v19, v4
	s_and_saveexec_b64 s[2:3], s[8:9]
	s_xor_b64 s[2:3], exec, s[2:3]
	s_cbranch_execz .LBB48_50
; %bb.47:
	v_cmp_eq_u32_e32 vcc, v19, v4
	s_and_saveexec_b64 s[10:11], vcc
	s_cbranch_execz .LBB48_49
; %bb.48:
	v_mul_u32_u24_e32 v1, 34, v4
	v_mov_b32_e32 v2, 0
	v_lshlrev_b32_e32 v1, 4, v1
	v_mov_b32_e32 v3, v2
	ds_write_b64 v1, v[2:3] offset:8
.LBB48_49:
	s_or_b64 exec, exec, s[10:11]
.LBB48_50:
	s_andn2_saveexec_b64 s[2:3], s[2:3]
	s_cbranch_execz .LBB48_52
; %bb.51:
	v_mul_u32_u24_e32 v1, 33, v19
	v_add_lshl_u32 v1, v1, v4, 4
	ds_read_b128 v[8:11], v1
	s_waitcnt lgkmcnt(0)
	v_xor_b32_e32 v11, 0x80000000, v11
	ds_write_b128 v15, v[8:11] offset:32
.LBB48_52:
	s_or_b64 exec, exec, s[2:3]
	v_or_b32_e32 v20, 3, v18
	v_cmp_le_u32_e64 s[10:11], v20, v4
	s_and_saveexec_b64 s[2:3], s[10:11]
	s_xor_b64 s[2:3], exec, s[2:3]
	s_cbranch_execz .LBB48_56
; %bb.53:
	v_cmp_eq_u32_e32 vcc, v20, v4
	s_and_saveexec_b64 s[12:13], vcc
	s_cbranch_execz .LBB48_55
; %bb.54:
	v_mul_u32_u24_e32 v1, 34, v4
	v_mov_b32_e32 v2, 0
	v_lshlrev_b32_e32 v1, 4, v1
	v_mov_b32_e32 v3, v2
	ds_write_b64 v1, v[2:3] offset:8
.LBB48_55:
	s_or_b64 exec, exec, s[12:13]
.LBB48_56:
	s_andn2_saveexec_b64 s[2:3], s[2:3]
	s_cbranch_execz .LBB48_58
; %bb.57:
	v_mul_u32_u24_e32 v1, 33, v20
	v_add_lshl_u32 v1, v1, v4, 4
	ds_read_b128 v[8:11], v1
	s_waitcnt lgkmcnt(0)
	v_xor_b32_e32 v11, 0x80000000, v11
	ds_write_b128 v15, v[8:11] offset:48
.LBB48_58:
	s_or_b64 exec, exec, s[2:3]
	v_mul_u32_u24_e32 v1, 0x84, v12
	v_lshlrev_b32_e32 v21, 4, v18
	s_waitcnt lgkmcnt(0)
	s_barrier
	v_add_lshl_u32 v16, v1, v4, 4
	ds_read_b128 v[8:11], v21 offset:18176
	ds_read_b128 v[22:25], v21 offset:18192
	ds_read_b128 v[26:29], v16
	ds_read_b128 v[30:33], v21 offset:18208
	ds_read_b128 v[46:49], v21 offset:18224
	v_add_lshl_u32 v45, v0, v4, 4
	ds_read_b128 v[0:3], v45
	s_waitcnt lgkmcnt(3)
	v_mul_f64 v[34:35], v[10:11], v[28:29]
	v_fma_f64 v[34:35], v[8:9], v[26:27], -v[34:35]
	v_mul_f64 v[8:9], v[8:9], v[28:29]
	v_fmac_f64_e32 v[8:9], v[10:11], v[26:27]
	v_add_f64 v[28:29], v[8:9], 0
	s_waitcnt lgkmcnt(0)
	v_mul_f64 v[8:9], v[24:25], v[2:3]
	v_add_f64 v[26:27], v[34:35], 0
	v_fma_f64 v[34:35], v[22:23], v[0:1], -v[8:9]
	v_mul_f64 v[2:3], v[22:23], v[2:3]
	ds_read_b128 v[8:11], v45 offset:528
	v_fmac_f64_e32 v[2:3], v[24:25], v[0:1]
	v_add_f64 v[24:25], v[28:29], v[2:3]
	ds_read_b128 v[0:3], v45 offset:1056
	v_add_f64 v[22:23], v[26:27], v[34:35]
	s_waitcnt lgkmcnt(1)
	v_mul_f64 v[26:27], v[32:33], v[10:11]
	v_fma_f64 v[26:27], v[30:31], v[8:9], -v[26:27]
	v_mul_f64 v[10:11], v[30:31], v[10:11]
	v_fmac_f64_e32 v[10:11], v[32:33], v[8:9]
	v_add_f64 v[8:9], v[22:23], v[26:27]
	s_waitcnt lgkmcnt(0)
	v_mul_f64 v[22:23], v[48:49], v[2:3]
	v_mul_f64 v[2:3], v[46:47], v[2:3]
	v_add_f64 v[10:11], v[24:25], v[10:11]
	v_fma_f64 v[22:23], v[46:47], v[0:1], -v[22:23]
	v_fmac_f64_e32 v[2:3], v[48:49], v[0:1]
	v_add_f64 v[0:1], v[8:9], v[22:23]
	v_add_f64 v[2:3], v[10:11], v[2:3]
	v_add_lshl_u32 v44, v12, v14, 4
	s_barrier
	ds_write_b128 v44, v[0:3]
	v_pk_mov_b32 v[0:1], 0, 0
	v_cmp_gt_u32_e64 s[2:3], 32, v42
	v_lshlrev_b32_e32 v43, 4, v14
	v_pk_mov_b32 v[2:3], v[0:1], v[0:1] op_sel:[0,1]
	s_waitcnt lgkmcnt(0)
	s_barrier
	s_and_saveexec_b64 s[12:13], s[2:3]
	s_cbranch_execz .LBB48_60
; %bb.59:
	ds_read_b128 v[0:3], v43
	ds_read_b128 v[8:11], v43 offset:16
	ds_read_b128 v[22:25], v43 offset:32
	;; [unrolled: 1-line block ×3, first 2 shown]
	s_waitcnt lgkmcnt(2)
	v_add_f64 v[0:1], v[8:9], v[0:1]
	v_add_f64 v[8:9], v[10:11], v[2:3]
	s_waitcnt lgkmcnt(1)
	v_add_f64 v[10:11], v[0:1], v[22:23]
	ds_read_b128 v[0:3], v43 offset:64
	v_add_f64 v[8:9], v[8:9], v[24:25]
	s_waitcnt lgkmcnt(1)
	v_add_f64 v[22:23], v[10:11], v[26:27]
	v_add_f64 v[26:27], v[8:9], v[28:29]
	ds_read_b128 v[8:11], v43 offset:80
	s_waitcnt lgkmcnt(1)
	v_add_f64 v[28:29], v[22:23], v[0:1]
	ds_read_b128 v[22:25], v43 offset:96
	v_add_f64 v[26:27], v[26:27], v[2:3]
	ds_read_b128 v[0:3], v43 offset:112
	s_waitcnt lgkmcnt(2)
	v_add_f64 v[8:9], v[28:29], v[8:9]
	v_add_f64 v[10:11], v[26:27], v[10:11]
	s_waitcnt lgkmcnt(1)
	v_add_f64 v[8:9], v[8:9], v[22:23]
	v_add_f64 v[10:11], v[10:11], v[24:25]
	;; [unrolled: 3-line block ×3, first 2 shown]
.LBB48_60:
	s_or_b64 exec, exec, s[12:13]
	s_lshl_b64 s[12:13], s[22:23], 9
	v_mov_b32_e32 v8, s13
	v_add_co_u32_e32 v10, vcc, s12, v6
	v_addc_co_u32_e32 v11, vcc, v7, v8, vcc
	v_add_co_u32_e32 v8, vcc, 0x200, v10
	v_addc_co_u32_e32 v9, vcc, 0, v11, vcc
	s_and_b64 vcc, exec, s[30:31]
	s_barrier
	s_cbranch_vccz .LBB48_78
; %bb.61:
	v_or_b32_e32 v6, 32, v4
	v_lshlrev_b32_e32 v7, 4, v6
	v_sub_co_u32_e32 v7, vcc, v8, v7
	s_ashr_i32 s19, s18, 31
	v_subbrev_co_u32_e32 v22, vcc, 0, v9, vcc
	s_lshl_b64 s[34:35], s[18:19], 4
	v_mov_b32_e32 v23, s35
	v_add_co_u32_e32 v7, vcc, s34, v7
	v_addc_co_u32_e32 v22, vcc, v22, v23, vcc
	v_add_co_u32_e32 v23, vcc, -16, v7
	v_addc_co_u32_e32 v7, vcc, -1, v22, vcc
	v_cmp_gt_i32_e64 s[12:13], s18, v6
	s_sub_i32 s19, s18, 32
	v_cndmask_b32_e64 v7, v7, v9, s[12:13]
	v_cndmask_b32_e64 v6, v23, v8, s[12:13]
	v_cmp_le_i32_e32 vcc, s19, v12
	v_add_lshl_u32 v22, v5, v4, 4
	s_and_saveexec_b64 s[36:37], vcc
	s_xor_b64 s[36:37], exec, s[36:37]
	s_cbranch_execz .LBB48_63
; %bb.62:
	v_mov_b32_e32 v24, 0
	v_mov_b32_e32 v25, v24
	;; [unrolled: 1-line block ×4, first 2 shown]
	ds_write_b128 v22, v[24:27]
.LBB48_63:
	s_andn2_saveexec_b64 s[36:37], s[36:37]
	s_cbranch_execz .LBB48_65
; %bb.64:
	flat_load_dwordx4 v[24:27], v[6:7]
	s_waitcnt vmcnt(0) lgkmcnt(0)
	ds_write2_b64 v22, v[24:25], v[26:27] offset1:1
.LBB48_65:
	s_or_b64 exec, exec, s[36:37]
	v_add_u32_e32 v23, 8, v12
	v_cmp_le_i32_e32 vcc, s19, v23
	s_and_saveexec_b64 s[36:37], vcc
	s_xor_b64 s[36:37], exec, s[36:37]
	s_cbranch_execz .LBB48_67
; %bb.66:
	v_mul_u32_u24_e32 v23, 33, v23
	v_mov_b32_e32 v24, 0
	v_add_lshl_u32 v23, v23, v4, 4
	v_mov_b32_e32 v25, v24
	v_mov_b32_e32 v26, v24
	;; [unrolled: 1-line block ×3, first 2 shown]
	ds_write_b128 v23, v[24:27]
.LBB48_67:
	s_andn2_saveexec_b64 s[36:37], s[36:37]
	s_cbranch_execz .LBB48_69
; %bb.68:
	s_lshl_b64 s[40:41], s[22:23], 7
	v_mov_b32_e32 v23, s41
	v_add_co_u32_e32 v24, vcc, s40, v6
	v_addc_co_u32_e32 v25, vcc, v7, v23, vcc
	flat_load_dwordx4 v[24:27], v[24:25]
	v_add_u32_e32 v23, 0x1080, v22
	s_waitcnt vmcnt(0) lgkmcnt(0)
	ds_write2_b64 v23, v[24:25], v[26:27] offset1:1
.LBB48_69:
	s_or_b64 exec, exec, s[36:37]
	v_add_u32_e32 v23, 16, v12
	v_cmp_le_i32_e32 vcc, s19, v23
	s_and_saveexec_b64 s[36:37], vcc
	s_xor_b64 s[36:37], exec, s[36:37]
	s_cbranch_execz .LBB48_71
; %bb.70:
	v_mov_b32_e32 v24, 0
	v_mov_b32_e32 v25, v24
	v_mov_b32_e32 v26, v24
	v_mov_b32_e32 v27, v24
	ds_write_b128 v22, v[24:27] offset:8448
.LBB48_71:
	s_andn2_saveexec_b64 s[36:37], s[36:37]
	s_cbranch_execz .LBB48_73
; %bb.72:
	s_lshl_b64 s[40:41], s[22:23], 8
	v_mov_b32_e32 v23, s41
	v_add_co_u32_e32 v24, vcc, s40, v6
	v_addc_co_u32_e32 v25, vcc, v7, v23, vcc
	flat_load_dwordx4 v[24:27], v[24:25]
	v_add_u32_e32 v23, 0x2100, v22
	s_waitcnt vmcnt(0) lgkmcnt(0)
	ds_write2_b64 v23, v[24:25], v[26:27] offset1:1
.LBB48_73:
	s_or_b64 exec, exec, s[36:37]
	v_add_u32_e32 v23, 24, v12
	v_cmp_le_i32_e32 vcc, s19, v23
	s_and_saveexec_b64 s[36:37], vcc
	s_xor_b64 s[36:37], exec, s[36:37]
	s_cbranch_execz .LBB48_75
; %bb.74:
	v_mov_b32_e32 v24, 0
	v_mov_b32_e32 v25, v24
	;; [unrolled: 1-line block ×4, first 2 shown]
	ds_write_b128 v22, v[24:27] offset:12672
                                        ; implicit-def: $vgpr22
.LBB48_75:
	s_andn2_saveexec_b64 s[36:37], s[36:37]
	s_cbranch_execz .LBB48_77
; %bb.76:
	v_mov_b32_e32 v23, 0x180
	v_mad_u64_u32 v[24:25], s[40:41], s22, v23, v[6:7]
	v_add_u32_e32 v25, s39, v25
	flat_load_dwordx4 v[24:27], v[24:25]
	v_add_u32_e32 v22, 0x3180, v22
	s_waitcnt vmcnt(0) lgkmcnt(0)
	ds_write2_b64 v22, v[24:25], v[26:27] offset1:1
.LBB48_77:
	s_or_b64 exec, exec, s[36:37]
	v_add_co_u32_e32 v6, vcc, v6, v13
	v_addc_co_u32_e32 v7, vcc, 0, v7, vcc
	v_mov_b32_e32 v22, s35
	v_subrev_co_u32_e32 v6, vcc, s34, v6
	v_subb_co_u32_e32 v7, vcc, v7, v22, vcc
	v_add_co_u32_e32 v6, vcc, 0x210, v6
	v_addc_co_u32_e32 v7, vcc, 0, v7, vcc
	v_cndmask_b32_e64 v7, v7, v9, s[12:13]
	v_cndmask_b32_e64 v6, v6, v8, s[12:13]
	s_branch .LBB48_80
.LBB48_78:
                                        ; implicit-def: $vgpr6_vgpr7
	s_cbranch_execz .LBB48_80
; %bb.79:
	flat_load_dwordx4 v[22:25], v[8:9]
	s_lshl_b64 s[12:13], s[22:23], 7
	v_add_lshl_u32 v26, v5, v4, 4
	v_mov_b32_e32 v27, s13
	v_add_co_u32_e32 v6, vcc, s12, v10
	v_addc_co_u32_e32 v7, vcc, v11, v27, vcc
	v_add_u32_e32 v28, 0x1080, v26
	s_waitcnt vmcnt(0) lgkmcnt(0)
	ds_write2_b64 v26, v[22:23], v[24:25] offset1:1
	flat_load_dwordx4 v[22:25], v[6:7] offset:512
	v_add_co_u32_e32 v6, vcc, s12, v6
	v_addc_co_u32_e32 v7, vcc, v7, v27, vcc
	v_add_u32_e32 v27, 0x2100, v26
	s_waitcnt vmcnt(0) lgkmcnt(0)
	ds_write2_b64 v28, v[22:23], v[24:25] offset1:1
	flat_load_dwordx4 v[22:25], v[6:7] offset:512
	v_mov_b32_e32 v6, 0x180
	v_mad_u64_u32 v[6:7], s[12:13], s22, v6, v[10:11]
	v_add_u32_e32 v7, s39, v7
	s_waitcnt vmcnt(0) lgkmcnt(0)
	ds_write2_b64 v27, v[22:23], v[24:25] offset1:1
	flat_load_dwordx4 v[22:25], v[6:7] offset:512
	v_add_u32_e32 v6, 0x3180, v26
	s_waitcnt vmcnt(0) lgkmcnt(0)
	ds_write2_b64 v6, v[22:23], v[24:25] offset1:1
	v_pk_mov_b32 v[6:7], v[8:9], v[8:9] op_sel:[0,1]
.LBB48_80:
	s_waitcnt lgkmcnt(0)
	s_barrier
	s_and_saveexec_b64 s[12:13], s[4:5]
	s_xor_b64 s[4:5], exec, s[12:13]
	s_cbranch_execnz .LBB48_109
; %bb.81:
	s_andn2_saveexec_b64 s[4:5], s[4:5]
	s_cbranch_execnz .LBB48_112
.LBB48_82:
	s_or_b64 exec, exec, s[4:5]
	s_and_saveexec_b64 s[4:5], s[14:15]
	s_xor_b64 s[4:5], exec, s[4:5]
	s_cbranch_execnz .LBB48_113
.LBB48_83:
	s_andn2_saveexec_b64 s[4:5], s[4:5]
	s_cbranch_execnz .LBB48_114
.LBB48_84:
	s_or_b64 exec, exec, s[4:5]
	s_and_saveexec_b64 s[4:5], s[8:9]
	s_xor_b64 s[4:5], exec, s[4:5]
	s_cbranch_execnz .LBB48_117
.LBB48_85:
	s_andn2_saveexec_b64 s[4:5], s[4:5]
	s_cbranch_execnz .LBB48_120
.LBB48_86:
	s_or_b64 exec, exec, s[4:5]
	s_and_saveexec_b64 s[4:5], s[10:11]
	s_xor_b64 s[4:5], exec, s[4:5]
	s_cbranch_execnz .LBB48_121
.LBB48_87:
	s_or_saveexec_b64 s[4:5], s[4:5]
	v_add_u32_e32 v10, 0x4700, v21
	s_xor_b64 exec, exec, s[4:5]
	s_cbranch_execz .LBB48_89
.LBB48_88:
	ds_read_b128 v[18:21], v45 offset:1056
	s_waitcnt lgkmcnt(0)
	v_xor_b32_e32 v21, 0x80000000, v21
	ds_write_b128 v15, v[18:21] offset:48
.LBB48_89:
	s_or_b64 exec, exec, s[4:5]
	s_waitcnt lgkmcnt(0)
	s_barrier
	ds_read_b128 v[18:21], v10 offset:512
	ds_read_b128 v[22:25], v16
	ds_read_b128 v[26:29], v10 offset:528
	ds_read_b128 v[30:33], v10 offset:544
	;; [unrolled: 1-line block ×3, first 2 shown]
	ds_read_b128 v[50:53], v45
	v_cmp_eq_u32_e64 s[4:5], 1, v12
	s_waitcnt lgkmcnt(4)
	v_mul_f64 v[8:9], v[20:21], v[24:25]
	v_fma_f64 v[8:9], v[18:19], v[22:23], -v[8:9]
	v_mul_f64 v[18:19], v[18:19], v[24:25]
	v_fmac_f64_e32 v[18:19], v[20:21], v[22:23]
	v_add_f64 v[22:23], v[18:19], 0
	s_waitcnt lgkmcnt(0)
	v_mul_f64 v[18:19], v[28:29], v[52:53]
	v_fma_f64 v[24:25], v[26:27], v[50:51], -v[18:19]
	v_mul_f64 v[26:27], v[26:27], v[52:53]
	v_add_f64 v[8:9], v[8:9], 0
	ds_read_b128 v[18:21], v45 offset:528
	v_fmac_f64_e32 v[26:27], v[28:29], v[50:51]
	v_add_f64 v[8:9], v[8:9], v[24:25]
	v_add_f64 v[26:27], v[22:23], v[26:27]
	ds_read_b128 v[22:25], v45 offset:1056
	s_waitcnt lgkmcnt(1)
	v_mul_f64 v[28:29], v[32:33], v[20:21]
	v_mul_f64 v[20:21], v[30:31], v[20:21]
	v_fma_f64 v[28:29], v[30:31], v[18:19], -v[28:29]
	v_fmac_f64_e32 v[20:21], v[32:33], v[18:19]
	s_waitcnt lgkmcnt(0)
	v_mul_f64 v[18:19], v[48:49], v[24:25]
	v_mul_f64 v[24:25], v[46:47], v[24:25]
	v_add_f64 v[8:9], v[8:9], v[28:29]
	v_add_f64 v[20:21], v[26:27], v[20:21]
	v_fma_f64 v[18:19], v[46:47], v[22:23], -v[18:19]
	v_fmac_f64_e32 v[24:25], v[48:49], v[22:23]
	v_add_f64 v[18:19], v[8:9], v[18:19]
	v_add_f64 v[20:21], v[20:21], v[24:25]
	s_barrier
	ds_write_b128 v44, v[18:21]
	s_waitcnt lgkmcnt(0)
	s_barrier
	s_and_saveexec_b64 s[8:9], s[4:5]
	s_cbranch_execz .LBB48_91
; %bb.90:
	ds_read_b128 v[0:3], v43
	ds_read_b128 v[18:21], v43 offset:16
	ds_read_b128 v[22:25], v43 offset:32
	;; [unrolled: 1-line block ×3, first 2 shown]
	s_waitcnt lgkmcnt(2)
	v_add_f64 v[0:1], v[18:19], v[0:1]
	v_add_f64 v[8:9], v[20:21], v[2:3]
	s_waitcnt lgkmcnt(1)
	v_add_f64 v[18:19], v[0:1], v[22:23]
	ds_read_b128 v[0:3], v43 offset:64
	v_add_f64 v[8:9], v[8:9], v[24:25]
	s_waitcnt lgkmcnt(1)
	v_add_f64 v[22:23], v[18:19], v[26:27]
	ds_read_b128 v[18:21], v43 offset:80
	v_add_f64 v[8:9], v[8:9], v[28:29]
	s_waitcnt lgkmcnt(1)
	v_add_f64 v[26:27], v[22:23], v[0:1]
	ds_read_b128 v[22:25], v43 offset:96
	v_add_f64 v[8:9], v[8:9], v[2:3]
	ds_read_b128 v[0:3], v43 offset:112
	s_waitcnt lgkmcnt(2)
	v_add_f64 v[18:19], v[26:27], v[18:19]
	v_add_f64 v[8:9], v[8:9], v[20:21]
	s_waitcnt lgkmcnt(1)
	v_add_f64 v[18:19], v[18:19], v[22:23]
	v_add_f64 v[8:9], v[8:9], v[24:25]
	;; [unrolled: 3-line block ×3, first 2 shown]
.LBB48_91:
	s_or_b64 exec, exec, s[8:9]
	v_add_co_u32_e32 v6, vcc, 0xfffffe00, v6
	v_addc_co_u32_e32 v7, vcc, -1, v7, vcc
	s_and_b64 vcc, exec, s[30:31]
	s_barrier
	s_cbranch_vccz .LBB48_124
; %bb.92:
	v_sub_co_u32_e32 v8, vcc, v6, v13
	s_ashr_i32 s19, s18, 31
	v_subbrev_co_u32_e32 v9, vcc, 0, v7, vcc
	s_lshl_b64 s[10:11], s[18:19], 4
	v_mov_b32_e32 v11, s11
	v_add_co_u32_e32 v8, vcc, s10, v8
	v_addc_co_u32_e32 v9, vcc, v9, v11, vcc
	v_add_co_u32_e32 v8, vcc, -16, v8
	v_addc_co_u32_e32 v9, vcc, -1, v9, vcc
	v_cmp_gt_i32_e32 vcc, s18, v4
	s_sub_i32 s14, s18, 32
	v_cndmask_b32_e32 v9, v9, v7, vcc
	v_cndmask_b32_e32 v8, v8, v6, vcc
	v_cmp_le_i32_e64 s[8:9], s14, v12
	v_add_lshl_u32 v18, v5, v4, 4
	s_and_saveexec_b64 s[12:13], s[8:9]
	s_xor_b64 s[8:9], exec, s[12:13]
	s_cbranch_execz .LBB48_94
; %bb.93:
	v_mov_b32_e32 v20, 0
	v_mov_b32_e32 v21, v20
	;; [unrolled: 1-line block ×4, first 2 shown]
	ds_write_b128 v18, v[20:23]
.LBB48_94:
	s_andn2_saveexec_b64 s[8:9], s[8:9]
	s_cbranch_execz .LBB48_96
; %bb.95:
	flat_load_dwordx4 v[20:23], v[8:9]
	s_waitcnt vmcnt(0) lgkmcnt(0)
	ds_write2_b64 v18, v[20:21], v[22:23] offset1:1
.LBB48_96:
	s_or_b64 exec, exec, s[8:9]
	v_add_u32_e32 v11, 8, v12
	v_cmp_le_i32_e64 s[8:9], s14, v11
	s_and_saveexec_b64 s[12:13], s[8:9]
	s_xor_b64 s[8:9], exec, s[12:13]
	s_cbranch_execz .LBB48_98
; %bb.97:
	v_mul_u32_u24_e32 v15, 33, v11
	v_mov_b32_e32 v20, 0
	v_add_lshl_u32 v15, v15, v4, 4
	v_mov_b32_e32 v21, v20
	v_mov_b32_e32 v22, v20
	;; [unrolled: 1-line block ×3, first 2 shown]
	ds_write_b128 v15, v[20:23]
.LBB48_98:
	s_andn2_saveexec_b64 s[12:13], s[8:9]
	s_cbranch_execz .LBB48_100
; %bb.99:
	s_lshl_b64 s[8:9], s[22:23], 7
	v_mov_b32_e32 v15, s9
	v_add_co_u32_e64 v20, s[8:9], s8, v8
	v_addc_co_u32_e64 v21, s[8:9], v9, v15, s[8:9]
	flat_load_dwordx4 v[20:23], v[20:21]
	v_add_u32_e32 v15, 0x1080, v18
	s_waitcnt vmcnt(0) lgkmcnt(0)
	ds_write2_b64 v15, v[20:21], v[22:23] offset1:1
.LBB48_100:
	s_or_b64 exec, exec, s[12:13]
	v_add_u32_e32 v15, 16, v12
	v_cmp_le_i32_e64 s[8:9], s14, v15
	s_and_saveexec_b64 s[12:13], s[8:9]
	s_xor_b64 s[8:9], exec, s[12:13]
	s_cbranch_execz .LBB48_102
; %bb.101:
	v_mov_b32_e32 v20, 0
	v_mov_b32_e32 v21, v20
	;; [unrolled: 1-line block ×4, first 2 shown]
	ds_write_b128 v18, v[20:23] offset:8448
.LBB48_102:
	s_andn2_saveexec_b64 s[12:13], s[8:9]
	s_cbranch_execz .LBB48_104
; %bb.103:
	s_lshl_b64 s[8:9], s[22:23], 8
	v_mov_b32_e32 v17, s9
	v_add_co_u32_e64 v20, s[8:9], s8, v8
	v_addc_co_u32_e64 v21, s[8:9], v9, v17, s[8:9]
	flat_load_dwordx4 v[20:23], v[20:21]
	v_add_u32_e32 v17, 0x2100, v18
	s_waitcnt vmcnt(0) lgkmcnt(0)
	ds_write2_b64 v17, v[20:21], v[22:23] offset1:1
.LBB48_104:
	s_or_b64 exec, exec, s[12:13]
	v_add_u32_e32 v17, 24, v12
	v_cmp_le_i32_e64 s[8:9], s14, v17
	s_and_saveexec_b64 s[12:13], s[8:9]
	s_xor_b64 s[8:9], exec, s[12:13]
	s_cbranch_execz .LBB48_106
; %bb.105:
	v_mov_b32_e32 v20, 0
	v_mov_b32_e32 v21, v20
	;; [unrolled: 1-line block ×4, first 2 shown]
	ds_write_b128 v18, v[20:23] offset:12672
                                        ; implicit-def: $vgpr18
.LBB48_106:
	s_andn2_saveexec_b64 s[8:9], s[8:9]
	s_cbranch_execz .LBB48_108
; %bb.107:
	v_mov_b32_e32 v19, 0x180
	v_mad_u64_u32 v[20:21], s[12:13], s22, v19, v[8:9]
	v_add_u32_e32 v21, s39, v21
	flat_load_dwordx4 v[20:23], v[20:21]
	v_add_u32_e32 v18, 0x3180, v18
	s_waitcnt vmcnt(0) lgkmcnt(0)
	ds_write2_b64 v18, v[20:21], v[22:23] offset1:1
.LBB48_108:
	s_or_b64 exec, exec, s[8:9]
	v_add_co_u32_e64 v8, s[8:9], v8, v13
	v_addc_co_u32_e64 v9, s[8:9], 0, v9, s[8:9]
	v_mov_b32_e32 v13, s11
	v_subrev_co_u32_e64 v8, s[8:9], s10, v8
	v_subb_co_u32_e64 v9, s[8:9], v9, v13, s[8:9]
	v_add_co_u32_e64 v8, s[8:9], 16, v8
	v_addc_co_u32_e64 v9, s[8:9], 0, v9, s[8:9]
	v_cndmask_b32_e32 v41, v9, v7, vcc
	v_cndmask_b32_e32 v40, v8, v6, vcc
	s_branch .LBB48_126
.LBB48_109:
	v_cmp_eq_u32_e32 vcc, v18, v4
	s_and_saveexec_b64 s[12:13], vcc
	s_cbranch_execz .LBB48_111
; %bb.110:
	v_mul_u32_u24_e32 v8, 34, v4
	v_lshlrev_b32_e32 v10, 4, v8
	v_mov_b32_e32 v8, 0
	v_mov_b32_e32 v9, v8
	ds_write_b64 v10, v[8:9] offset:8
.LBB48_111:
	s_or_b64 exec, exec, s[12:13]
	s_andn2_saveexec_b64 s[4:5], s[4:5]
	s_cbranch_execz .LBB48_82
.LBB48_112:
	ds_read_b128 v[8:11], v16
	s_waitcnt lgkmcnt(0)
	v_xor_b32_e32 v11, 0x80000000, v11
	ds_write_b128 v15, v[8:11]
	s_or_b64 exec, exec, s[4:5]
	s_and_saveexec_b64 s[4:5], s[14:15]
	s_xor_b64 s[4:5], exec, s[4:5]
	s_cbranch_execz .LBB48_83
.LBB48_113:
	ds_read_b128 v[8:11], v45
                                        ; implicit-def: $vgpr17
	s_waitcnt lgkmcnt(0)
	v_xor_b32_e32 v11, 0x80000000, v11
	ds_write_b128 v15, v[8:11] offset:16
	s_andn2_saveexec_b64 s[4:5], s[4:5]
	s_cbranch_execz .LBB48_84
.LBB48_114:
	v_cmp_eq_u32_e32 vcc, v17, v4
	s_and_saveexec_b64 s[12:13], vcc
	s_cbranch_execz .LBB48_116
; %bb.115:
	v_mul_u32_u24_e32 v8, 34, v4
	v_lshlrev_b32_e32 v10, 4, v8
	v_mov_b32_e32 v8, 0
	v_mov_b32_e32 v9, v8
	ds_write_b64 v10, v[8:9] offset:8
.LBB48_116:
	s_or_b64 exec, exec, s[12:13]
	s_or_b64 exec, exec, s[4:5]
	s_and_saveexec_b64 s[4:5], s[8:9]
	s_xor_b64 s[4:5], exec, s[4:5]
	s_cbranch_execz .LBB48_85
.LBB48_117:
	v_cmp_eq_u32_e32 vcc, v19, v4
	s_and_saveexec_b64 s[8:9], vcc
	s_cbranch_execz .LBB48_119
; %bb.118:
	v_mul_u32_u24_e32 v8, 34, v4
	v_lshlrev_b32_e32 v10, 4, v8
	v_mov_b32_e32 v8, 0
	v_mov_b32_e32 v9, v8
	ds_write_b64 v10, v[8:9] offset:8
.LBB48_119:
	s_or_b64 exec, exec, s[8:9]
	s_andn2_saveexec_b64 s[4:5], s[4:5]
	s_cbranch_execz .LBB48_86
.LBB48_120:
	ds_read_b128 v[8:11], v45 offset:528
	s_waitcnt lgkmcnt(0)
	v_xor_b32_e32 v11, 0x80000000, v11
	ds_write_b128 v15, v[8:11] offset:32
	s_or_b64 exec, exec, s[4:5]
	s_and_saveexec_b64 s[4:5], s[10:11]
	s_xor_b64 s[4:5], exec, s[4:5]
	s_cbranch_execz .LBB48_87
.LBB48_121:
	v_cmp_eq_u32_e32 vcc, v20, v4
	s_and_saveexec_b64 s[8:9], vcc
	s_cbranch_execz .LBB48_123
; %bb.122:
	v_mul_u32_u24_e32 v8, 34, v4
	v_lshlrev_b32_e32 v10, 4, v8
	v_mov_b32_e32 v8, 0
	v_mov_b32_e32 v9, v8
	ds_write_b64 v10, v[8:9] offset:8
.LBB48_123:
	s_or_b64 exec, exec, s[8:9]
                                        ; implicit-def: $vgpr15
	s_or_saveexec_b64 s[4:5], s[4:5]
	v_add_u32_e32 v10, 0x4700, v21
	s_xor_b64 exec, exec, s[4:5]
	s_cbranch_execnz .LBB48_88
	s_branch .LBB48_89
.LBB48_124:
                                        ; implicit-def: $vgpr40_vgpr41
                                        ; implicit-def: $vgpr11
                                        ; implicit-def: $vgpr15
                                        ; implicit-def: $vgpr17
	s_cbranch_execz .LBB48_126
; %bb.125:
	flat_load_dwordx4 v[18:21], v[6:7]
	s_lshl_b64 s[8:9], s[22:23], 7
	v_add_lshl_u32 v8, v5, v4, 4
	v_mov_b32_e32 v9, s9
	v_add_co_u32_e32 v4, vcc, s8, v6
	v_addc_co_u32_e32 v5, vcc, v7, v9, vcc
	v_add_u32_e32 v11, 0x1080, v8
	v_add_u32_e32 v15, 16, v12
	;; [unrolled: 1-line block ×3, first 2 shown]
	v_pk_mov_b32 v[40:41], v[6:7], v[6:7] op_sel:[0,1]
	s_waitcnt vmcnt(0) lgkmcnt(0)
	ds_write2_b64 v8, v[18:19], v[20:21] offset1:1
	flat_load_dwordx4 v[18:21], v[4:5]
	v_add_co_u32_e32 v4, vcc, s8, v4
	v_addc_co_u32_e32 v5, vcc, v5, v9, vcc
	v_add_u32_e32 v9, 0x2100, v8
	s_waitcnt vmcnt(0) lgkmcnt(0)
	ds_write2_b64 v11, v[18:19], v[20:21] offset1:1
	flat_load_dwordx4 v[18:21], v[4:5]
	v_mov_b32_e32 v4, 0x180
	v_mad_u64_u32 v[4:5], s[8:9], s22, v4, v[6:7]
	v_add_u32_e32 v5, s39, v5
	v_add_u32_e32 v11, 8, v12
	s_waitcnt vmcnt(0) lgkmcnt(0)
	ds_write2_b64 v9, v[18:19], v[20:21] offset1:1
	flat_load_dwordx4 v[18:21], v[4:5]
	v_add_u32_e32 v4, 0x3180, v8
	s_waitcnt vmcnt(0) lgkmcnt(0)
	ds_write2_b64 v4, v[18:19], v[20:21] offset1:1
.LBB48_126:
	v_lshlrev_b32_e32 v4, 4, v12
	s_waitcnt lgkmcnt(0)
	s_barrier
	ds_read_b128 v[46:49], v44
	ds_read_b128 v[50:53], v4 offset:18176
	v_add_lshl_u32 v4, v11, v14, 4
	v_lshlrev_b32_e32 v5, 4, v11
	ds_read_b128 v[54:57], v4
	ds_read_b128 v[58:61], v5 offset:18176
	s_waitcnt lgkmcnt(2)
	v_mul_f64 v[4:5], v[48:49], v[52:53]
	v_fmac_f64_e32 v[4:5], v[46:47], v[50:51]
	v_add_f64 v[4:5], v[4:5], 0
	s_waitcnt lgkmcnt(0)
	v_mul_f64 v[6:7], v[56:57], v[60:61]
	v_fmac_f64_e32 v[6:7], v[54:55], v[58:59]
	v_add_f64 v[4:5], v[4:5], v[6:7]
	v_add_lshl_u32 v6, v15, v14, 4
	v_mul_f64 v[70:71], v[48:49], v[50:51]
	v_mul_f64 v[72:73], v[56:57], v[58:59]
	v_lshlrev_b32_e32 v7, 4, v15
	ds_read_b128 v[48:51], v6
	ds_read_b128 v[56:59], v7 offset:18176
	v_add_lshl_u32 v6, v17, v14, 4
	v_lshlrev_b32_e32 v7, 4, v17
	ds_read_b128 v[62:65], v6
	ds_read_b128 v[66:69], v7 offset:18176
	v_fma_f64 v[46:47], v[46:47], v[52:53], -v[70:71]
	s_waitcnt lgkmcnt(2)
	v_mul_f64 v[6:7], v[50:51], v[58:59]
	v_fmac_f64_e32 v[6:7], v[48:49], v[56:57]
	v_add_f64 v[4:5], v[4:5], v[6:7]
	s_waitcnt lgkmcnt(0)
	v_mul_f64 v[6:7], v[64:65], v[68:69]
	v_fmac_f64_e32 v[6:7], v[62:63], v[66:67]
	v_mul_f64 v[56:57], v[50:51], v[56:57]
	v_add_f64 v[50:51], v[4:5], v[6:7]
	ds_read_b128 v[20:23], v10 offset:528
	ds_read_b128 v[12:15], v10 offset:544
	;; [unrolled: 1-line block ×3, first 2 shown]
	ds_read_b128 v[32:35], v16
	ds_read_b128 v[4:7], v10 offset:560
	ds_read_b128 v[24:27], v45
	ds_read_b128 v[16:19], v45 offset:528
	ds_read_b128 v[8:11], v45 offset:1056
	v_add_f64 v[46:47], v[46:47], 0
	v_fma_f64 v[52:53], v[54:55], v[60:61], -v[72:73]
	v_mul_f64 v[64:65], v[64:65], v[66:67]
	v_add_f64 v[46:47], v[46:47], v[52:53]
	v_fma_f64 v[48:49], v[48:49], v[58:59], -v[56:57]
	v_add_f64 v[46:47], v[46:47], v[48:49]
	v_fma_f64 v[48:49], v[62:63], v[68:69], -v[64:65]
	v_add_f64 v[52:53], v[46:47], v[48:49]
	s_waitcnt lgkmcnt(0)
	s_barrier
	ds_write_b128 v44, v[50:53]
	s_waitcnt lgkmcnt(0)
	s_barrier
	s_and_saveexec_b64 s[8:9], s[4:5]
	s_cbranch_execz .LBB48_128
; %bb.127:
	ds_read_b128 v[46:49], v43
	ds_read_b128 v[50:53], v43 offset:16
	ds_read_b128 v[54:57], v43 offset:32
	;; [unrolled: 1-line block ×3, first 2 shown]
	s_waitcnt lgkmcnt(3)
	v_add_f64 v[0:1], v[0:1], v[46:47]
	v_add_f64 v[2:3], v[2:3], v[48:49]
	s_waitcnt lgkmcnt(2)
	v_add_f64 v[0:1], v[0:1], v[50:51]
	v_add_f64 v[46:47], v[2:3], v[52:53]
	s_waitcnt lgkmcnt(1)
	v_add_f64 v[48:49], v[0:1], v[54:55]
	ds_read_b128 v[0:3], v43 offset:64
	v_add_f64 v[46:47], v[46:47], v[56:57]
	s_waitcnt lgkmcnt(1)
	v_add_f64 v[50:51], v[48:49], v[58:59]
	v_add_f64 v[54:55], v[46:47], v[60:61]
	ds_read_b128 v[46:49], v43 offset:80
	s_waitcnt lgkmcnt(1)
	v_add_f64 v[56:57], v[50:51], v[0:1]
	ds_read_b128 v[50:53], v43 offset:96
	v_add_f64 v[54:55], v[54:55], v[2:3]
	ds_read_b128 v[0:3], v43 offset:112
	s_waitcnt lgkmcnt(2)
	v_add_f64 v[46:47], v[56:57], v[46:47]
	v_add_f64 v[48:49], v[54:55], v[48:49]
	s_waitcnt lgkmcnt(1)
	v_add_f64 v[46:47], v[46:47], v[50:51]
	v_add_f64 v[48:49], v[48:49], v[52:53]
	;; [unrolled: 3-line block ×3, first 2 shown]
.LBB48_128:
	s_or_b64 exec, exec, s[8:9]
	v_mul_f64 v[46:47], v[30:31], v[34:35]
	v_fma_f64 v[46:47], v[28:29], v[32:33], -v[46:47]
	v_mul_f64 v[28:29], v[28:29], v[34:35]
	v_fmac_f64_e32 v[28:29], v[30:31], v[32:33]
	v_mul_f64 v[32:33], v[22:23], v[26:27]
	v_fma_f64 v[32:33], v[20:21], v[24:25], -v[32:33]
	v_mul_f64 v[20:21], v[20:21], v[26:27]
	v_fmac_f64_e32 v[20:21], v[22:23], v[24:25]
	v_mul_f64 v[24:25], v[14:15], v[18:19]
	v_add_f64 v[30:31], v[46:47], 0
	v_add_f64 v[28:29], v[28:29], 0
	v_fma_f64 v[24:25], v[12:13], v[16:17], -v[24:25]
	v_mul_f64 v[12:13], v[12:13], v[18:19]
	v_add_f64 v[22:23], v[30:31], v[32:33]
	v_add_f64 v[20:21], v[28:29], v[20:21]
	v_fmac_f64_e32 v[12:13], v[14:15], v[16:17]
	v_mul_f64 v[16:17], v[6:7], v[10:11]
	v_mul_f64 v[10:11], v[4:5], v[10:11]
	v_add_f64 v[14:15], v[22:23], v[24:25]
	v_add_f64 v[12:13], v[20:21], v[12:13]
	v_fma_f64 v[16:17], v[4:5], v[8:9], -v[16:17]
	v_fmac_f64_e32 v[10:11], v[6:7], v[8:9]
	v_add_f64 v[4:5], v[14:15], v[16:17]
	v_add_f64 v[6:7], v[12:13], v[10:11]
	s_barrier
	ds_write_b128 v44, v[4:7]
	s_waitcnt lgkmcnt(0)
	s_barrier
	s_and_saveexec_b64 s[4:5], s[2:3]
	s_cbranch_execz .LBB48_130
; %bb.129:
	ds_read_b128 v[4:7], v43
	ds_read_b128 v[8:11], v43 offset:16
	ds_read_b128 v[12:15], v43 offset:32
	;; [unrolled: 1-line block ×3, first 2 shown]
	s_waitcnt lgkmcnt(3)
	v_add_f64 v[0:1], v[0:1], v[4:5]
	v_add_f64 v[2:3], v[2:3], v[6:7]
	s_waitcnt lgkmcnt(2)
	v_add_f64 v[0:1], v[0:1], v[8:9]
	v_add_f64 v[4:5], v[2:3], v[10:11]
	s_waitcnt lgkmcnt(1)
	v_add_f64 v[6:7], v[0:1], v[12:13]
	ds_read_b128 v[0:3], v43 offset:64
	v_add_f64 v[4:5], v[4:5], v[14:15]
	s_waitcnt lgkmcnt(1)
	v_add_f64 v[8:9], v[6:7], v[16:17]
	v_add_f64 v[12:13], v[4:5], v[18:19]
	ds_read_b128 v[4:7], v43 offset:80
	s_waitcnt lgkmcnt(1)
	v_add_f64 v[14:15], v[8:9], v[0:1]
	ds_read_b128 v[8:11], v43 offset:96
	v_add_f64 v[12:13], v[12:13], v[2:3]
	ds_read_b128 v[0:3], v43 offset:112
	s_waitcnt lgkmcnt(2)
	v_add_f64 v[4:5], v[14:15], v[4:5]
	v_add_f64 v[6:7], v[12:13], v[6:7]
	s_waitcnt lgkmcnt(1)
	v_add_f64 v[4:5], v[4:5], v[8:9]
	v_add_f64 v[6:7], v[6:7], v[10:11]
	;; [unrolled: 3-line block ×3, first 2 shown]
.LBB48_130:
	s_or_b64 exec, exec, s[4:5]
	s_mul_hi_u32 s2, s33, s24
	s_mul_i32 s38, s38, s24
	s_add_i32 s2, s2, s38
	s_mul_i32 s4, s33, s24
	s_mul_i32 s2, s2, s7
	s_mul_hi_u32 s3, s4, s7
	s_add_i32 s3, s3, s2
	s_mul_i32 s2, s4, s7
	s_lshl_b64 s[2:3], s[2:3], 4
	s_add_u32 s4, s26, s2
	s_addc_u32 s5, s27, s3
	s_mul_hi_i32 s3, s33, s6
	s_mul_i32 s2, s33, s6
	s_lshl_b64 s[2:3], s[2:3], 4
	s_add_u32 s19, s4, s2
	s_addc_u32 s24, s5, s3
	s_add_i32 s2, s6, 1
	s_cmp_ge_u32 s2, s7
	v_lshlrev_b32_e32 v168, 4, v201
	s_barrier
	s_cbranch_scc1 .LBB48_188
; %bb.131:
	s_mul_i32 s2, s28, s17
	s_mul_hi_u32 s3, s28, s16
	s_add_i32 s2, s3, s2
	s_mul_i32 s3, s29, s16
	s_add_i32 s3, s2, s3
	s_mul_i32 s2, s28, s16
	s_lshl_b64 s[2:3], s[2:3], 4
	v_mov_b32_e32 v4, s3
	v_subrev_co_u32_e32 v204, vcc, s2, v38
	v_and_b32_e32 v6, 48, v201
	v_subb_co_u32_e32 v205, vcc, v39, v4, vcc
	v_and_b32_e32 v4, 15, v201
	v_lshlrev_b32_e32 v7, 4, v6
	s_movk_i32 s4, 0x430
	v_lshrrev_b32_e32 v5, 4, v42
	v_mad_u32_u24 v208, v4, s4, v7
	v_or_b32_e32 v7, 0xf0, v168
	v_mad_u32_u24 v209, v4, s4, v7
	v_lshlrev_b32_e32 v7, 6, v5
	v_lshlrev_b32_e32 v10, 6, v202
	v_mad_u32_u24 v210, v4, s4, v7
	s_movk_i32 s4, 0x10c0
	v_mul_i32_i24_e32 v11, 0xffffffd0, v5
	v_add_u32_e32 v5, 0x220, v10
	v_mad_u32_u24 v215, v202, s4, v168
	v_or_b32_e32 v228, v6, v4
	v_mad_u64_u32 v[6:7], s[4:5], s22, v5, 0
	v_mov_b32_e32 v8, v7
	v_mad_u64_u32 v[8:9], s[4:5], s23, v5, v[8:9]
	v_mov_b32_e32 v5, v8
	v_sub_co_u32_e32 v6, vcc, v6, v36
	v_subb_co_u32_e32 v5, vcc, v5, v37, vcc
	v_add_co_u32_e32 v170, vcc, v40, v6
	v_addc_co_u32_e32 v169, vcc, v41, v5, vcc
	v_add_u32_e32 v5, 0x530, v10
	v_mad_u64_u32 v[6:7], s[4:5], s22, v5, 0
	v_mov_b32_e32 v8, v7
	v_mad_u64_u32 v[8:9], s[4:5], s23, v5, v[8:9]
	v_mov_b32_e32 v5, v8
	v_sub_co_u32_e32 v6, vcc, v6, v36
	v_subb_co_u32_e32 v5, vcc, v5, v37, vcc
	v_add_co_u32_e32 v172, vcc, v40, v6
	v_addc_co_u32_e32 v171, vcc, v41, v5, vcc
	v_add_u32_e32 v5, 0x210, v10
	;; [unrolled: 9-line block ×15, first 2 shown]
	v_mad_u64_u32 v[6:7], s[4:5], s22, v5, 0
	v_mov_b32_e32 v8, v7
	v_mad_u64_u32 v[8:9], s[4:5], s23, v5, v[8:9]
	v_mov_b32_e32 v5, v8
	v_sub_co_u32_e32 v6, vcc, v6, v36
	v_subb_co_u32_e32 v5, vcc, v5, v37, vcc
	v_lshlrev_b32_e32 v203, 2, v202
	v_add_co_u32_e32 v200, vcc, v40, v6
	s_add_i32 s26, s7, -2
	v_add_u32_e32 v206, 0x4300, v168
	v_add_u32_e32 v207, 0x4700, v168
	v_cmp_gt_u32_e64 s[2:3], 64, v42
	v_or_b32_e32 v211, 1, v203
	v_or_b32_e32 v212, 2, v203
	;; [unrolled: 1-line block ×3, first 2 shown]
	v_add_u32_e32 v214, 0x4300, v10
	v_add_u32_e32 v216, 16, v203
	;; [unrolled: 1-line block ×13, first 2 shown]
	s_add_i32 s27, s28, 64
	v_mov_b32_e32 v4, 0
	s_lshl_b64 s[10:11], s[22:23], 10
	v_addc_co_u32_e32 v199, vcc, v41, v5, vcc
	v_add_u32_e32 v229, v210, v11
	s_cmp_eq_u32 s26, s6
	s_cselect_b32 s28, s25, 0
	s_and_saveexec_b64 s[4:5], s[0:1]
	s_cbranch_execz .LBB48_136
.LBB48_132:
	s_cmp_lg_u32 s28, 0
	s_cselect_b64 s[8:9], -1, 0
	v_cmp_le_i32_e32 vcc, s28, v201
	s_and_b64 s[8:9], s[8:9], vcc
	s_and_saveexec_b64 s[12:13], s[8:9]
	s_xor_b64 s[8:9], exec, s[12:13]
	s_cbranch_execz .LBB48_134
; %bb.133:
	v_mov_b32_e32 v5, v4
	v_mov_b32_e32 v6, v4
	;; [unrolled: 1-line block ×3, first 2 shown]
	ds_write_b128 v206, v[4:7]
.LBB48_134:
	s_andn2_saveexec_b64 s[8:9], s[8:9]
	s_cbranch_execz .LBB48_136
; %bb.135:
	s_ashr_i32 s8, s27, 31
	s_mul_i32 s9, s27, s17
	s_mul_hi_u32 s12, s27, s16
	s_add_i32 s9, s12, s9
	s_mul_i32 s8, s8, s16
	s_add_i32 s9, s9, s8
	s_mul_i32 s8, s27, s16
	s_lshl_b64 s[8:9], s[8:9], 4
	v_mov_b32_e32 v5, s9
	v_add_co_u32_e32 v6, vcc, s8, v204
	v_addc_co_u32_e32 v7, vcc, v205, v5, vcc
	flat_load_dwordx4 v[6:9], v[6:7]
	s_waitcnt vmcnt(0) lgkmcnt(0)
	ds_write2_b64 v206, v[6:7], v[8:9] offset1:1
.LBB48_136:                             ; =>This Inner Loop Header: Depth=1
	s_or_b64 exec, exec, s[4:5]
	s_cmp_eq_u32 s28, 0
	v_add_co_u32_e32 v18, vcc, v178, v168
	s_cselect_b64 s[12:13], -1, 0
	s_cmp_lg_u32 s28, 0
	v_addc_co_u32_e32 v19, vcc, 0, v177, vcc
	s_cselect_b64 s[8:9], -1, 0
	s_and_b64 vcc, exec, s[8:9]
	s_waitcnt lgkmcnt(0)
	s_barrier
	s_cbranch_vccz .LBB48_144
; %bb.137:                              ;   in Loop: Header=BB48_136 Depth=1
	v_pk_mov_b32 v[10:11], 0, 0
	v_cmp_gt_i32_e32 vcc, s28, v203
	v_pk_mov_b32 v[6:7], v[10:11], v[10:11] op_sel:[0,1]
	v_pk_mov_b32 v[8:9], v[10:11], v[10:11] op_sel:[0,1]
	s_and_saveexec_b64 s[4:5], vcc
	s_cbranch_execz .LBB48_139
; %bb.138:                              ;   in Loop: Header=BB48_136 Depth=1
	flat_load_dwordx4 v[6:9], v[18:19]
.LBB48_139:                             ;   in Loop: Header=BB48_136 Depth=1
	s_or_b64 exec, exec, s[4:5]
	v_cmp_gt_i32_e32 vcc, s28, v211
	v_pk_mov_b32 v[12:13], v[10:11], v[10:11] op_sel:[0,1]
	s_and_saveexec_b64 s[4:5], vcc
	s_cbranch_execz .LBB48_141
; %bb.140:                              ;   in Loop: Header=BB48_136 Depth=1
	v_add_co_u32_e32 v10, vcc, v174, v168
	v_addc_co_u32_e32 v11, vcc, 0, v173, vcc
	flat_load_dwordx4 v[10:13], v[10:11]
.LBB48_141:                             ;   in Loop: Header=BB48_136 Depth=1
	s_or_b64 exec, exec, s[4:5]
	v_pk_mov_b32 v[14:15], 0, 0
	v_cmp_gt_i32_e32 vcc, s28, v212
	s_mov_b64 s[22:23], 0
	v_pk_mov_b32 v[16:17], v[14:15], v[14:15] op_sel:[0,1]
	s_and_saveexec_b64 s[4:5], vcc
	s_cbranch_execz .LBB48_143
; %bb.142:                              ;   in Loop: Header=BB48_136 Depth=1
	v_add_co_u32_e32 v14, vcc, v170, v168
	v_addc_co_u32_e32 v15, vcc, 0, v169, vcc
	flat_load_dwordx4 v[14:17], v[14:15]
.LBB48_143:                             ;   in Loop: Header=BB48_136 Depth=1
	s_or_b64 exec, exec, s[4:5]
	v_cmp_gt_i32_e64 s[4:5], s28, v213
	s_mov_b64 s[14:15], 0
	s_and_b64 vcc, exec, s[22:23]
	s_cbranch_vccnz .LBB48_145
	s_branch .LBB48_146
.LBB48_144:                             ;   in Loop: Header=BB48_136 Depth=1
	s_mov_b64 s[4:5], 0
                                        ; implicit-def: $sgpr14_sgpr15
                                        ; implicit-def: $vgpr16_vgpr17
                                        ; implicit-def: $vgpr12_vgpr13
                                        ; implicit-def: $vgpr8_vgpr9
	s_cbranch_execz .LBB48_146
.LBB48_145:                             ;   in Loop: Header=BB48_136 Depth=1
	s_waitcnt vmcnt(0) lgkmcnt(0)
	v_add_co_u32_e32 v10, vcc, v174, v168
	v_addc_co_u32_e32 v11, vcc, 0, v173, vcc
	v_add_co_u32_e32 v14, vcc, v170, v168
	v_addc_co_u32_e32 v15, vcc, 0, v169, vcc
	flat_load_dwordx4 v[6:9], v[18:19]
	s_or_b64 s[4:5], s[4:5], exec
	flat_load_dwordx4 v[10:13], v[10:11]
                                        ; implicit-def: $sgpr14_sgpr15
	s_nop 0
	flat_load_dwordx4 v[14:17], v[14:15]
.LBB48_146:                             ;   in Loop: Header=BB48_136 Depth=1
	v_pk_mov_b32 v[18:19], s[14:15], s[14:15] op_sel:[0,1]
	v_pk_mov_b32 v[20:21], s[14:15], s[14:15] op_sel:[0,1]
	s_and_saveexec_b64 s[14:15], s[4:5]
	s_cbranch_execz .LBB48_148
; %bb.147:                              ;   in Loop: Header=BB48_136 Depth=1
	v_add_co_u32_e32 v18, vcc, v182, v168
	v_addc_co_u32_e32 v19, vcc, 0, v181, vcc
	flat_load_dwordx4 v[18:21], v[18:19]
.LBB48_148:                             ;   in Loop: Header=BB48_136 Depth=1
	s_or_b64 exec, exec, s[14:15]
	ds_read_b128 v[34:37], v207
	ds_read_b128 v[22:25], v214
	v_cndmask_b32_e64 v5, 0, 1, s[8:9]
	s_andn2_b64 vcc, exec, s[8:9]
	v_add_co_u32_e64 v50, s[8:9], v194, v168
	s_waitcnt vmcnt(0) lgkmcnt(0)
	v_mul_f64 v[26:27], v[8:9], v[36:37]
	v_mul_f64 v[28:29], v[8:9], v[34:35]
	;; [unrolled: 1-line block ×3, first 2 shown]
	v_fmac_f64_e32 v[26:27], v[6:7], v[34:35]
	v_fma_f64 v[28:29], v[6:7], v[36:37], -v[28:29]
	v_mul_f64 v[32:33], v[12:13], v[34:35]
	ds_write_b128 v215, v[26:29]
	v_fmac_f64_e32 v[30:31], v[10:11], v[34:35]
	v_fma_f64 v[32:33], v[10:11], v[36:37], -v[32:33]
	v_mul_f64 v[38:39], v[16:17], v[36:37]
	v_mul_f64 v[40:41], v[16:17], v[34:35]
	;; [unrolled: 1-line block ×3, first 2 shown]
	ds_read_b128 v[26:29], v214 offset:16
	ds_write_b128 v215, v[30:33] offset:1072
	v_fmac_f64_e32 v[38:39], v[14:15], v[34:35]
	v_fma_f64 v[40:41], v[14:15], v[36:37], -v[40:41]
	v_fmac_f64_e32 v[42:43], v[18:19], v[34:35]
	v_mul_f64 v[34:35], v[20:21], v[34:35]
	ds_read_b128 v[30:33], v214 offset:32
	ds_write_b128 v215, v[38:41] offset:2144
	v_fma_f64 v[44:45], v[18:19], v[36:37], -v[34:35]
	ds_read_b128 v[38:41], v214 offset:48
	ds_write_b128 v215, v[42:45] offset:3216
	s_waitcnt lgkmcnt(0)
	s_barrier
	ds_read_b128 v[94:97], v210
	ds_read_b128 v[90:93], v210 offset:16
	ds_read_b128 v[86:89], v210 offset:32
	;; [unrolled: 1-line block ×3, first 2 shown]
	v_cmp_ne_u32_e64 s[4:5], 1, v5
	v_addc_co_u32_e64 v51, s[8:9], 0, v193, s[8:9]
	s_waitcnt lgkmcnt(0)
	s_barrier
	s_cbranch_vccnz .LBB48_156
; %bb.149:                              ;   in Loop: Header=BB48_136 Depth=1
	v_pk_mov_b32 v[42:43], 0, 0
	v_cmp_gt_i32_e32 vcc, s28, v216
	v_pk_mov_b32 v[34:35], v[42:43], v[42:43] op_sel:[0,1]
	v_pk_mov_b32 v[36:37], v[42:43], v[42:43] op_sel:[0,1]
	s_and_saveexec_b64 s[8:9], vcc
	s_cbranch_execz .LBB48_151
; %bb.150:                              ;   in Loop: Header=BB48_136 Depth=1
	flat_load_dwordx4 v[34:37], v[50:51]
.LBB48_151:                             ;   in Loop: Header=BB48_136 Depth=1
	s_or_b64 exec, exec, s[8:9]
	v_cmp_gt_i32_e32 vcc, s28, v217
	v_pk_mov_b32 v[44:45], v[42:43], v[42:43] op_sel:[0,1]
	s_and_saveexec_b64 s[8:9], vcc
	s_cbranch_execz .LBB48_153
; %bb.152:                              ;   in Loop: Header=BB48_136 Depth=1
	v_add_co_u32_e32 v42, vcc, v190, v168
	v_addc_co_u32_e32 v43, vcc, 0, v189, vcc
	flat_load_dwordx4 v[42:45], v[42:43]
.LBB48_153:                             ;   in Loop: Header=BB48_136 Depth=1
	s_or_b64 exec, exec, s[8:9]
	v_pk_mov_b32 v[46:47], 0, 0
	v_cmp_gt_i32_e32 vcc, s28, v218
	s_mov_b64 s[22:23], 0
	v_pk_mov_b32 v[48:49], v[46:47], v[46:47] op_sel:[0,1]
	s_and_saveexec_b64 s[8:9], vcc
	s_cbranch_execz .LBB48_155
; %bb.154:                              ;   in Loop: Header=BB48_136 Depth=1
	v_add_co_u32_e32 v46, vcc, v184, v168
	v_addc_co_u32_e32 v47, vcc, 0, v183, vcc
	flat_load_dwordx4 v[46:49], v[46:47]
.LBB48_155:                             ;   in Loop: Header=BB48_136 Depth=1
	s_or_b64 exec, exec, s[8:9]
	v_cmp_gt_i32_e64 s[8:9], s28, v219
	s_mov_b64 s[14:15], 0
	s_and_b64 vcc, exec, s[22:23]
	s_cbranch_vccnz .LBB48_157
	s_branch .LBB48_158
.LBB48_156:                             ;   in Loop: Header=BB48_136 Depth=1
	s_mov_b64 s[8:9], 0
                                        ; implicit-def: $sgpr14_sgpr15
                                        ; implicit-def: $vgpr48_vgpr49
                                        ; implicit-def: $vgpr44_vgpr45
                                        ; implicit-def: $vgpr36_vgpr37
	s_cbranch_execz .LBB48_158
.LBB48_157:                             ;   in Loop: Header=BB48_136 Depth=1
	s_waitcnt vmcnt(0) lgkmcnt(0)
	v_add_co_u32_e32 v42, vcc, v190, v168
	v_addc_co_u32_e32 v43, vcc, 0, v189, vcc
	v_add_co_u32_e32 v46, vcc, v184, v168
	v_addc_co_u32_e32 v47, vcc, 0, v183, vcc
	flat_load_dwordx4 v[34:37], v[50:51]
	s_or_b64 s[8:9], s[8:9], exec
	flat_load_dwordx4 v[42:45], v[42:43]
                                        ; implicit-def: $sgpr14_sgpr15
	s_nop 0
	flat_load_dwordx4 v[46:49], v[46:47]
.LBB48_158:                             ;   in Loop: Header=BB48_136 Depth=1
	v_pk_mov_b32 v[50:51], s[14:15], s[14:15] op_sel:[0,1]
	v_pk_mov_b32 v[52:53], s[14:15], s[14:15] op_sel:[0,1]
	s_and_saveexec_b64 s[14:15], s[8:9]
	s_cbranch_execz .LBB48_160
; %bb.159:                              ;   in Loop: Header=BB48_136 Depth=1
	v_add_co_u32_e32 v50, vcc, v198, v168
	v_addc_co_u32_e32 v51, vcc, 0, v197, vcc
	flat_load_dwordx4 v[50:53], v[50:51]
.LBB48_160:                             ;   in Loop: Header=BB48_136 Depth=1
	s_or_b64 exec, exec, s[14:15]
	ds_read_b128 v[66:69], v207
	ds_read_b128 v[54:57], v214 offset:256
	v_add_co_u32_e64 v98, s[8:9], v192, v168
	s_and_b64 vcc, exec, s[4:5]
	s_waitcnt vmcnt(0) lgkmcnt(0)
	v_mul_f64 v[58:59], v[36:37], v[68:69]
	v_mul_f64 v[60:61], v[36:37], v[66:67]
	v_mul_f64 v[62:63], v[44:45], v[68:69]
	v_fmac_f64_e32 v[58:59], v[34:35], v[66:67]
	v_fma_f64 v[60:61], v[34:35], v[68:69], -v[60:61]
	v_mul_f64 v[64:65], v[44:45], v[66:67]
	ds_write_b128 v215, v[58:61]
	v_fmac_f64_e32 v[62:63], v[42:43], v[66:67]
	v_fma_f64 v[64:65], v[42:43], v[68:69], -v[64:65]
	v_mul_f64 v[70:71], v[48:49], v[68:69]
	v_mul_f64 v[72:73], v[48:49], v[66:67]
	;; [unrolled: 1-line block ×3, first 2 shown]
	ds_read_b128 v[58:61], v214 offset:272
	ds_write_b128 v215, v[62:65] offset:1072
	v_fmac_f64_e32 v[70:71], v[46:47], v[66:67]
	v_fma_f64 v[72:73], v[46:47], v[68:69], -v[72:73]
	v_fmac_f64_e32 v[74:75], v[50:51], v[66:67]
	v_mul_f64 v[66:67], v[52:53], v[66:67]
	ds_read_b128 v[62:65], v214 offset:288
	ds_write_b128 v215, v[70:73] offset:2144
	v_fma_f64 v[76:77], v[50:51], v[68:69], -v[66:67]
	ds_read_b128 v[70:73], v214 offset:304
	ds_write_b128 v215, v[74:77] offset:3216
	s_waitcnt lgkmcnt(0)
	s_barrier
	ds_read_b128 v[146:149], v210
	ds_read_b128 v[142:145], v210 offset:16
	ds_read_b128 v[138:141], v210 offset:32
	;; [unrolled: 1-line block ×3, first 2 shown]
	v_addc_co_u32_e64 v99, s[8:9], 0, v191, s[8:9]
	s_waitcnt lgkmcnt(0)
	s_barrier
	s_cbranch_vccnz .LBB48_168
; %bb.161:                              ;   in Loop: Header=BB48_136 Depth=1
	v_pk_mov_b32 v[74:75], 0, 0
	v_cmp_gt_i32_e32 vcc, s28, v220
	v_pk_mov_b32 v[66:67], v[74:75], v[74:75] op_sel:[0,1]
	v_pk_mov_b32 v[68:69], v[74:75], v[74:75] op_sel:[0,1]
	s_and_saveexec_b64 s[8:9], vcc
	s_cbranch_execz .LBB48_163
; %bb.162:                              ;   in Loop: Header=BB48_136 Depth=1
	flat_load_dwordx4 v[66:69], v[98:99]
.LBB48_163:                             ;   in Loop: Header=BB48_136 Depth=1
	s_or_b64 exec, exec, s[8:9]
	v_cmp_gt_i32_e32 vcc, s28, v221
	v_pk_mov_b32 v[76:77], v[74:75], v[74:75] op_sel:[0,1]
	s_and_saveexec_b64 s[8:9], vcc
	s_cbranch_execz .LBB48_165
; %bb.164:                              ;   in Loop: Header=BB48_136 Depth=1
	v_add_co_u32_e32 v74, vcc, v196, v168
	v_addc_co_u32_e32 v75, vcc, 0, v195, vcc
	flat_load_dwordx4 v[74:77], v[74:75]
.LBB48_165:                             ;   in Loop: Header=BB48_136 Depth=1
	s_or_b64 exec, exec, s[8:9]
	v_pk_mov_b32 v[78:79], 0, 0
	v_cmp_gt_i32_e32 vcc, s28, v222
	s_mov_b64 s[22:23], 0
	v_pk_mov_b32 v[80:81], v[78:79], v[78:79] op_sel:[0,1]
	s_and_saveexec_b64 s[8:9], vcc
	s_cbranch_execz .LBB48_167
; %bb.166:                              ;   in Loop: Header=BB48_136 Depth=1
	v_add_co_u32_e32 v78, vcc, v200, v168
	v_addc_co_u32_e32 v79, vcc, 0, v199, vcc
	flat_load_dwordx4 v[78:81], v[78:79]
.LBB48_167:                             ;   in Loop: Header=BB48_136 Depth=1
	s_or_b64 exec, exec, s[8:9]
	v_cmp_gt_i32_e64 s[8:9], s28, v223
	s_mov_b64 s[14:15], 0
	s_and_b64 vcc, exec, s[22:23]
	s_cbranch_vccnz .LBB48_169
	s_branch .LBB48_170
.LBB48_168:                             ;   in Loop: Header=BB48_136 Depth=1
	s_mov_b64 s[8:9], 0
                                        ; implicit-def: $sgpr14_sgpr15
                                        ; implicit-def: $vgpr80_vgpr81
                                        ; implicit-def: $vgpr76_vgpr77
                                        ; implicit-def: $vgpr68_vgpr69
	s_cbranch_execz .LBB48_170
.LBB48_169:                             ;   in Loop: Header=BB48_136 Depth=1
	s_waitcnt vmcnt(0) lgkmcnt(0)
	v_add_co_u32_e32 v74, vcc, v196, v168
	v_addc_co_u32_e32 v75, vcc, 0, v195, vcc
	v_add_co_u32_e32 v78, vcc, v200, v168
	v_addc_co_u32_e32 v79, vcc, 0, v199, vcc
	flat_load_dwordx4 v[66:69], v[98:99]
	s_or_b64 s[8:9], s[8:9], exec
	flat_load_dwordx4 v[74:77], v[74:75]
                                        ; implicit-def: $sgpr14_sgpr15
	s_nop 0
	flat_load_dwordx4 v[78:81], v[78:79]
.LBB48_170:                             ;   in Loop: Header=BB48_136 Depth=1
	v_pk_mov_b32 v[98:99], s[14:15], s[14:15] op_sel:[0,1]
	v_pk_mov_b32 v[100:101], s[14:15], s[14:15] op_sel:[0,1]
	s_and_saveexec_b64 s[14:15], s[8:9]
	s_cbranch_execz .LBB48_172
; %bb.171:                              ;   in Loop: Header=BB48_136 Depth=1
	v_add_co_u32_e32 v98, vcc, v188, v168
	v_addc_co_u32_e32 v99, vcc, 0, v187, vcc
	flat_load_dwordx4 v[98:101], v[98:99]
.LBB48_172:                             ;   in Loop: Header=BB48_136 Depth=1
	s_or_b64 exec, exec, s[14:15]
	ds_read_b128 v[114:117], v207
	ds_read_b128 v[102:105], v214 offset:512
	s_and_b64 vcc, exec, s[4:5]
	v_add_co_u32_e64 v130, s[4:5], v176, v168
	s_waitcnt vmcnt(0) lgkmcnt(0)
	v_mul_f64 v[106:107], v[68:69], v[116:117]
	v_mul_f64 v[108:109], v[68:69], v[114:115]
	;; [unrolled: 1-line block ×3, first 2 shown]
	v_fmac_f64_e32 v[106:107], v[66:67], v[114:115]
	v_fma_f64 v[108:109], v[66:67], v[116:117], -v[108:109]
	v_mul_f64 v[112:113], v[76:77], v[114:115]
	ds_write_b128 v215, v[106:109]
	v_fmac_f64_e32 v[110:111], v[74:75], v[114:115]
	v_fma_f64 v[112:113], v[74:75], v[116:117], -v[112:113]
	v_mul_f64 v[118:119], v[80:81], v[116:117]
	v_mul_f64 v[120:121], v[80:81], v[114:115]
	;; [unrolled: 1-line block ×3, first 2 shown]
	ds_read_b128 v[106:109], v214 offset:528
	ds_write_b128 v215, v[110:113] offset:1072
	v_fmac_f64_e32 v[118:119], v[78:79], v[114:115]
	v_fma_f64 v[120:121], v[78:79], v[116:117], -v[120:121]
	v_fmac_f64_e32 v[122:123], v[98:99], v[114:115]
	v_mul_f64 v[114:115], v[100:101], v[114:115]
	ds_read_b128 v[110:113], v214 offset:544
	ds_write_b128 v215, v[118:121] offset:2144
	v_fma_f64 v[124:125], v[98:99], v[116:117], -v[114:115]
	ds_read_b128 v[118:121], v214 offset:560
	ds_write_b128 v215, v[122:125] offset:3216
	s_waitcnt lgkmcnt(0)
	s_barrier
	ds_read_b128 v[162:165], v210
	ds_read_b128 v[158:161], v210 offset:16
	ds_read_b128 v[154:157], v210 offset:32
	;; [unrolled: 1-line block ×3, first 2 shown]
	v_addc_co_u32_e64 v131, s[4:5], 0, v175, s[4:5]
	s_waitcnt lgkmcnt(0)
	s_barrier
	s_cbranch_vccnz .LBB48_180
; %bb.173:                              ;   in Loop: Header=BB48_136 Depth=1
	v_pk_mov_b32 v[122:123], 0, 0
	v_cmp_gt_i32_e32 vcc, s28, v224
	v_pk_mov_b32 v[114:115], v[122:123], v[122:123] op_sel:[0,1]
	v_pk_mov_b32 v[116:117], v[122:123], v[122:123] op_sel:[0,1]
	s_and_saveexec_b64 s[4:5], vcc
	s_cbranch_execz .LBB48_175
; %bb.174:                              ;   in Loop: Header=BB48_136 Depth=1
	flat_load_dwordx4 v[114:117], v[130:131]
.LBB48_175:                             ;   in Loop: Header=BB48_136 Depth=1
	s_or_b64 exec, exec, s[4:5]
	v_cmp_gt_i32_e32 vcc, s28, v225
	v_pk_mov_b32 v[124:125], v[122:123], v[122:123] op_sel:[0,1]
	s_and_saveexec_b64 s[4:5], vcc
	s_cbranch_execz .LBB48_177
; %bb.176:                              ;   in Loop: Header=BB48_136 Depth=1
	v_add_co_u32_e32 v122, vcc, v180, v168
	v_addc_co_u32_e32 v123, vcc, 0, v179, vcc
	flat_load_dwordx4 v[122:125], v[122:123]
.LBB48_177:                             ;   in Loop: Header=BB48_136 Depth=1
	s_or_b64 exec, exec, s[4:5]
	v_pk_mov_b32 v[126:127], 0, 0
	v_cmp_gt_i32_e32 vcc, s28, v226
	s_mov_b64 s[14:15], 0
	v_pk_mov_b32 v[128:129], v[126:127], v[126:127] op_sel:[0,1]
	s_and_saveexec_b64 s[4:5], vcc
	s_cbranch_execz .LBB48_179
; %bb.178:                              ;   in Loop: Header=BB48_136 Depth=1
	v_add_co_u32_e32 v126, vcc, v186, v168
	v_addc_co_u32_e32 v127, vcc, 0, v185, vcc
	flat_load_dwordx4 v[126:129], v[126:127]
.LBB48_179:                             ;   in Loop: Header=BB48_136 Depth=1
	s_or_b64 exec, exec, s[4:5]
	v_cmp_gt_i32_e64 s[4:5], s28, v227
	s_mov_b64 s[8:9], 0
	s_and_b64 vcc, exec, s[14:15]
	s_cbranch_vccnz .LBB48_181
	s_branch .LBB48_182
.LBB48_180:                             ;   in Loop: Header=BB48_136 Depth=1
	s_mov_b64 s[4:5], 0
                                        ; implicit-def: $sgpr8_sgpr9
                                        ; implicit-def: $vgpr128_vgpr129
                                        ; implicit-def: $vgpr124_vgpr125
                                        ; implicit-def: $vgpr116_vgpr117
	s_cbranch_execz .LBB48_182
.LBB48_181:                             ;   in Loop: Header=BB48_136 Depth=1
	s_waitcnt vmcnt(0) lgkmcnt(0)
	v_add_co_u32_e32 v122, vcc, v180, v168
	v_addc_co_u32_e32 v123, vcc, 0, v179, vcc
	v_add_co_u32_e32 v126, vcc, v186, v168
	v_addc_co_u32_e32 v127, vcc, 0, v185, vcc
	flat_load_dwordx4 v[114:117], v[130:131]
	s_or_b64 s[4:5], s[4:5], exec
	flat_load_dwordx4 v[122:125], v[122:123]
                                        ; implicit-def: $sgpr8_sgpr9
	s_nop 0
	flat_load_dwordx4 v[126:129], v[126:127]
.LBB48_182:                             ;   in Loop: Header=BB48_136 Depth=1
	v_pk_mov_b32 v[130:131], s[8:9], s[8:9] op_sel:[0,1]
	v_pk_mov_b32 v[132:133], s[8:9], s[8:9] op_sel:[0,1]
	s_and_saveexec_b64 s[8:9], s[4:5]
	s_cbranch_execz .LBB48_184
; %bb.183:                              ;   in Loop: Header=BB48_136 Depth=1
	v_add_co_u32_e32 v130, vcc, v172, v168
	v_addc_co_u32_e32 v131, vcc, 0, v171, vcc
	flat_load_dwordx4 v[130:133], v[130:131]
.LBB48_184:                             ;   in Loop: Header=BB48_136 Depth=1
	s_or_b64 exec, exec, s[8:9]
	v_add_f64 v[146:147], v[146:147], 0
	v_add_f64 v[148:149], v[148:149], 0
	;; [unrolled: 1-line block ×6, first 2 shown]
	ds_read_b128 v[142:145], v207
	v_add_f64 v[162:163], v[162:163], 0
	v_add_f64 v[94:95], v[94:95], 0
	;; [unrolled: 1-line block ×11, first 2 shown]
	ds_read_b128 v[86:89], v214 offset:768
	s_waitcnt vmcnt(0) lgkmcnt(0)
	v_mul_f64 v[90:91], v[116:117], v[144:145]
	v_mul_f64 v[92:93], v[116:117], v[142:143]
	v_fmac_f64_e32 v[90:91], v[114:115], v[142:143]
	v_fma_f64 v[92:93], v[114:115], v[144:145], -v[92:93]
	v_mul_f64 v[94:95], v[124:125], v[144:145]
	v_mul_f64 v[96:97], v[124:125], v[142:143]
	v_add_f64 v[138:139], v[138:139], v[134:135]
	v_add_f64 v[140:141], v[140:141], v[136:137]
	ds_write_b128 v215, v[90:93]
	v_fmac_f64_e32 v[94:95], v[122:123], v[142:143]
	v_fma_f64 v[96:97], v[122:123], v[144:145], -v[96:97]
	v_mul_f64 v[134:135], v[128:129], v[144:145]
	v_mul_f64 v[136:137], v[128:129], v[142:143]
	;; [unrolled: 1-line block ×3, first 2 shown]
	ds_read_b128 v[90:93], v214 offset:784
	ds_write_b128 v215, v[94:97] offset:1072
	v_fmac_f64_e32 v[134:135], v[126:127], v[142:143]
	v_fma_f64 v[136:137], v[126:127], v[144:145], -v[136:137]
	v_fmac_f64_e32 v[146:147], v[130:131], v[142:143]
	v_mul_f64 v[142:143], v[132:133], v[142:143]
	ds_read_b128 v[94:97], v214 offset:800
	ds_write_b128 v215, v[134:137] offset:2144
	v_fma_f64 v[148:149], v[130:131], v[144:145], -v[142:143]
	v_add_f64 v[164:165], v[164:165], 0
	ds_read_b128 v[134:137], v214 offset:816
	ds_write_b128 v215, v[146:149] offset:3216
	s_waitcnt lgkmcnt(0)
	s_barrier
	ds_read_b128 v[142:145], v210
	v_add_f64 v[160:161], v[164:165], v[160:161]
	v_add_f64 v[156:157], v[160:161], v[156:157]
	;; [unrolled: 1-line block ×4, first 2 shown]
	ds_read_b128 v[146:149], v210 offset:16
	ds_read_b128 v[154:157], v210 offset:32
	;; [unrolled: 1-line block ×3, first 2 shown]
	s_waitcnt lgkmcnt(3)
	v_add_f64 v[142:143], v[142:143], 0
	v_add_f64 v[144:145], v[144:145], 0
	v_cmp_gt_i32_e32 vcc, s28, v201
	s_waitcnt lgkmcnt(2)
	v_add_f64 v[142:143], v[142:143], v[146:147]
	v_add_f64 v[144:145], v[144:145], v[148:149]
	s_or_b64 s[4:5], s[12:13], vcc
	s_waitcnt lgkmcnt(1)
	v_add_f64 v[142:143], v[142:143], v[154:155]
	v_add_f64 v[144:145], v[144:145], v[156:157]
	s_and_b64 s[8:9], s[2:3], s[4:5]
	s_waitcnt lgkmcnt(0)
	v_add_f64 v[142:143], v[142:143], v[158:159]
	v_add_f64 v[144:145], v[144:145], v[160:161]
	s_barrier
	ds_write_b128 v229, v[82:85]
	ds_write_b128 v229, v[138:141] offset:256
	ds_write_b128 v229, v[150:153] offset:512
	;; [unrolled: 1-line block ×3, first 2 shown]
	s_waitcnt lgkmcnt(0)
	s_barrier
	s_and_saveexec_b64 s[4:5], s[8:9]
	s_cbranch_execz .LBB48_186
; %bb.185:                              ;   in Loop: Header=BB48_136 Depth=1
	ds_read_b128 v[82:85], v208
	ds_read_b128 v[138:141], v208 offset:16
	ds_read_b128 v[142:145], v208 offset:32
	;; [unrolled: 1-line block ×3, first 2 shown]
	v_mov_b32_e32 v5, s24
	s_waitcnt lgkmcnt(2)
	v_add_f64 v[82:83], v[138:139], v[82:83]
	v_add_f64 v[138:139], v[140:141], v[84:85]
	s_waitcnt lgkmcnt(1)
	v_add_f64 v[140:141], v[82:83], v[142:143]
	ds_read_b128 v[82:85], v208 offset:64
	v_add_f64 v[142:143], v[138:139], v[144:145]
	s_waitcnt lgkmcnt(1)
	v_add_f64 v[144:145], v[140:141], v[146:147]
	ds_read_b128 v[138:141], v208 offset:80
	;; [unrolled: 4-line block ×9, first 2 shown]
	v_add_f64 v[84:85], v[146:147], v[84:85]
	s_waitcnt lgkmcnt(1)
	v_add_f64 v[138:139], v[82:83], v[138:139]
	v_add_f64 v[146:147], v[84:85], v[140:141]
	ds_read_b128 v[82:85], v208 offset:208
	s_waitcnt lgkmcnt(1)
	v_add_f64 v[148:149], v[138:139], v[142:143]
	ds_read_b128 v[138:141], v208 offset:224
	v_add_f64 v[146:147], v[146:147], v[144:145]
	ds_read_b128 v[142:145], v209
	s_waitcnt lgkmcnt(2)
	v_add_f64 v[82:83], v[148:149], v[82:83]
	v_add_f64 v[84:85], v[146:147], v[84:85]
	s_waitcnt lgkmcnt(1)
	v_add_f64 v[82:83], v[82:83], v[138:139]
	v_add_u32_e32 v138, s27, v228
	v_ashrrev_i32_e32 v139, 31, v138
	v_lshlrev_b64 v[138:139], 4, v[138:139]
	v_add_f64 v[84:85], v[84:85], v[140:141]
	v_add_co_u32_e32 v138, vcc, s19, v138
	s_waitcnt lgkmcnt(0)
	v_add_f64 v[82:83], v[82:83], v[142:143]
	v_add_f64 v[84:85], v[84:85], v[144:145]
	v_addc_co_u32_e32 v139, vcc, v5, v139, vcc
	global_store_dwordx4 v[138:139], v[82:85], off
.LBB48_186:                             ;   in Loop: Header=BB48_136 Depth=1
	s_or_b64 exec, exec, s[4:5]
	v_mov_b32_e32 v5, s11
	v_add_co_u32_e32 v170, vcc, s10, v170
	v_mul_f64 v[82:83], v[8:9], v[24:25]
	v_addc_co_u32_e32 v169, vcc, v169, v5, vcc
	v_fma_f64 v[82:83], v[6:7], v[22:23], -v[82:83]
	v_mul_f64 v[6:7], v[6:7], v[24:25]
	v_mul_f64 v[24:25], v[12:13], v[28:29]
	v_add_co_u32_e32 v172, vcc, s10, v172
	v_add_f64 v[0:1], v[0:1], v[82:83]
	v_fma_f64 v[24:25], v[10:11], v[26:27], -v[24:25]
	v_addc_co_u32_e32 v171, vcc, v171, v5, vcc
	v_add_f64 v[0:1], v[0:1], v[24:25]
	v_mul_f64 v[24:25], v[16:17], v[32:33]
	v_add_co_u32_e32 v174, vcc, s10, v174
	v_fma_f64 v[24:25], v[14:15], v[30:31], -v[24:25]
	v_addc_co_u32_e32 v173, vcc, v173, v5, vcc
	v_add_f64 v[0:1], v[0:1], v[24:25]
	v_mul_f64 v[24:25], v[20:21], v[40:41]
	v_fmac_f64_e32 v[6:7], v[8:9], v[22:23]
	v_add_co_u32_e32 v176, vcc, s10, v176
	v_fma_f64 v[24:25], v[18:19], v[38:39], -v[24:25]
	v_add_f64 v[2:3], v[2:3], v[6:7]
	v_mul_f64 v[6:7], v[36:37], v[56:57]
	v_addc_co_u32_e32 v175, vcc, v175, v5, vcc
	v_add_f64 v[0:1], v[0:1], v[24:25]
	v_fma_f64 v[6:7], v[34:35], v[54:55], -v[6:7]
	v_add_co_u32_e32 v178, vcc, s10, v178
	v_add_f64 v[0:1], v[0:1], v[6:7]
	v_mul_f64 v[6:7], v[44:45], v[60:61]
	v_addc_co_u32_e32 v177, vcc, v177, v5, vcc
	v_fma_f64 v[6:7], v[42:43], v[58:59], -v[6:7]
	v_add_co_u32_e32 v180, vcc, s10, v180
	v_add_f64 v[0:1], v[0:1], v[6:7]
	v_mul_f64 v[6:7], v[48:49], v[64:65]
	v_addc_co_u32_e32 v179, vcc, v179, v5, vcc
	;; [unrolled: 5-line block ×3, first 2 shown]
	v_fma_f64 v[6:7], v[50:51], v[70:71], -v[6:7]
	v_add_co_u32_e32 v184, vcc, s10, v184
	v_mul_f64 v[10:11], v[10:11], v[28:29]
	v_add_f64 v[0:1], v[0:1], v[6:7]
	v_mul_f64 v[6:7], v[68:69], v[104:105]
	v_addc_co_u32_e32 v183, vcc, v183, v5, vcc
	v_mul_f64 v[14:15], v[14:15], v[32:33]
	v_fmac_f64_e32 v[10:11], v[12:13], v[26:27]
	v_fma_f64 v[6:7], v[66:67], v[102:103], -v[6:7]
	v_add_co_u32_e32 v186, vcc, s10, v186
	v_mul_f64 v[18:19], v[18:19], v[40:41]
	v_add_f64 v[2:3], v[2:3], v[10:11]
	v_fmac_f64_e32 v[14:15], v[16:17], v[30:31]
	v_add_f64 v[0:1], v[0:1], v[6:7]
	v_mul_f64 v[6:7], v[76:77], v[108:109]
	v_addc_co_u32_e32 v185, vcc, v185, v5, vcc
	v_add_f64 v[2:3], v[2:3], v[14:15]
	v_fmac_f64_e32 v[18:19], v[20:21], v[38:39]
	v_mul_f64 v[8:9], v[34:35], v[56:57]
	v_fma_f64 v[6:7], v[74:75], v[106:107], -v[6:7]
	v_add_co_u32_e32 v188, vcc, s10, v188
	v_add_f64 v[2:3], v[2:3], v[18:19]
	v_mul_f64 v[10:11], v[42:43], v[60:61]
	v_fmac_f64_e32 v[8:9], v[36:37], v[54:55]
	v_add_f64 v[0:1], v[0:1], v[6:7]
	v_mul_f64 v[6:7], v[80:81], v[112:113]
	v_addc_co_u32_e32 v187, vcc, v187, v5, vcc
	v_mul_f64 v[12:13], v[46:47], v[64:65]
	v_add_f64 v[2:3], v[2:3], v[8:9]
	v_fmac_f64_e32 v[10:11], v[44:45], v[58:59]
	v_fma_f64 v[6:7], v[78:79], v[110:111], -v[6:7]
	v_add_co_u32_e32 v190, vcc, s10, v190
	v_mul_f64 v[14:15], v[50:51], v[72:73]
	v_add_f64 v[2:3], v[2:3], v[10:11]
	v_fmac_f64_e32 v[12:13], v[48:49], v[62:63]
	v_add_f64 v[0:1], v[0:1], v[6:7]
	v_mul_f64 v[6:7], v[100:101], v[120:121]
	v_addc_co_u32_e32 v189, vcc, v189, v5, vcc
	v_add_f64 v[2:3], v[2:3], v[12:13]
	v_fmac_f64_e32 v[14:15], v[52:53], v[70:71]
	v_mul_f64 v[8:9], v[66:67], v[104:105]
	v_fma_f64 v[6:7], v[98:99], v[118:119], -v[6:7]
	v_add_co_u32_e32 v192, vcc, s10, v192
	v_add_f64 v[2:3], v[2:3], v[14:15]
	v_mul_f64 v[10:11], v[74:75], v[108:109]
	v_add_f64 v[0:1], v[0:1], v[6:7]
	v_fmac_f64_e32 v[8:9], v[68:69], v[102:103]
	v_mul_f64 v[6:7], v[116:117], v[88:89]
	v_addc_co_u32_e32 v191, vcc, v191, v5, vcc
	v_mul_f64 v[12:13], v[78:79], v[112:113]
	v_add_f64 v[2:3], v[2:3], v[8:9]
	v_fmac_f64_e32 v[10:11], v[76:77], v[106:107]
	v_fma_f64 v[6:7], v[114:115], v[86:87], -v[6:7]
	v_add_co_u32_e32 v194, vcc, s10, v194
	v_mul_f64 v[14:15], v[98:99], v[120:121]
	v_add_f64 v[2:3], v[2:3], v[10:11]
	v_fmac_f64_e32 v[12:13], v[80:81], v[110:111]
	v_add_f64 v[0:1], v[0:1], v[6:7]
	v_mul_f64 v[6:7], v[124:125], v[92:93]
	v_addc_co_u32_e32 v193, vcc, v193, v5, vcc
	v_add_f64 v[2:3], v[2:3], v[12:13]
	v_fmac_f64_e32 v[14:15], v[100:101], v[118:119]
	v_mul_f64 v[8:9], v[114:115], v[88:89]
	v_fma_f64 v[6:7], v[122:123], v[90:91], -v[6:7]
	v_add_co_u32_e32 v196, vcc, s10, v196
	v_add_f64 v[2:3], v[2:3], v[14:15]
	v_mul_f64 v[10:11], v[122:123], v[92:93]
	v_add_f64 v[0:1], v[0:1], v[6:7]
	v_mul_f64 v[6:7], v[128:129], v[96:97]
	v_fmac_f64_e32 v[8:9], v[116:117], v[86:87]
	v_addc_co_u32_e32 v195, vcc, v195, v5, vcc
	v_fma_f64 v[6:7], v[126:127], v[94:95], -v[6:7]
	v_mul_f64 v[12:13], v[126:127], v[96:97]
	v_fmac_f64_e32 v[10:11], v[124:125], v[90:91]
	v_add_f64 v[2:3], v[2:3], v[8:9]
	v_add_co_u32_e32 v198, vcc, s10, v198
	v_add_f64 v[0:1], v[0:1], v[6:7]
	v_mul_f64 v[6:7], v[132:133], v[136:137]
	v_mul_f64 v[14:15], v[130:131], v[136:137]
	v_fmac_f64_e32 v[12:13], v[128:129], v[94:95]
	v_add_f64 v[2:3], v[2:3], v[10:11]
	v_addc_co_u32_e32 v197, vcc, v197, v5, vcc
	v_fma_f64 v[6:7], v[130:131], v[134:135], -v[6:7]
	v_fmac_f64_e32 v[14:15], v[132:133], v[134:135]
	v_add_f64 v[2:3], v[2:3], v[12:13]
	s_add_i32 s4, s6, 1
	s_add_i32 s27, s27, 64
	;; [unrolled: 1-line block ×3, first 2 shown]
	v_add_co_u32_e32 v200, vcc, s10, v200
	v_add_f64 v[0:1], v[0:1], v[6:7]
	v_add_f64 v[2:3], v[2:3], v[14:15]
	s_cmp_ge_u32 s5, s7
	v_addc_co_u32_e32 v199, vcc, v199, v5, vcc
	s_barrier
	s_cbranch_scc1 .LBB48_188
; %bb.187:                              ;   in Loop: Header=BB48_136 Depth=1
	s_mov_b32 s6, s4
	s_cmp_eq_u32 s26, s6
	s_cselect_b32 s28, s25, 0
	s_and_saveexec_b64 s[4:5], s[0:1]
	s_cbranch_execnz .LBB48_132
	s_branch .LBB48_136
.LBB48_188:
	s_movk_i32 s2, 0x430
	v_cmp_gt_i32_e32 vcc, s18, v201
	v_mad_u32_u24 v4, v202, s2, v168
	s_or_b64 s[2:3], s[20:21], vcc
	s_and_b64 s[0:1], s[0:1], s[2:3]
	ds_write_b128 v4, v[0:3]
	s_waitcnt lgkmcnt(0)
	s_barrier
	s_and_saveexec_b64 s[2:3], s[0:1]
	s_cbranch_execz .LBB48_190
; %bb.189:
	ds_read_b128 v[0:3], v168 offset:1072
	ds_read_b128 v[4:7], v168
	ds_read_b128 v[8:11], v168 offset:2144
	ds_read_b128 v[12:15], v168 offset:3216
	s_waitcnt lgkmcnt(2)
	v_add_f64 v[0:1], v[0:1], v[4:5]
	v_add_f64 v[2:3], v[2:3], v[6:7]
	v_lshlrev_b64 v[4:5], 4, v[166:167]
	s_waitcnt lgkmcnt(1)
	v_add_f64 v[0:1], v[0:1], v[8:9]
	v_add_f64 v[2:3], v[2:3], v[10:11]
	v_mov_b32_e32 v6, s24
	v_add_co_u32_e32 v4, vcc, s19, v4
	s_waitcnt lgkmcnt(0)
	v_add_f64 v[0:1], v[0:1], v[12:13]
	v_add_f64 v[2:3], v[2:3], v[14:15]
	v_addc_co_u32_e32 v5, vcc, v6, v5, vcc
	global_store_dwordx4 v[4:5], v[0:3], off
.LBB48_190:
	s_endpgm
	.section	.rodata,"a",@progbits
	.p2align	6, 0x0
	.amdhsa_kernel _ZL26rocblas_hemvn_kernel_upperILb1ELi64ELi4ELi33ELi32ELi16ElPK19rocblas_complex_numIdEPKS3_PS1_EviT6_lT7_lT5_lS8_lS9_lS7_lT8_i
		.amdhsa_group_segment_fixed_size 19200
		.amdhsa_private_segment_fixed_size 0
		.amdhsa_kernarg_size 376
		.amdhsa_user_sgpr_count 6
		.amdhsa_user_sgpr_private_segment_buffer 1
		.amdhsa_user_sgpr_dispatch_ptr 0
		.amdhsa_user_sgpr_queue_ptr 0
		.amdhsa_user_sgpr_kernarg_segment_ptr 1
		.amdhsa_user_sgpr_dispatch_id 0
		.amdhsa_user_sgpr_flat_scratch_init 0
		.amdhsa_user_sgpr_kernarg_preload_length 0
		.amdhsa_user_sgpr_kernarg_preload_offset 0
		.amdhsa_user_sgpr_private_segment_size 0
		.amdhsa_uses_dynamic_stack 0
		.amdhsa_system_sgpr_private_segment_wavefront_offset 0
		.amdhsa_system_sgpr_workgroup_id_x 1
		.amdhsa_system_sgpr_workgroup_id_y 0
		.amdhsa_system_sgpr_workgroup_id_z 1
		.amdhsa_system_sgpr_workgroup_info 0
		.amdhsa_system_vgpr_workitem_id 1
		.amdhsa_next_free_vgpr 230
		.amdhsa_next_free_sgpr 42
		.amdhsa_accum_offset 232
		.amdhsa_reserve_vcc 1
		.amdhsa_reserve_flat_scratch 0
		.amdhsa_float_round_mode_32 0
		.amdhsa_float_round_mode_16_64 0
		.amdhsa_float_denorm_mode_32 3
		.amdhsa_float_denorm_mode_16_64 3
		.amdhsa_dx10_clamp 1
		.amdhsa_ieee_mode 1
		.amdhsa_fp16_overflow 0
		.amdhsa_tg_split 0
		.amdhsa_exception_fp_ieee_invalid_op 0
		.amdhsa_exception_fp_denorm_src 0
		.amdhsa_exception_fp_ieee_div_zero 0
		.amdhsa_exception_fp_ieee_overflow 0
		.amdhsa_exception_fp_ieee_underflow 0
		.amdhsa_exception_fp_ieee_inexact 0
		.amdhsa_exception_int_div_zero 0
	.end_amdhsa_kernel
	.section	.text._ZL26rocblas_hemvn_kernel_upperILb1ELi64ELi4ELi33ELi32ELi16ElPK19rocblas_complex_numIdEPKS3_PS1_EviT6_lT7_lT5_lS8_lS9_lS7_lT8_i,"axG",@progbits,_ZL26rocblas_hemvn_kernel_upperILb1ELi64ELi4ELi33ELi32ELi16ElPK19rocblas_complex_numIdEPKS3_PS1_EviT6_lT7_lT5_lS8_lS9_lS7_lT8_i,comdat
.Lfunc_end48:
	.size	_ZL26rocblas_hemvn_kernel_upperILb1ELi64ELi4ELi33ELi32ELi16ElPK19rocblas_complex_numIdEPKS3_PS1_EviT6_lT7_lT5_lS8_lS9_lS7_lT8_i, .Lfunc_end48-_ZL26rocblas_hemvn_kernel_upperILb1ELi64ELi4ELi33ELi32ELi16ElPK19rocblas_complex_numIdEPKS3_PS1_EviT6_lT7_lT5_lS8_lS9_lS7_lT8_i
                                        ; -- End function
	.section	.AMDGPU.csdata,"",@progbits
; Kernel info:
; codeLenInByte = 11280
; NumSgprs: 46
; NumVgprs: 230
; NumAgprs: 0
; TotalNumVgprs: 230
; ScratchSize: 0
; MemoryBound: 1
; FloatMode: 240
; IeeeMode: 1
; LDSByteSize: 19200 bytes/workgroup (compile time only)
; SGPRBlocks: 5
; VGPRBlocks: 28
; NumSGPRsForWavesPerEU: 46
; NumVGPRsForWavesPerEU: 230
; AccumOffset: 232
; Occupancy: 2
; WaveLimiterHint : 1
; COMPUTE_PGM_RSRC2:SCRATCH_EN: 0
; COMPUTE_PGM_RSRC2:USER_SGPR: 6
; COMPUTE_PGM_RSRC2:TRAP_HANDLER: 0
; COMPUTE_PGM_RSRC2:TGID_X_EN: 1
; COMPUTE_PGM_RSRC2:TGID_Y_EN: 0
; COMPUTE_PGM_RSRC2:TGID_Z_EN: 1
; COMPUTE_PGM_RSRC2:TIDIG_COMP_CNT: 1
; COMPUTE_PGM_RSRC3_GFX90A:ACCUM_OFFSET: 57
; COMPUTE_PGM_RSRC3_GFX90A:TG_SPLIT: 0
	.section	.text._ZL36rocblas_hemvn_kernel_upper_block_sumILi64ElPK19rocblas_complex_numIdEPKPS1_S1_EviT1_lS7_lT2_lT0_lPT3_i,"axG",@progbits,_ZL36rocblas_hemvn_kernel_upper_block_sumILi64ElPK19rocblas_complex_numIdEPKPS1_S1_EviT1_lS7_lT2_lT0_lPT3_i,comdat
	.globl	_ZL36rocblas_hemvn_kernel_upper_block_sumILi64ElPK19rocblas_complex_numIdEPKPS1_S1_EviT1_lS7_lT2_lT0_lPT3_i ; -- Begin function _ZL36rocblas_hemvn_kernel_upper_block_sumILi64ElPK19rocblas_complex_numIdEPKPS1_S1_EviT1_lS7_lT2_lT0_lPT3_i
	.p2align	8
	.type	_ZL36rocblas_hemvn_kernel_upper_block_sumILi64ElPK19rocblas_complex_numIdEPKPS1_S1_EviT1_lS7_lT2_lT0_lPT3_i,@function
_ZL36rocblas_hemvn_kernel_upper_block_sumILi64ElPK19rocblas_complex_numIdEPKPS1_S1_EviT1_lS7_lT2_lT0_lPT3_i: ; @_ZL36rocblas_hemvn_kernel_upper_block_sumILi64ElPK19rocblas_complex_numIdEPKPS1_S1_EviT1_lS7_lT2_lT0_lPT3_i
; %bb.0:
	s_load_dwordx8 s[20:27], s[4:5], 0x8
	s_mov_b32 s18, s7
	s_waitcnt lgkmcnt(0)
	s_mul_i32 s0, s7, s23
	s_mul_hi_u32 s1, s7, s22
	s_add_i32 s1, s1, s0
	s_mul_i32 s0, s7, s22
	s_lshl_b64 s[0:1], s[0:1], 4
	s_add_u32 s0, s20, s0
	s_addc_u32 s1, s21, s1
	s_load_dwordx4 s[12:15], s[0:1], 0x0
	s_mul_i32 s0, s7, s27
	s_mul_hi_u32 s1, s7, s26
	s_add_i32 s1, s1, s0
	s_mul_i32 s0, s7, s26
	s_lshl_b64 s[0:1], s[0:1], 4
	s_add_u32 s0, s24, s0
	s_addc_u32 s1, s25, s1
	s_load_dwordx4 s[8:11], s[0:1], 0x0
	s_waitcnt lgkmcnt(0)
	v_cmp_neq_f64_e64 s[0:1], s[12:13], 0
	v_cmp_neq_f64_e64 s[2:3], s[14:15], 0
	s_or_b64 s[16:17], s[0:1], s[2:3]
	s_mov_b64 s[0:1], -1
	s_and_b64 vcc, exec, s[16:17]
	s_cbranch_vccnz .LBB49_2
; %bb.1:
	v_cmp_neq_f64_e64 s[0:1], s[8:9], 1.0
	v_cmp_neq_f64_e64 s[2:3], s[10:11], 0
	s_or_b64 s[0:1], s[0:1], s[2:3]
.LBB49_2:
	s_andn2_b64 vcc, exec, s[0:1]
	s_cbranch_vccnz .LBB49_22
; %bb.3:
	s_load_dwordx2 s[22:23], s[4:5], 0x28
	s_load_dword s20, s[4:5], 0x0
	s_load_dwordx4 s[0:3], s[4:5], 0x30
	s_mov_b32 s19, 0
	s_lshl_b64 s[24:25], s[18:19], 3
	s_xor_b64 s[16:17], s[16:17], -1
	s_waitcnt lgkmcnt(0)
	s_add_u32 s22, s22, s24
	s_addc_u32 s23, s23, s25
	s_load_dwordx2 s[22:23], s[22:23], 0x0
	s_lshl_b64 s[0:1], s[0:1], 4
	v_lshl_or_b32 v4, s6, 6, v0
	s_waitcnt lgkmcnt(0)
	s_add_u32 s7, s22, s0
	s_addc_u32 s19, s23, s1
	s_andn2_b64 vcc, exec, s[16:17]
	v_cmp_gt_i32_e64 s[0:1], s20, v4
	s_cbranch_vccnz .LBB49_8
; %bb.4:
	s_mov_b64 s[22:23], 0
	s_mov_b64 s[16:17], 0
                                        ; implicit-def: $vgpr2_vgpr3
                                        ; implicit-def: $vgpr6_vgpr7
	s_and_saveexec_b64 s[24:25], s[0:1]
	s_cbranch_execz .LBB49_9
; %bb.5:
	v_cmp_neq_f64_e64 s[0:1], s[8:9], 0
	v_cmp_neq_f64_e64 s[16:17], s[10:11], 0
	v_ashrrev_i32_e32 v0, 31, v4
	v_pk_mov_b32 v[2:3], 0, 0
	v_mul_lo_u32 v1, v4, s3
	v_mul_lo_u32 v0, v0, s2
	v_mad_u64_u32 v[6:7], s[26:27], v4, s2, 0
	s_or_b64 s[0:1], s[0:1], s[16:17]
	v_add3_u32 v7, v7, v1, v0
	s_andn2_b64 vcc, exec, s[0:1]
	v_pk_mov_b32 v[0:1], v[2:3], v[2:3] op_sel:[0,1]
	s_cbranch_vccnz .LBB49_7
; %bb.6:
	v_lshlrev_b64 v[0:1], 4, v[6:7]
	v_mov_b32_e32 v2, s19
	v_add_co_u32_e32 v0, vcc, s7, v0
	v_addc_co_u32_e32 v1, vcc, v2, v1, vcc
	global_load_dwordx4 v[8:11], v[0:1], off
	s_waitcnt vmcnt(0)
	v_mul_f64 v[0:1], s[10:11], v[10:11]
	v_mul_f64 v[2:3], s[8:9], v[10:11]
	v_fma_f64 v[0:1], s[8:9], v[8:9], -v[0:1]
	v_fmac_f64_e32 v[2:3], s[10:11], v[8:9]
.LBB49_7:
	s_mov_b64 s[16:17], exec
	s_or_b64 exec, exec, s[24:25]
	s_and_b64 vcc, exec, s[22:23]
	s_cbranch_vccnz .LBB49_10
	s_branch .LBB49_20
.LBB49_8:
	s_mov_b64 s[16:17], 0
                                        ; implicit-def: $vgpr2_vgpr3
                                        ; implicit-def: $vgpr6_vgpr7
	s_cbranch_execnz .LBB49_10
	s_branch .LBB49_20
.LBB49_9:
	s_or_b64 exec, exec, s[24:25]
	s_and_b64 vcc, exec, s[22:23]
	s_cbranch_vccz .LBB49_20
.LBB49_10:
	v_cmp_gt_i32_e32 vcc, s20, v4
                                        ; implicit-def: $vgpr2_vgpr3
                                        ; implicit-def: $vgpr6_vgpr7
	s_and_saveexec_b64 s[0:1], vcc
	s_cbranch_execz .LBB49_19
; %bb.11:
	v_pk_mov_b32 v[0:1], 0, 0
	v_ashrrev_i32_e32 v5, 31, v4
	s_cmp_lt_i32 s6, 0
	v_pk_mov_b32 v[6:7], v[0:1], v[0:1] op_sel:[0,1]
	s_cbranch_scc1 .LBB49_14
; %bb.12:
	s_load_dwordx2 s[22:23], s[4:5], 0x48
	s_load_dword s24, s[4:5], 0x58
	s_ashr_i32 s21, s20, 31
	s_mul_hi_u32 s4, s20, s18
	s_mul_i32 s5, s21, s18
	s_add_i32 s4, s4, s5
	s_mul_i32 s18, s20, s18
	s_waitcnt lgkmcnt(0)
	s_mul_i32 s4, s4, s24
	s_mul_hi_u32 s5, s18, s24
	s_add_i32 s5, s5, s4
	s_mul_i32 s4, s18, s24
	s_add_i32 s6, s6, 1
	s_lshl_b64 s[4:5], s[4:5], 4
	s_add_u32 s4, s22, s4
	v_lshlrev_b64 v[0:1], 4, v[4:5]
	s_addc_u32 s5, s23, s5
	v_mov_b32_e32 v2, s5
	v_add_co_u32_e32 v0, vcc, s4, v0
	v_addc_co_u32_e32 v1, vcc, v2, v1, vcc
	v_add_co_u32_e32 v2, vcc, 8, v0
	v_addc_co_u32_e32 v3, vcc, 0, v1, vcc
	s_lshl_b64 s[4:5], s[20:21], 4
	v_pk_mov_b32 v[0:1], 0, 0
	v_mov_b32_e32 v8, s5
	v_pk_mov_b32 v[6:7], v[0:1], v[0:1] op_sel:[0,1]
.LBB49_13:                              ; =>This Inner Loop Header: Depth=1
	global_load_dwordx4 v[10:13], v[2:3], off offset:-8
	s_add_i32 s6, s6, -1
	v_add_co_u32_e32 v2, vcc, s4, v2
	v_addc_co_u32_e32 v3, vcc, v3, v8, vcc
	s_cmp_eq_u32 s6, 0
	s_waitcnt vmcnt(0)
	v_add_f64 v[6:7], v[6:7], v[10:11]
	v_add_f64 v[0:1], v[0:1], v[12:13]
	s_cbranch_scc0 .LBB49_13
.LBB49_14:
	v_cmp_neq_f64_e64 s[20:21], s[8:9], 0
	v_cmp_neq_f64_e64 s[22:23], s[10:11], 0
	s_or_b64 s[20:21], s[20:21], s[22:23]
	v_mul_f64 v[8:9], s[14:15], v[0:1]
	v_mul_f64 v[2:3], s[12:13], v[0:1]
	s_mov_b64 s[4:5], 0
	s_andn2_b64 vcc, exec, s[20:21]
	v_fma_f64 v[0:1], s[12:13], v[6:7], -v[8:9]
	v_fmac_f64_e32 v[2:3], s[14:15], v[6:7]
	v_mul_lo_u32 v5, v5, s2
	v_mul_lo_u32 v8, v4, s3
	s_cbranch_vccz .LBB49_16
; %bb.15:
	v_mad_u64_u32 v[6:7], s[12:13], v4, s2, 0
	v_add3_u32 v7, v7, v8, v5
	s_andn2_b64 vcc, exec, s[4:5]
	s_cbranch_vccz .LBB49_17
	s_branch .LBB49_18
.LBB49_16:
                                        ; implicit-def: $vgpr6_vgpr7
.LBB49_17:
	v_mad_u64_u32 v[6:7], s[2:3], v4, s2, 0
	v_add3_u32 v7, v7, v8, v5
	v_lshlrev_b64 v[4:5], 4, v[6:7]
	v_mov_b32_e32 v8, s19
	v_add_co_u32_e32 v4, vcc, s7, v4
	v_addc_co_u32_e32 v5, vcc, v8, v5, vcc
	global_load_dwordx4 v[8:11], v[4:5], off
	s_waitcnt vmcnt(0)
	v_mul_f64 v[4:5], s[10:11], v[10:11]
	v_mul_f64 v[10:11], s[8:9], v[10:11]
	v_fma_f64 v[4:5], s[8:9], v[8:9], -v[4:5]
	v_fmac_f64_e32 v[10:11], s[10:11], v[8:9]
	v_add_f64 v[0:1], v[0:1], v[4:5]
	v_add_f64 v[2:3], v[2:3], v[10:11]
.LBB49_18:
	s_or_b64 s[16:17], s[16:17], exec
.LBB49_19:
	s_or_b64 exec, exec, s[0:1]
.LBB49_20:
	s_and_saveexec_b64 s[0:1], s[16:17]
	s_cbranch_execz .LBB49_22
; %bb.21:
	v_lshlrev_b64 v[4:5], 4, v[6:7]
	v_mov_b32_e32 v6, s19
	v_add_co_u32_e32 v4, vcc, s7, v4
	v_addc_co_u32_e32 v5, vcc, v6, v5, vcc
	global_store_dwordx4 v[4:5], v[0:3], off
.LBB49_22:
	s_endpgm
	.section	.rodata,"a",@progbits
	.p2align	6, 0x0
	.amdhsa_kernel _ZL36rocblas_hemvn_kernel_upper_block_sumILi64ElPK19rocblas_complex_numIdEPKPS1_S1_EviT1_lS7_lT2_lT0_lPT3_i
		.amdhsa_group_segment_fixed_size 0
		.amdhsa_private_segment_fixed_size 0
		.amdhsa_kernarg_size 344
		.amdhsa_user_sgpr_count 6
		.amdhsa_user_sgpr_private_segment_buffer 1
		.amdhsa_user_sgpr_dispatch_ptr 0
		.amdhsa_user_sgpr_queue_ptr 0
		.amdhsa_user_sgpr_kernarg_segment_ptr 1
		.amdhsa_user_sgpr_dispatch_id 0
		.amdhsa_user_sgpr_flat_scratch_init 0
		.amdhsa_user_sgpr_kernarg_preload_length 0
		.amdhsa_user_sgpr_kernarg_preload_offset 0
		.amdhsa_user_sgpr_private_segment_size 0
		.amdhsa_uses_dynamic_stack 0
		.amdhsa_system_sgpr_private_segment_wavefront_offset 0
		.amdhsa_system_sgpr_workgroup_id_x 1
		.amdhsa_system_sgpr_workgroup_id_y 0
		.amdhsa_system_sgpr_workgroup_id_z 1
		.amdhsa_system_sgpr_workgroup_info 0
		.amdhsa_system_vgpr_workitem_id 0
		.amdhsa_next_free_vgpr 14
		.amdhsa_next_free_sgpr 28
		.amdhsa_accum_offset 16
		.amdhsa_reserve_vcc 1
		.amdhsa_reserve_flat_scratch 0
		.amdhsa_float_round_mode_32 0
		.amdhsa_float_round_mode_16_64 0
		.amdhsa_float_denorm_mode_32 3
		.amdhsa_float_denorm_mode_16_64 3
		.amdhsa_dx10_clamp 1
		.amdhsa_ieee_mode 1
		.amdhsa_fp16_overflow 0
		.amdhsa_tg_split 0
		.amdhsa_exception_fp_ieee_invalid_op 0
		.amdhsa_exception_fp_denorm_src 0
		.amdhsa_exception_fp_ieee_div_zero 0
		.amdhsa_exception_fp_ieee_overflow 0
		.amdhsa_exception_fp_ieee_underflow 0
		.amdhsa_exception_fp_ieee_inexact 0
		.amdhsa_exception_int_div_zero 0
	.end_amdhsa_kernel
	.section	.text._ZL36rocblas_hemvn_kernel_upper_block_sumILi64ElPK19rocblas_complex_numIdEPKPS1_S1_EviT1_lS7_lT2_lT0_lPT3_i,"axG",@progbits,_ZL36rocblas_hemvn_kernel_upper_block_sumILi64ElPK19rocblas_complex_numIdEPKPS1_S1_EviT1_lS7_lT2_lT0_lPT3_i,comdat
.Lfunc_end49:
	.size	_ZL36rocblas_hemvn_kernel_upper_block_sumILi64ElPK19rocblas_complex_numIdEPKPS1_S1_EviT1_lS7_lT2_lT0_lPT3_i, .Lfunc_end49-_ZL36rocblas_hemvn_kernel_upper_block_sumILi64ElPK19rocblas_complex_numIdEPKPS1_S1_EviT1_lS7_lT2_lT0_lPT3_i
                                        ; -- End function
	.section	.AMDGPU.csdata,"",@progbits
; Kernel info:
; codeLenInByte = 904
; NumSgprs: 32
; NumVgprs: 14
; NumAgprs: 0
; TotalNumVgprs: 14
; ScratchSize: 0
; MemoryBound: 0
; FloatMode: 240
; IeeeMode: 1
; LDSByteSize: 0 bytes/workgroup (compile time only)
; SGPRBlocks: 3
; VGPRBlocks: 1
; NumSGPRsForWavesPerEU: 32
; NumVGPRsForWavesPerEU: 14
; AccumOffset: 16
; Occupancy: 8
; WaveLimiterHint : 1
; COMPUTE_PGM_RSRC2:SCRATCH_EN: 0
; COMPUTE_PGM_RSRC2:USER_SGPR: 6
; COMPUTE_PGM_RSRC2:TRAP_HANDLER: 0
; COMPUTE_PGM_RSRC2:TGID_X_EN: 1
; COMPUTE_PGM_RSRC2:TGID_Y_EN: 0
; COMPUTE_PGM_RSRC2:TGID_Z_EN: 1
; COMPUTE_PGM_RSRC2:TIDIG_COMP_CNT: 0
; COMPUTE_PGM_RSRC3_GFX90A:ACCUM_OFFSET: 3
; COMPUTE_PGM_RSRC3_GFX90A:TG_SPLIT: 0
	.section	.text._ZL26rocblas_hemvn_kernel_upperILb1ELi64ELi4ELi33ELi32ELi16EiPK19rocblas_complex_numIdEPKS3_PS1_EviT6_lT7_lT5_lS8_lS9_lS7_lT8_i,"axG",@progbits,_ZL26rocblas_hemvn_kernel_upperILb1ELi64ELi4ELi33ELi32ELi16EiPK19rocblas_complex_numIdEPKS3_PS1_EviT6_lT7_lT5_lS8_lS9_lS7_lT8_i,comdat
	.globl	_ZL26rocblas_hemvn_kernel_upperILb1ELi64ELi4ELi33ELi32ELi16EiPK19rocblas_complex_numIdEPKS3_PS1_EviT6_lT7_lT5_lS8_lS9_lS7_lT8_i ; -- Begin function _ZL26rocblas_hemvn_kernel_upperILb1ELi64ELi4ELi33ELi32ELi16EiPK19rocblas_complex_numIdEPKS3_PS1_EviT6_lT7_lT5_lS8_lS9_lS7_lT8_i
	.p2align	8
	.type	_ZL26rocblas_hemvn_kernel_upperILb1ELi64ELi4ELi33ELi32ELi16EiPK19rocblas_complex_numIdEPKS3_PS1_EviT6_lT7_lT5_lS8_lS9_lS7_lT8_i,@function
_ZL26rocblas_hemvn_kernel_upperILb1ELi64ELi4ELi33ELi32ELi16EiPK19rocblas_complex_numIdEPKS3_PS1_EviT6_lT7_lT5_lS8_lS9_lS7_lT8_i: ; @_ZL26rocblas_hemvn_kernel_upperILb1ELi64ELi4ELi33ELi32ELi16EiPK19rocblas_complex_numIdEPKS3_PS1_EviT6_lT7_lT5_lS8_lS9_lS7_lT8_i
; %bb.0:
	s_load_dwordx2 s[0:1], s[4:5], 0x84
	s_add_u32 s16, s4, 0x78
	s_addc_u32 s17, s5, 0
	s_waitcnt lgkmcnt(0)
	s_lshr_b32 s2, s0, 16
	s_and_b32 s0, s0, 0xffff
	s_and_b32 s1, s1, 0xffff
	s_mul_i32 s0, s2, s0
	s_mul_i32 s0, s0, s1
	s_cmpk_lg_i32 s0, 0x100
	s_cbranch_scc1 .LBB50_190
; %bb.1:
	s_load_dwordx8 s[8:15], s[4:5], 0x8
	s_mov_b32 s20, s7
	s_mov_b32 s21, 0
	s_waitcnt lgkmcnt(0)
	s_mul_i32 s1, s7, s11
	s_mul_hi_u32 s2, s7, s10
	s_mul_i32 s0, s7, s10
	s_add_i32 s1, s2, s1
	s_lshl_b64 s[0:1], s[0:1], 4
	s_add_u32 s8, s8, s0
	s_addc_u32 s9, s9, s1
	s_load_dwordx4 s[24:27], s[8:9], 0x0
	s_load_dwordx2 s[22:23], s[4:5], 0x68
	s_load_dwordx4 s[0:3], s[4:5], 0x58
	s_mov_b64 s[10:11], 0
	s_waitcnt lgkmcnt(0)
	v_cmp_neq_f64_e64 s[8:9], s[24:25], 0
	v_cmp_neq_f64_e64 s[18:19], s[26:27], 0
	s_or_b64 s[8:9], s[8:9], s[18:19]
	s_and_b64 vcc, exec, s[8:9]
	s_cbranch_vccnz .LBB50_3
; %bb.2:
	s_mul_i32 s3, s20, s3
	s_mul_hi_u32 s7, s20, s2
	s_add_i32 s3, s7, s3
	s_mul_i32 s2, s20, s2
	s_lshl_b64 s[2:3], s[2:3], 4
	s_add_u32 s0, s0, s2
	s_addc_u32 s1, s1, s3
	s_load_dwordx4 s[24:27], s[0:1], 0x0
	s_mov_b64 s[2:3], 0
	s_waitcnt lgkmcnt(0)
	v_cmp_neq_f64_e64 s[0:1], s[24:25], 1.0
	v_cmp_neq_f64_e64 s[10:11], s[26:27], 0
	s_or_b64 s[10:11], s[0:1], s[10:11]
	s_cbranch_execz .LBB50_4
	s_branch .LBB50_5
.LBB50_3:
	s_mov_b64 s[2:3], -1
.LBB50_4:
	s_lshl_b64 s[0:1], s[20:21], 3
	s_add_u32 s0, s12, s0
	s_addc_u32 s1, s13, s1
	s_load_dwordx2 s[0:1], s[0:1], 0x0
	s_lshl_b64 s[2:3], s[14:15], 4
	s_mov_b64 s[10:11], -1
	s_waitcnt lgkmcnt(0)
	s_add_u32 s2, s0, s2
	s_addc_u32 s3, s1, s3
.LBB50_5:
	s_andn2_b64 vcc, exec, s[10:11]
	s_cbranch_vccnz .LBB50_190
; %bb.6:
	v_cndmask_b32_e64 v1, 0, 1, s[8:9]
	v_cmp_ne_u32_e64 s[0:1], 1, v1
	s_andn2_b64 vcc, exec, s[8:9]
	s_mov_b64 s[8:9], 0
	s_cbranch_vccnz .LBB50_8
; %bb.7:
	s_load_dwordx4 s[8:11], s[4:5], 0x38
	s_lshl_b64 s[12:13], s[20:21], 3
	s_waitcnt lgkmcnt(0)
	s_add_u32 s8, s8, s12
	s_addc_u32 s9, s9, s13
	s_load_dwordx2 s[8:9], s[8:9], 0x0
	s_lshl_b64 s[10:11], s[10:11], 4
	s_waitcnt lgkmcnt(0)
	s_add_u32 s8, s8, s10
	s_addc_u32 s9, s9, s11
.LBB50_8:
	s_and_b64 vcc, exec, s[0:1]
	s_cbranch_vccnz .LBB50_190
; %bb.9:
	s_load_dword s7, s[16:17], 0x0
	s_load_dword s40, s[4:5], 0x0
	;; [unrolled: 1-line block ×3, first 2 shown]
	v_and_b32_e32 v168, 0x3ff, v0
	s_lshl_b32 s24, s6, 6
	v_add_u32_e32 v166, s24, v168
	s_waitcnt lgkmcnt(0)
	s_ashr_i32 s41, s40, 31
	s_lshr_b32 s1, s41, 26
	v_bfe_u32 v209, v0, 10, 10
	s_add_i32 s1, s40, s1
	v_mul_lo_u32 v0, v166, s21
	s_andn2_b32 s1, s1, 63
	v_ashrrev_i32_e32 v1, 31, v0
	s_add_i32 s0, s7, -1
	s_sub_i32 s33, s40, s1
	v_lshlrev_b64 v[0:1], 4, v[0:1]
	s_cmp_eq_u32 s6, s0
	v_mov_b32_e32 v2, s9
	v_add_co_u32_e32 v36, vcc, s8, v0
	s_cselect_b32 s16, s33, 0
	v_addc_co_u32_e32 v37, vcc, v2, v1, vcc
	v_cmp_eq_u32_e64 s[0:1], 0, v209
	s_and_saveexec_b64 s[8:9], s[0:1]
	s_cbranch_execz .LBB50_14
; %bb.10:
	s_cmp_lg_u32 s16, 0
	s_cselect_b64 s[10:11], -1, 0
	v_cmp_le_i32_e32 vcc, s16, v168
	v_mov_b32_e32 v0, 0x4700
	s_and_b64 s[10:11], s[10:11], vcc
	v_lshl_add_u32 v0, v168, 4, v0
	s_and_saveexec_b64 s[12:13], s[10:11]
	s_xor_b64 s[10:11], exec, s[12:13]
	s_cbranch_execz .LBB50_12
; %bb.11:
	v_mov_b32_e32 v2, 0
	v_mov_b32_e32 v3, v2
	;; [unrolled: 1-line block ×4, first 2 shown]
	ds_write_b128 v0, v[2:5]
                                        ; implicit-def: $vgpr0
.LBB50_12:
	s_andn2_saveexec_b64 s[10:11], s[10:11]
	s_cbranch_execz .LBB50_14
; %bb.13:
	flat_load_dwordx4 v[2:5], v[36:37]
	s_waitcnt vmcnt(0) lgkmcnt(0)
	ds_write2_b64 v0, v[2:3], v[4:5] offset1:1
.LBB50_14:
	s_or_b64 exec, exec, s[8:9]
	s_load_dword s26, s[4:5], 0x28
	s_ashr_i32 s25, s24, 31
	v_lshl_add_u32 v42, v209, 6, v168
	s_lshl_b64 s[4:5], s[24:25], 4
	v_and_b32_e32 v4, 31, v168
	v_lshrrev_b32_e32 v5, 5, v42
	s_add_u32 s4, s2, s4
	s_addc_u32 s5, s3, s5
	s_waitcnt lgkmcnt(0)
	v_mad_u64_u32 v[0:1], s[2:3], v5, s26, v[4:5]
	s_mul_i32 s2, s24, s26
	s_ashr_i32 s3, s2, 31
	s_lshl_b64 s[2:3], s[2:3], 4
	s_add_u32 s2, s2, s4
	v_ashrrev_i32_e32 v1, 31, v0
	s_addc_u32 s3, s3, s5
	v_lshlrev_b64 v[38:39], 4, v[0:1]
	s_cmp_eq_u32 s16, 0
	v_mov_b32_e32 v1, s3
	v_add_co_u32_e32 v0, vcc, s2, v38
	s_cselect_b64 s[18:19], -1, 0
	s_cmp_lg_u32 s16, 0
	v_addc_co_u32_e32 v1, vcc, v1, v39, vcc
	s_cselect_b64 s[34:35], -1, 0
	s_and_b64 vcc, exec, s[34:35]
	v_cmp_gt_i32_e64 s[2:3], s16, v4
	v_lshlrev_b32_e32 v11, 4, v4
	v_mul_u32_u24_e32 v10, 33, v5
	s_cbranch_vccz .LBB50_32
; %bb.15:
	v_sub_co_u32_e32 v2, vcc, v0, v11
	s_ashr_i32 s17, s16, 31
	v_subbrev_co_u32_e32 v3, vcc, 0, v1, vcc
	s_lshl_b64 s[4:5], s[16:17], 4
	v_mov_b32_e32 v6, s5
	v_add_co_u32_e32 v2, vcc, s4, v2
	v_addc_co_u32_e32 v3, vcc, v3, v6, vcc
	v_add_co_u32_e32 v2, vcc, -16, v2
	v_addc_co_u32_e32 v3, vcc, -1, v3, vcc
	v_cndmask_b32_e64 v3, v3, v1, s[2:3]
	v_cndmask_b32_e64 v2, v2, v0, s[2:3]
	v_cmp_le_i32_e32 vcc, s16, v5
	v_add_lshl_u32 v6, v10, v4, 4
	s_and_saveexec_b64 s[8:9], vcc
	s_xor_b64 s[8:9], exec, s[8:9]
	s_cbranch_execz .LBB50_17
; %bb.16:
	v_mov_b32_e32 v12, 0
	v_mov_b32_e32 v13, v12
	v_mov_b32_e32 v14, v12
	v_mov_b32_e32 v15, v12
	ds_write_b128 v6, v[12:15]
.LBB50_17:
	s_andn2_saveexec_b64 s[8:9], s[8:9]
	s_cbranch_execz .LBB50_19
; %bb.18:
	flat_load_dwordx4 v[12:15], v[2:3]
	s_waitcnt vmcnt(0) lgkmcnt(0)
	ds_write2_b64 v6, v[12:13], v[14:15] offset1:1
.LBB50_19:
	s_or_b64 exec, exec, s[8:9]
	v_add_u32_e32 v7, 8, v5
	v_cmp_le_i32_e32 vcc, s16, v7
	s_and_saveexec_b64 s[8:9], vcc
	s_xor_b64 s[8:9], exec, s[8:9]
	s_cbranch_execz .LBB50_21
; %bb.20:
	v_mul_u32_u24_e32 v7, 33, v7
	v_mov_b32_e32 v12, 0
	v_add_lshl_u32 v7, v7, v4, 4
	v_mov_b32_e32 v13, v12
	v_mov_b32_e32 v14, v12
	v_mov_b32_e32 v15, v12
	ds_write_b128 v7, v[12:15]
.LBB50_21:
	s_andn2_saveexec_b64 s[8:9], s[8:9]
	s_cbranch_execz .LBB50_23
; %bb.22:
	s_lshl_b32 s10, s26, 3
	s_ashr_i32 s11, s10, 31
	s_lshl_b64 s[10:11], s[10:11], 4
	v_mov_b32_e32 v7, s11
	v_add_co_u32_e32 v8, vcc, s10, v2
	v_addc_co_u32_e32 v9, vcc, v3, v7, vcc
	flat_load_dwordx4 v[12:15], v[8:9]
	v_add_u32_e32 v7, 0x1080, v6
	s_waitcnt vmcnt(0) lgkmcnt(0)
	ds_write2_b64 v7, v[12:13], v[14:15] offset1:1
.LBB50_23:
	s_or_b64 exec, exec, s[8:9]
	v_add_u32_e32 v7, 16, v5
	v_cmp_le_i32_e32 vcc, s16, v7
	s_and_saveexec_b64 s[8:9], vcc
	s_xor_b64 s[8:9], exec, s[8:9]
	s_cbranch_execz .LBB50_25
; %bb.24:
	v_mul_u32_u24_e32 v7, 33, v7
	v_mov_b32_e32 v12, 0
	v_add_lshl_u32 v7, v7, v4, 4
	v_mov_b32_e32 v13, v12
	v_mov_b32_e32 v14, v12
	;; [unrolled: 1-line block ×3, first 2 shown]
	ds_write_b128 v7, v[12:15]
.LBB50_25:
	s_andn2_saveexec_b64 s[8:9], s[8:9]
	s_cbranch_execz .LBB50_27
; %bb.26:
	s_lshl_b32 s10, s26, 4
	s_ashr_i32 s11, s10, 31
	s_lshl_b64 s[10:11], s[10:11], 4
	v_mov_b32_e32 v7, s11
	v_add_co_u32_e32 v8, vcc, s10, v2
	v_addc_co_u32_e32 v9, vcc, v3, v7, vcc
	flat_load_dwordx4 v[12:15], v[8:9]
	v_add_u32_e32 v7, 0x2100, v6
	s_waitcnt vmcnt(0) lgkmcnt(0)
	ds_write2_b64 v7, v[12:13], v[14:15] offset1:1
.LBB50_27:
	s_or_b64 exec, exec, s[8:9]
	v_add_u32_e32 v7, 24, v5
	v_cmp_le_i32_e32 vcc, s16, v7
	s_and_saveexec_b64 s[8:9], vcc
	s_xor_b64 s[8:9], exec, s[8:9]
	s_cbranch_execz .LBB50_29
; %bb.28:
	v_mov_b32_e32 v12, 0
	v_mov_b32_e32 v13, v12
	;; [unrolled: 1-line block ×4, first 2 shown]
	ds_write_b128 v6, v[12:15] offset:12672
                                        ; implicit-def: $vgpr6
.LBB50_29:
	s_andn2_saveexec_b64 s[8:9], s[8:9]
	s_cbranch_execz .LBB50_31
; %bb.30:
	s_mul_i32 s10, s26, 24
	s_ashr_i32 s11, s10, 31
	s_lshl_b64 s[10:11], s[10:11], 4
	v_mov_b32_e32 v7, s11
	v_add_co_u32_e32 v8, vcc, s10, v2
	v_addc_co_u32_e32 v9, vcc, v3, v7, vcc
	flat_load_dwordx4 v[12:15], v[8:9]
	v_add_u32_e32 v6, 0x3180, v6
	s_waitcnt vmcnt(0) lgkmcnt(0)
	ds_write2_b64 v6, v[12:13], v[14:15] offset1:1
.LBB50_31:
	s_or_b64 exec, exec, s[8:9]
	v_add_co_u32_e32 v2, vcc, v2, v11
	v_addc_co_u32_e32 v3, vcc, 0, v3, vcc
	v_mov_b32_e32 v6, s5
	v_subrev_co_u32_e32 v2, vcc, s4, v2
	v_subb_co_u32_e32 v3, vcc, v3, v6, vcc
	v_add_co_u32_e32 v2, vcc, 16, v2
	v_addc_co_u32_e32 v3, vcc, 0, v3, vcc
	v_cndmask_b32_e64 v7, v3, v1, s[2:3]
	v_cndmask_b32_e64 v6, v2, v0, s[2:3]
	s_branch .LBB50_34
.LBB50_32:
                                        ; implicit-def: $vgpr6_vgpr7
	s_cbranch_execz .LBB50_34
; %bb.33:
	flat_load_dwordx4 v[6:9], v[0:1]
	s_lshl_b32 s2, s26, 3
	s_ashr_i32 s3, s2, 31
	s_lshl_b64 s[2:3], s[2:3], 4
	v_add_lshl_u32 v12, v10, v4, 4
	v_mov_b32_e32 v3, s3
	v_add_co_u32_e32 v2, vcc, s2, v0
	v_addc_co_u32_e32 v3, vcc, v1, v3, vcc
	s_ashr_i32 s27, s26, 31
	s_lshl_b64 s[2:3], s[26:27], 7
	v_add_u32_e32 v13, 0x1080, v12
	v_mov_b32_e32 v14, s3
	s_waitcnt vmcnt(0) lgkmcnt(0)
	ds_write2_b64 v12, v[6:7], v[8:9] offset1:1
	flat_load_dwordx4 v[6:9], v[2:3]
	v_add_co_u32_e32 v2, vcc, s2, v2
	v_addc_co_u32_e32 v3, vcc, v3, v14, vcc
	s_waitcnt vmcnt(0) lgkmcnt(0)
	ds_write2_b64 v13, v[6:7], v[8:9] offset1:1
	flat_load_dwordx4 v[6:9], v[2:3]
	v_add_u32_e32 v13, 0x2100, v12
	v_add_co_u32_e32 v2, vcc, s2, v2
	v_addc_co_u32_e32 v3, vcc, v3, v14, vcc
	s_waitcnt vmcnt(0) lgkmcnt(0)
	ds_write2_b64 v13, v[6:7], v[8:9] offset1:1
	flat_load_dwordx4 v[6:9], v[2:3]
	v_add_u32_e32 v2, 0x3180, v12
	s_waitcnt vmcnt(0) lgkmcnt(0)
	ds_write2_b64 v2, v[6:7], v[8:9] offset1:1
	v_pk_mov_b32 v[6:7], v[0:1], v[0:1] op_sel:[0,1]
.LBB50_34:
	v_lshlrev_b32_e32 v15, 2, v5
	v_cmp_le_u32_e64 s[4:5], v15, v4
	s_waitcnt lgkmcnt(0)
	s_barrier
	s_and_saveexec_b64 s[2:3], s[4:5]
	s_xor_b64 s[2:3], exec, s[2:3]
	s_cbranch_execz .LBB50_38
; %bb.35:
	v_cmp_eq_u32_e32 vcc, v15, v4
	s_and_saveexec_b64 s[8:9], vcc
	s_cbranch_execz .LBB50_37
; %bb.36:
	v_mul_u32_u24_e32 v0, 34, v4
	v_lshlrev_b32_e32 v2, 4, v0
	v_mov_b32_e32 v0, 0
	v_mov_b32_e32 v1, v0
	ds_write_b64 v2, v[0:1] offset:8
.LBB50_37:
	s_or_b64 exec, exec, s[8:9]
.LBB50_38:
	s_or_saveexec_b64 s[2:3], s[2:3]
	v_mul_u32_u24_e32 v12, 33, v4
	v_add_lshl_u32 v13, v15, v12, 4
	s_xor_b64 exec, exec, s[2:3]
	s_cbranch_execz .LBB50_40
; %bb.39:
	v_mul_u32_u24_e32 v0, 0x84, v5
	v_add_lshl_u32 v0, v0, v4, 4
	ds_read_b128 v[0:3], v0
	s_waitcnt lgkmcnt(0)
	v_xor_b32_e32 v3, 0x80000000, v3
	ds_write_b128 v13, v[0:3]
.LBB50_40:
	s_or_b64 exec, exec, s[2:3]
	v_or_b32_e32 v14, 1, v15
	v_cmp_ge_u32_e64 s[14:15], v15, v4
	v_mul_u32_u24_e32 v0, 33, v14
	s_and_saveexec_b64 s[2:3], s[14:15]
	s_xor_b64 s[2:3], exec, s[2:3]
	s_cbranch_execz .LBB50_42
; %bb.41:
	v_add_lshl_u32 v1, v0, v4, 4
	ds_read_b128 v[16:19], v1
	s_waitcnt lgkmcnt(0)
	v_xor_b32_e32 v19, 0x80000000, v19
	ds_write_b128 v13, v[16:19] offset:16
.LBB50_42:
	s_andn2_saveexec_b64 s[2:3], s[2:3]
	s_cbranch_execz .LBB50_46
; %bb.43:
	v_cmp_eq_u32_e32 vcc, v14, v4
	s_and_saveexec_b64 s[8:9], vcc
	s_cbranch_execz .LBB50_45
; %bb.44:
	v_mul_u32_u24_e32 v1, 34, v4
	v_mov_b32_e32 v2, 0
	v_lshlrev_b32_e32 v1, 4, v1
	v_mov_b32_e32 v3, v2
	ds_write_b64 v1, v[2:3] offset:8
.LBB50_45:
	s_or_b64 exec, exec, s[8:9]
.LBB50_46:
	s_or_b64 exec, exec, s[2:3]
	v_or_b32_e32 v17, 2, v15
	v_cmp_le_u32_e64 s[8:9], v17, v4
	s_and_saveexec_b64 s[2:3], s[8:9]
	s_xor_b64 s[2:3], exec, s[2:3]
	s_cbranch_execz .LBB50_50
; %bb.47:
	v_cmp_eq_u32_e32 vcc, v17, v4
	s_and_saveexec_b64 s[10:11], vcc
	s_cbranch_execz .LBB50_49
; %bb.48:
	v_mul_u32_u24_e32 v1, 34, v4
	v_mov_b32_e32 v2, 0
	v_lshlrev_b32_e32 v1, 4, v1
	v_mov_b32_e32 v3, v2
	ds_write_b64 v1, v[2:3] offset:8
.LBB50_49:
	s_or_b64 exec, exec, s[10:11]
.LBB50_50:
	s_andn2_saveexec_b64 s[2:3], s[2:3]
	s_cbranch_execz .LBB50_52
; %bb.51:
	v_mul_u32_u24_e32 v1, 33, v17
	v_add_lshl_u32 v1, v1, v4, 4
	ds_read_b128 v[18:21], v1
	s_waitcnt lgkmcnt(0)
	v_xor_b32_e32 v21, 0x80000000, v21
	ds_write_b128 v13, v[18:21] offset:32
.LBB50_52:
	s_or_b64 exec, exec, s[2:3]
	v_or_b32_e32 v18, 3, v15
	v_cmp_le_u32_e64 s[10:11], v18, v4
	s_and_saveexec_b64 s[2:3], s[10:11]
	s_xor_b64 s[2:3], exec, s[2:3]
	s_cbranch_execz .LBB50_56
; %bb.53:
	v_cmp_eq_u32_e32 vcc, v18, v4
	s_and_saveexec_b64 s[12:13], vcc
	s_cbranch_execz .LBB50_55
; %bb.54:
	v_mul_u32_u24_e32 v1, 34, v4
	v_mov_b32_e32 v2, 0
	v_lshlrev_b32_e32 v1, 4, v1
	v_mov_b32_e32 v3, v2
	ds_write_b64 v1, v[2:3] offset:8
.LBB50_55:
	s_or_b64 exec, exec, s[12:13]
.LBB50_56:
	s_andn2_saveexec_b64 s[2:3], s[2:3]
	s_cbranch_execz .LBB50_58
; %bb.57:
	v_mul_u32_u24_e32 v1, 33, v18
	v_add_lshl_u32 v1, v1, v4, 4
	ds_read_b128 v[20:23], v1
	s_waitcnt lgkmcnt(0)
	v_xor_b32_e32 v23, 0x80000000, v23
	ds_write_b128 v13, v[20:23] offset:48
.LBB50_58:
	s_or_b64 exec, exec, s[2:3]
	v_mul_u32_u24_e32 v1, 0x84, v5
	v_lshlrev_b32_e32 v19, 4, v15
	s_waitcnt lgkmcnt(0)
	s_barrier
	v_add_lshl_u32 v16, v1, v4, 4
	ds_read_b128 v[20:23], v19 offset:18176
	ds_read_b128 v[24:27], v19 offset:18192
	ds_read_b128 v[28:31], v16
	ds_read_b128 v[32:35], v19 offset:18208
	ds_read_b128 v[46:49], v19 offset:18224
	v_add_lshl_u32 v45, v0, v4, 4
	ds_read_b128 v[0:3], v45
	s_waitcnt lgkmcnt(3)
	v_mul_f64 v[8:9], v[22:23], v[30:31]
	v_fma_f64 v[8:9], v[20:21], v[28:29], -v[8:9]
	v_mul_f64 v[20:21], v[20:21], v[30:31]
	v_fmac_f64_e32 v[20:21], v[22:23], v[28:29]
	v_add_f64 v[28:29], v[20:21], 0
	s_waitcnt lgkmcnt(0)
	v_mul_f64 v[20:21], v[26:27], v[2:3]
	v_fma_f64 v[30:31], v[24:25], v[0:1], -v[20:21]
	v_mul_f64 v[2:3], v[24:25], v[2:3]
	ds_read_b128 v[20:23], v45 offset:528
	v_fmac_f64_e32 v[2:3], v[26:27], v[0:1]
	v_add_f64 v[24:25], v[28:29], v[2:3]
	ds_read_b128 v[0:3], v45 offset:1056
	v_add_f64 v[8:9], v[8:9], 0
	s_waitcnt lgkmcnt(1)
	v_mul_f64 v[26:27], v[34:35], v[22:23]
	v_mul_f64 v[22:23], v[32:33], v[22:23]
	v_fmac_f64_e32 v[22:23], v[34:35], v[20:21]
	v_add_f64 v[8:9], v[8:9], v[30:31]
	v_fma_f64 v[26:27], v[32:33], v[20:21], -v[26:27]
	v_add_f64 v[20:21], v[24:25], v[22:23]
	s_waitcnt lgkmcnt(0)
	v_mul_f64 v[22:23], v[48:49], v[2:3]
	v_mul_f64 v[2:3], v[46:47], v[2:3]
	v_add_f64 v[8:9], v[8:9], v[26:27]
	v_fma_f64 v[22:23], v[46:47], v[0:1], -v[22:23]
	v_fmac_f64_e32 v[2:3], v[48:49], v[0:1]
	v_add_f64 v[0:1], v[8:9], v[22:23]
	v_add_f64 v[2:3], v[20:21], v[2:3]
	v_add_lshl_u32 v44, v5, v12, 4
	s_barrier
	ds_write_b128 v44, v[0:3]
	v_pk_mov_b32 v[0:1], 0, 0
	v_cmp_gt_u32_e64 s[2:3], 32, v42
	v_lshlrev_b32_e32 v43, 4, v12
	v_pk_mov_b32 v[2:3], v[0:1], v[0:1] op_sel:[0,1]
	s_waitcnt lgkmcnt(0)
	s_barrier
	s_and_saveexec_b64 s[12:13], s[2:3]
	s_cbranch_execz .LBB50_60
; %bb.59:
	ds_read_b128 v[0:3], v43
	ds_read_b128 v[20:23], v43 offset:16
	ds_read_b128 v[24:27], v43 offset:32
	;; [unrolled: 1-line block ×3, first 2 shown]
	s_waitcnt lgkmcnt(2)
	v_add_f64 v[0:1], v[20:21], v[0:1]
	v_add_f64 v[8:9], v[22:23], v[2:3]
	s_waitcnt lgkmcnt(1)
	v_add_f64 v[20:21], v[0:1], v[24:25]
	ds_read_b128 v[0:3], v43 offset:64
	v_add_f64 v[8:9], v[8:9], v[26:27]
	s_waitcnt lgkmcnt(1)
	v_add_f64 v[24:25], v[20:21], v[28:29]
	ds_read_b128 v[20:23], v43 offset:80
	;; [unrolled: 4-line block ×3, first 2 shown]
	v_add_f64 v[8:9], v[8:9], v[2:3]
	ds_read_b128 v[0:3], v43 offset:112
	s_waitcnt lgkmcnt(2)
	v_add_f64 v[20:21], v[28:29], v[20:21]
	v_add_f64 v[8:9], v[8:9], v[22:23]
	s_waitcnt lgkmcnt(1)
	v_add_f64 v[20:21], v[20:21], v[24:25]
	v_add_f64 v[8:9], v[8:9], v[26:27]
	;; [unrolled: 3-line block ×3, first 2 shown]
.LBB50_60:
	s_or_b64 exec, exec, s[12:13]
	s_lshl_b32 s30, s26, 5
	s_ashr_i32 s31, s30, 31
	s_lshl_b64 s[28:29], s[30:31], 4
	v_mov_b32_e32 v8, s29
	v_add_co_u32_e32 v20, vcc, s28, v6
	v_addc_co_u32_e32 v21, vcc, v7, v8, vcc
	v_add_co_u32_e32 v8, vcc, 0x200, v20
	v_addc_co_u32_e32 v9, vcc, 0, v21, vcc
	s_and_b64 vcc, exec, s[34:35]
	s_barrier
	s_cbranch_vccz .LBB50_78
; %bb.61:
	v_or_b32_e32 v6, 32, v4
	v_lshlrev_b32_e32 v7, 4, v6
	v_sub_co_u32_e32 v7, vcc, v8, v7
	s_ashr_i32 s17, s16, 31
	v_subbrev_co_u32_e32 v22, vcc, 0, v9, vcc
	s_lshl_b64 s[36:37], s[16:17], 4
	v_mov_b32_e32 v23, s37
	v_add_co_u32_e32 v7, vcc, s36, v7
	v_addc_co_u32_e32 v22, vcc, v22, v23, vcc
	v_add_co_u32_e32 v23, vcc, -16, v7
	v_addc_co_u32_e32 v7, vcc, -1, v22, vcc
	v_cmp_gt_i32_e64 s[12:13], s16, v6
	s_sub_i32 s17, s16, 32
	v_cndmask_b32_e64 v7, v7, v9, s[12:13]
	v_cndmask_b32_e64 v6, v23, v8, s[12:13]
	v_cmp_le_i32_e32 vcc, s17, v5
	v_add_lshl_u32 v22, v10, v4, 4
	s_and_saveexec_b64 s[38:39], vcc
	s_xor_b64 s[38:39], exec, s[38:39]
	s_cbranch_execz .LBB50_63
; %bb.62:
	v_mov_b32_e32 v24, 0
	v_mov_b32_e32 v25, v24
	;; [unrolled: 1-line block ×4, first 2 shown]
	ds_write_b128 v22, v[24:27]
.LBB50_63:
	s_andn2_saveexec_b64 s[38:39], s[38:39]
	s_cbranch_execz .LBB50_65
; %bb.64:
	flat_load_dwordx4 v[24:27], v[6:7]
	s_waitcnt vmcnt(0) lgkmcnt(0)
	ds_write2_b64 v22, v[24:25], v[26:27] offset1:1
.LBB50_65:
	s_or_b64 exec, exec, s[38:39]
	v_add_u32_e32 v23, 8, v5
	v_cmp_le_i32_e32 vcc, s17, v23
	s_and_saveexec_b64 s[38:39], vcc
	s_xor_b64 s[38:39], exec, s[38:39]
	s_cbranch_execz .LBB50_67
; %bb.66:
	v_mul_u32_u24_e32 v23, 33, v23
	v_mov_b32_e32 v24, 0
	v_add_lshl_u32 v23, v23, v4, 4
	v_mov_b32_e32 v25, v24
	v_mov_b32_e32 v26, v24
	;; [unrolled: 1-line block ×3, first 2 shown]
	ds_write_b128 v23, v[24:27]
.LBB50_67:
	s_andn2_saveexec_b64 s[38:39], s[38:39]
	s_cbranch_execz .LBB50_69
; %bb.68:
	s_lshl_b32 s42, s26, 3
	s_ashr_i32 s43, s42, 31
	s_lshl_b64 s[42:43], s[42:43], 4
	v_mov_b32_e32 v23, s43
	v_add_co_u32_e32 v24, vcc, s42, v6
	v_addc_co_u32_e32 v25, vcc, v7, v23, vcc
	flat_load_dwordx4 v[24:27], v[24:25]
	v_add_u32_e32 v23, 0x1080, v22
	s_waitcnt vmcnt(0) lgkmcnt(0)
	ds_write2_b64 v23, v[24:25], v[26:27] offset1:1
.LBB50_69:
	s_or_b64 exec, exec, s[38:39]
	v_add_u32_e32 v23, 16, v5
	v_cmp_le_i32_e32 vcc, s17, v23
	s_and_saveexec_b64 s[38:39], vcc
	s_xor_b64 s[38:39], exec, s[38:39]
	s_cbranch_execz .LBB50_71
; %bb.70:
	v_mul_u32_u24_e32 v23, 33, v23
	v_mov_b32_e32 v24, 0
	v_add_lshl_u32 v23, v23, v4, 4
	v_mov_b32_e32 v25, v24
	v_mov_b32_e32 v26, v24
	;; [unrolled: 1-line block ×3, first 2 shown]
	ds_write_b128 v23, v[24:27]
.LBB50_71:
	s_andn2_saveexec_b64 s[38:39], s[38:39]
	s_cbranch_execz .LBB50_73
; %bb.72:
	s_lshl_b32 s42, s26, 4
	s_ashr_i32 s43, s42, 31
	s_lshl_b64 s[42:43], s[42:43], 4
	v_mov_b32_e32 v23, s43
	v_add_co_u32_e32 v24, vcc, s42, v6
	v_addc_co_u32_e32 v25, vcc, v7, v23, vcc
	flat_load_dwordx4 v[24:27], v[24:25]
	v_add_u32_e32 v23, 0x2100, v22
	s_waitcnt vmcnt(0) lgkmcnt(0)
	ds_write2_b64 v23, v[24:25], v[26:27] offset1:1
.LBB50_73:
	s_or_b64 exec, exec, s[38:39]
	v_add_u32_e32 v23, 24, v5
	v_cmp_le_i32_e32 vcc, s17, v23
	s_and_saveexec_b64 s[38:39], vcc
	s_xor_b64 s[38:39], exec, s[38:39]
	s_cbranch_execz .LBB50_75
; %bb.74:
	v_mov_b32_e32 v24, 0
	v_mov_b32_e32 v25, v24
	;; [unrolled: 1-line block ×4, first 2 shown]
	ds_write_b128 v22, v[24:27] offset:12672
                                        ; implicit-def: $vgpr22
.LBB50_75:
	s_andn2_saveexec_b64 s[38:39], s[38:39]
	s_cbranch_execz .LBB50_77
; %bb.76:
	s_mul_i32 s42, s26, 24
	s_ashr_i32 s43, s42, 31
	s_lshl_b64 s[42:43], s[42:43], 4
	v_mov_b32_e32 v23, s43
	v_add_co_u32_e32 v24, vcc, s42, v6
	v_addc_co_u32_e32 v25, vcc, v7, v23, vcc
	flat_load_dwordx4 v[24:27], v[24:25]
	v_add_u32_e32 v22, 0x3180, v22
	s_waitcnt vmcnt(0) lgkmcnt(0)
	ds_write2_b64 v22, v[24:25], v[26:27] offset1:1
.LBB50_77:
	s_or_b64 exec, exec, s[38:39]
	v_add_co_u32_e32 v6, vcc, v6, v11
	v_addc_co_u32_e32 v7, vcc, 0, v7, vcc
	v_mov_b32_e32 v22, s37
	v_subrev_co_u32_e32 v6, vcc, s36, v6
	v_subb_co_u32_e32 v7, vcc, v7, v22, vcc
	v_add_co_u32_e32 v6, vcc, 0x210, v6
	v_addc_co_u32_e32 v7, vcc, 0, v7, vcc
	v_cndmask_b32_e64 v7, v7, v9, s[12:13]
	v_cndmask_b32_e64 v6, v6, v8, s[12:13]
	s_branch .LBB50_80
.LBB50_78:
                                        ; implicit-def: $vgpr6_vgpr7
	s_cbranch_execz .LBB50_80
; %bb.79:
	flat_load_dwordx4 v[22:25], v[8:9]
	s_lshl_b32 s12, s26, 3
	s_ashr_i32 s13, s12, 31
	s_lshl_b64 s[12:13], s[12:13], 4
	v_add_lshl_u32 v26, v10, v4, 4
	v_mov_b32_e32 v7, s13
	v_add_co_u32_e32 v6, vcc, s12, v20
	v_addc_co_u32_e32 v7, vcc, v21, v7, vcc
	s_ashr_i32 s27, s26, 31
	s_lshl_b64 s[12:13], s[26:27], 7
	s_waitcnt vmcnt(0) lgkmcnt(0)
	ds_write2_b64 v26, v[22:23], v[24:25] offset1:1
	flat_load_dwordx4 v[20:23], v[6:7] offset:512
	v_add_u32_e32 v24, 0x1080, v26
	v_mov_b32_e32 v25, s13
	v_add_co_u32_e32 v6, vcc, s12, v6
	v_addc_co_u32_e32 v7, vcc, v7, v25, vcc
	s_waitcnt vmcnt(0) lgkmcnt(0)
	ds_write2_b64 v24, v[20:21], v[22:23] offset1:1
	flat_load_dwordx4 v[20:23], v[6:7] offset:512
	v_add_u32_e32 v24, 0x2100, v26
	v_add_co_u32_e32 v6, vcc, s12, v6
	v_addc_co_u32_e32 v7, vcc, v7, v25, vcc
	s_waitcnt vmcnt(0) lgkmcnt(0)
	ds_write2_b64 v24, v[20:21], v[22:23] offset1:1
	flat_load_dwordx4 v[20:23], v[6:7] offset:512
	v_add_u32_e32 v6, 0x3180, v26
	s_waitcnt vmcnt(0) lgkmcnt(0)
	ds_write2_b64 v6, v[20:21], v[22:23] offset1:1
	v_pk_mov_b32 v[6:7], v[8:9], v[8:9] op_sel:[0,1]
.LBB50_80:
	s_waitcnt lgkmcnt(0)
	s_barrier
	s_and_saveexec_b64 s[12:13], s[4:5]
	s_xor_b64 s[4:5], exec, s[12:13]
	s_cbranch_execnz .LBB50_109
; %bb.81:
	s_andn2_saveexec_b64 s[4:5], s[4:5]
	s_cbranch_execnz .LBB50_112
.LBB50_82:
	s_or_b64 exec, exec, s[4:5]
	s_and_saveexec_b64 s[4:5], s[14:15]
	s_xor_b64 s[4:5], exec, s[4:5]
	s_cbranch_execnz .LBB50_113
.LBB50_83:
	s_andn2_saveexec_b64 s[4:5], s[4:5]
	s_cbranch_execnz .LBB50_114
.LBB50_84:
	s_or_b64 exec, exec, s[4:5]
	s_and_saveexec_b64 s[4:5], s[8:9]
	s_xor_b64 s[4:5], exec, s[4:5]
	s_cbranch_execnz .LBB50_117
.LBB50_85:
	s_andn2_saveexec_b64 s[4:5], s[4:5]
	s_cbranch_execnz .LBB50_120
.LBB50_86:
	s_or_b64 exec, exec, s[4:5]
	s_and_saveexec_b64 s[4:5], s[10:11]
	s_xor_b64 s[4:5], exec, s[4:5]
	s_cbranch_execnz .LBB50_121
.LBB50_87:
	s_or_saveexec_b64 s[4:5], s[4:5]
	v_add_u32_e32 v17, 0x4700, v19
	s_xor_b64 exec, exec, s[4:5]
	s_cbranch_execz .LBB50_89
.LBB50_88:
	ds_read_b128 v[18:21], v45 offset:1056
	s_waitcnt lgkmcnt(0)
	v_xor_b32_e32 v21, 0x80000000, v21
	ds_write_b128 v13, v[18:21] offset:48
.LBB50_89:
	s_or_b64 exec, exec, s[4:5]
	s_waitcnt lgkmcnt(0)
	s_barrier
	ds_read_b128 v[18:21], v17 offset:512
	ds_read_b128 v[22:25], v16
	ds_read_b128 v[26:29], v17 offset:528
	ds_read_b128 v[30:33], v17 offset:544
	;; [unrolled: 1-line block ×3, first 2 shown]
	ds_read_b128 v[50:53], v45
	v_cmp_eq_u32_e64 s[4:5], 1, v5
	s_waitcnt lgkmcnt(4)
	v_mul_f64 v[8:9], v[20:21], v[24:25]
	v_fma_f64 v[8:9], v[18:19], v[22:23], -v[8:9]
	v_mul_f64 v[14:15], v[18:19], v[24:25]
	s_waitcnt lgkmcnt(0)
	v_mul_f64 v[18:19], v[28:29], v[52:53]
	v_fmac_f64_e32 v[14:15], v[20:21], v[22:23]
	v_fma_f64 v[22:23], v[26:27], v[50:51], -v[18:19]
	v_mul_f64 v[24:25], v[26:27], v[52:53]
	ds_read_b128 v[18:21], v45 offset:528
	v_add_f64 v[8:9], v[8:9], 0
	v_add_f64 v[14:15], v[14:15], 0
	v_fmac_f64_e32 v[24:25], v[28:29], v[50:51]
	v_add_f64 v[8:9], v[8:9], v[22:23]
	v_add_f64 v[14:15], v[14:15], v[24:25]
	ds_read_b128 v[22:25], v45 offset:1056
	s_waitcnt lgkmcnt(1)
	v_mul_f64 v[26:27], v[32:33], v[20:21]
	v_mul_f64 v[20:21], v[30:31], v[20:21]
	v_fmac_f64_e32 v[20:21], v[32:33], v[18:19]
	v_fma_f64 v[26:27], v[30:31], v[18:19], -v[26:27]
	v_add_f64 v[14:15], v[14:15], v[20:21]
	s_waitcnt lgkmcnt(0)
	v_mul_f64 v[18:19], v[48:49], v[24:25]
	v_mul_f64 v[20:21], v[46:47], v[24:25]
	v_add_f64 v[8:9], v[8:9], v[26:27]
	v_fma_f64 v[18:19], v[46:47], v[22:23], -v[18:19]
	v_fmac_f64_e32 v[20:21], v[48:49], v[22:23]
	v_add_f64 v[18:19], v[8:9], v[18:19]
	v_add_f64 v[20:21], v[14:15], v[20:21]
	s_barrier
	ds_write_b128 v44, v[18:21]
	s_waitcnt lgkmcnt(0)
	s_barrier
	s_and_saveexec_b64 s[8:9], s[4:5]
	s_cbranch_execz .LBB50_91
; %bb.90:
	ds_read_b128 v[0:3], v43
	ds_read_b128 v[18:21], v43 offset:16
	ds_read_b128 v[22:25], v43 offset:32
	;; [unrolled: 1-line block ×3, first 2 shown]
	s_waitcnt lgkmcnt(2)
	v_add_f64 v[0:1], v[18:19], v[0:1]
	v_add_f64 v[8:9], v[20:21], v[2:3]
	s_waitcnt lgkmcnt(1)
	v_add_f64 v[14:15], v[0:1], v[22:23]
	ds_read_b128 v[0:3], v43 offset:64
	ds_read_b128 v[18:21], v43 offset:80
	v_add_f64 v[8:9], v[8:9], v[24:25]
	s_waitcnt lgkmcnt(2)
	v_add_f64 v[14:15], v[14:15], v[26:27]
	v_add_f64 v[8:9], v[8:9], v[28:29]
	ds_read_b128 v[22:25], v43 offset:96
	s_waitcnt lgkmcnt(2)
	v_add_f64 v[14:15], v[14:15], v[0:1]
	v_add_f64 v[8:9], v[8:9], v[2:3]
	ds_read_b128 v[0:3], v43 offset:112
	s_waitcnt lgkmcnt(2)
	v_add_f64 v[14:15], v[14:15], v[18:19]
	v_add_f64 v[8:9], v[8:9], v[20:21]
	s_waitcnt lgkmcnt(1)
	v_add_f64 v[14:15], v[14:15], v[22:23]
	v_add_f64 v[8:9], v[8:9], v[24:25]
	;; [unrolled: 3-line block ×3, first 2 shown]
.LBB50_91:
	s_or_b64 exec, exec, s[8:9]
	v_add_co_u32_e32 v6, vcc, 0xfffffe00, v6
	v_addc_co_u32_e32 v7, vcc, -1, v7, vcc
	s_and_b64 vcc, exec, s[34:35]
	s_barrier
	s_cbranch_vccz .LBB50_124
; %bb.92:
	v_sub_co_u32_e32 v8, vcc, v6, v11
	s_ashr_i32 s17, s16, 31
	v_subbrev_co_u32_e32 v9, vcc, 0, v7, vcc
	s_lshl_b64 s[10:11], s[16:17], 4
	v_mov_b32_e32 v13, s11
	v_add_co_u32_e32 v8, vcc, s10, v8
	v_addc_co_u32_e32 v9, vcc, v9, v13, vcc
	v_add_co_u32_e32 v8, vcc, -16, v8
	v_addc_co_u32_e32 v9, vcc, -1, v9, vcc
	v_cmp_gt_i32_e32 vcc, s16, v4
	s_sub_i32 s14, s16, 32
	v_cndmask_b32_e32 v9, v9, v7, vcc
	v_cndmask_b32_e32 v8, v8, v6, vcc
	v_cmp_le_i32_e64 s[8:9], s14, v5
	v_add_lshl_u32 v18, v10, v4, 4
	s_and_saveexec_b64 s[12:13], s[8:9]
	s_xor_b64 s[8:9], exec, s[12:13]
	s_cbranch_execz .LBB50_94
; %bb.93:
	v_mov_b32_e32 v20, 0
	v_mov_b32_e32 v21, v20
	;; [unrolled: 1-line block ×4, first 2 shown]
	ds_write_b128 v18, v[20:23]
.LBB50_94:
	s_andn2_saveexec_b64 s[8:9], s[8:9]
	s_cbranch_execz .LBB50_96
; %bb.95:
	flat_load_dwordx4 v[20:23], v[8:9]
	s_waitcnt vmcnt(0) lgkmcnt(0)
	ds_write2_b64 v18, v[20:21], v[22:23] offset1:1
.LBB50_96:
	s_or_b64 exec, exec, s[8:9]
	v_add_u32_e32 v13, 8, v5
	v_cmp_le_i32_e64 s[8:9], s14, v13
	s_and_saveexec_b64 s[12:13], s[8:9]
	s_xor_b64 s[8:9], exec, s[12:13]
	s_cbranch_execz .LBB50_98
; %bb.97:
	v_mul_u32_u24_e32 v14, 33, v13
	v_mov_b32_e32 v20, 0
	v_add_lshl_u32 v14, v14, v4, 4
	v_mov_b32_e32 v21, v20
	v_mov_b32_e32 v22, v20
	;; [unrolled: 1-line block ×3, first 2 shown]
	ds_write_b128 v14, v[20:23]
.LBB50_98:
	s_andn2_saveexec_b64 s[12:13], s[8:9]
	s_cbranch_execz .LBB50_100
; %bb.99:
	s_lshl_b32 s8, s26, 3
	s_ashr_i32 s9, s8, 31
	s_lshl_b64 s[8:9], s[8:9], 4
	v_mov_b32_e32 v15, s9
	v_add_co_u32_e64 v14, s[8:9], s8, v8
	v_addc_co_u32_e64 v15, s[8:9], v9, v15, s[8:9]
	flat_load_dwordx4 v[20:23], v[14:15]
	v_add_u32_e32 v14, 0x1080, v18
	s_waitcnt vmcnt(0) lgkmcnt(0)
	ds_write2_b64 v14, v[20:21], v[22:23] offset1:1
.LBB50_100:
	s_or_b64 exec, exec, s[12:13]
	v_add_u32_e32 v14, 16, v5
	v_cmp_le_i32_e64 s[8:9], s14, v14
	s_and_saveexec_b64 s[12:13], s[8:9]
	s_xor_b64 s[8:9], exec, s[12:13]
	s_cbranch_execz .LBB50_102
; %bb.101:
	v_mul_u32_u24_e32 v15, 33, v14
	v_mov_b32_e32 v20, 0
	v_add_lshl_u32 v15, v15, v4, 4
	v_mov_b32_e32 v21, v20
	v_mov_b32_e32 v22, v20
	;; [unrolled: 1-line block ×3, first 2 shown]
	ds_write_b128 v15, v[20:23]
.LBB50_102:
	s_andn2_saveexec_b64 s[12:13], s[8:9]
	s_cbranch_execz .LBB50_104
; %bb.103:
	s_lshl_b32 s8, s26, 4
	s_ashr_i32 s9, s8, 31
	s_lshl_b64 s[8:9], s[8:9], 4
	v_mov_b32_e32 v15, s9
	v_add_co_u32_e64 v20, s[8:9], s8, v8
	v_addc_co_u32_e64 v21, s[8:9], v9, v15, s[8:9]
	flat_load_dwordx4 v[20:23], v[20:21]
	v_add_u32_e32 v15, 0x2100, v18
	s_waitcnt vmcnt(0) lgkmcnt(0)
	ds_write2_b64 v15, v[20:21], v[22:23] offset1:1
.LBB50_104:
	s_or_b64 exec, exec, s[12:13]
	v_add_u32_e32 v15, 24, v5
	v_cmp_le_i32_e64 s[8:9], s14, v15
	s_and_saveexec_b64 s[12:13], s[8:9]
	s_xor_b64 s[8:9], exec, s[12:13]
	s_cbranch_execz .LBB50_106
; %bb.105:
	v_mov_b32_e32 v20, 0
	v_mov_b32_e32 v21, v20
	;; [unrolled: 1-line block ×4, first 2 shown]
	ds_write_b128 v18, v[20:23] offset:12672
                                        ; implicit-def: $vgpr18
.LBB50_106:
	s_andn2_saveexec_b64 s[12:13], s[8:9]
	s_cbranch_execz .LBB50_108
; %bb.107:
	s_mul_i32 s8, s26, 24
	s_ashr_i32 s9, s8, 31
	s_lshl_b64 s[8:9], s[8:9], 4
	v_mov_b32_e32 v19, s9
	v_add_co_u32_e64 v20, s[8:9], s8, v8
	v_addc_co_u32_e64 v21, s[8:9], v9, v19, s[8:9]
	flat_load_dwordx4 v[20:23], v[20:21]
	v_add_u32_e32 v18, 0x3180, v18
	s_waitcnt vmcnt(0) lgkmcnt(0)
	ds_write2_b64 v18, v[20:21], v[22:23] offset1:1
.LBB50_108:
	s_or_b64 exec, exec, s[12:13]
	v_add_co_u32_e64 v8, s[8:9], v8, v11
	v_addc_co_u32_e64 v9, s[8:9], 0, v9, s[8:9]
	v_mov_b32_e32 v11, s11
	v_subrev_co_u32_e64 v8, s[8:9], s10, v8
	v_subb_co_u32_e64 v9, s[8:9], v9, v11, s[8:9]
	v_add_co_u32_e64 v8, s[8:9], 16, v8
	v_addc_co_u32_e64 v9, s[8:9], 0, v9, s[8:9]
	v_cndmask_b32_e32 v41, v9, v7, vcc
	v_cndmask_b32_e32 v40, v8, v6, vcc
	s_branch .LBB50_126
.LBB50_109:
	v_cmp_eq_u32_e32 vcc, v15, v4
	s_and_saveexec_b64 s[12:13], vcc
	s_cbranch_execz .LBB50_111
; %bb.110:
	v_mul_u32_u24_e32 v8, 34, v4
	v_lshlrev_b32_e32 v15, 4, v8
	v_mov_b32_e32 v8, 0
	v_mov_b32_e32 v9, v8
	ds_write_b64 v15, v[8:9] offset:8
.LBB50_111:
	s_or_b64 exec, exec, s[12:13]
	s_andn2_saveexec_b64 s[4:5], s[4:5]
	s_cbranch_execz .LBB50_82
.LBB50_112:
	ds_read_b128 v[20:23], v16
	s_waitcnt lgkmcnt(0)
	v_xor_b32_e32 v23, 0x80000000, v23
	ds_write_b128 v13, v[20:23]
	s_or_b64 exec, exec, s[4:5]
	s_and_saveexec_b64 s[4:5], s[14:15]
	s_xor_b64 s[4:5], exec, s[4:5]
	s_cbranch_execz .LBB50_83
.LBB50_113:
	ds_read_b128 v[20:23], v45
                                        ; implicit-def: $vgpr14
	s_waitcnt lgkmcnt(0)
	v_xor_b32_e32 v23, 0x80000000, v23
	ds_write_b128 v13, v[20:23] offset:16
	s_andn2_saveexec_b64 s[4:5], s[4:5]
	s_cbranch_execz .LBB50_84
.LBB50_114:
	v_cmp_eq_u32_e32 vcc, v14, v4
	s_and_saveexec_b64 s[12:13], vcc
	s_cbranch_execz .LBB50_116
; %bb.115:
	v_mul_u32_u24_e32 v8, 34, v4
	v_lshlrev_b32_e32 v14, 4, v8
	v_mov_b32_e32 v8, 0
	v_mov_b32_e32 v9, v8
	ds_write_b64 v14, v[8:9] offset:8
.LBB50_116:
	s_or_b64 exec, exec, s[12:13]
	s_or_b64 exec, exec, s[4:5]
	s_and_saveexec_b64 s[4:5], s[8:9]
	s_xor_b64 s[4:5], exec, s[4:5]
	s_cbranch_execz .LBB50_85
.LBB50_117:
	v_cmp_eq_u32_e32 vcc, v17, v4
	s_and_saveexec_b64 s[8:9], vcc
	s_cbranch_execz .LBB50_119
; %bb.118:
	v_mul_u32_u24_e32 v8, 34, v4
	v_lshlrev_b32_e32 v14, 4, v8
	v_mov_b32_e32 v8, 0
	v_mov_b32_e32 v9, v8
	ds_write_b64 v14, v[8:9] offset:8
.LBB50_119:
	s_or_b64 exec, exec, s[8:9]
	s_andn2_saveexec_b64 s[4:5], s[4:5]
	s_cbranch_execz .LBB50_86
.LBB50_120:
	ds_read_b128 v[20:23], v45 offset:528
	s_waitcnt lgkmcnt(0)
	v_xor_b32_e32 v23, 0x80000000, v23
	ds_write_b128 v13, v[20:23] offset:32
	s_or_b64 exec, exec, s[4:5]
	s_and_saveexec_b64 s[4:5], s[10:11]
	s_xor_b64 s[4:5], exec, s[4:5]
	s_cbranch_execz .LBB50_87
.LBB50_121:
	v_cmp_eq_u32_e32 vcc, v18, v4
	s_and_saveexec_b64 s[8:9], vcc
	s_cbranch_execz .LBB50_123
; %bb.122:
	v_mul_u32_u24_e32 v8, 34, v4
	v_lshlrev_b32_e32 v13, 4, v8
	v_mov_b32_e32 v8, 0
	v_mov_b32_e32 v9, v8
	ds_write_b64 v13, v[8:9] offset:8
.LBB50_123:
	s_or_b64 exec, exec, s[8:9]
                                        ; implicit-def: $vgpr13
	s_or_saveexec_b64 s[4:5], s[4:5]
	v_add_u32_e32 v17, 0x4700, v19
	s_xor_b64 exec, exec, s[4:5]
	s_cbranch_execnz .LBB50_88
	s_branch .LBB50_89
.LBB50_124:
                                        ; implicit-def: $vgpr40_vgpr41
                                        ; implicit-def: $vgpr13
                                        ; implicit-def: $vgpr14
                                        ; implicit-def: $vgpr15
	s_cbranch_execz .LBB50_126
; %bb.125:
	flat_load_dwordx4 v[18:21], v[6:7]
	s_lshl_b32 s8, s26, 3
	s_ashr_i32 s9, s8, 31
	s_lshl_b64 s[8:9], s[8:9], 4
	v_add_lshl_u32 v4, v10, v4, 4
	v_mov_b32_e32 v8, s9
	v_add_co_u32_e32 v14, vcc, s8, v6
	v_addc_co_u32_e32 v15, vcc, v7, v8, vcc
	s_ashr_i32 s27, s26, 31
	s_lshl_b64 s[8:9], s[26:27], 7
	v_add_u32_e32 v13, 0x1080, v4
	v_pk_mov_b32 v[40:41], v[6:7], v[6:7] op_sel:[0,1]
	s_waitcnt vmcnt(0) lgkmcnt(0)
	ds_write2_b64 v4, v[18:19], v[20:21] offset1:1
	flat_load_dwordx4 v[8:11], v[14:15]
	v_mov_b32_e32 v18, s9
	v_add_co_u32_e32 v14, vcc, s8, v14
	v_addc_co_u32_e32 v15, vcc, v15, v18, vcc
	s_waitcnt vmcnt(0) lgkmcnt(0)
	ds_write2_b64 v13, v[8:9], v[10:11] offset1:1
	flat_load_dwordx4 v[8:11], v[14:15]
	v_add_u32_e32 v13, 0x2100, v4
	v_add_co_u32_e32 v14, vcc, s8, v14
	v_addc_co_u32_e32 v15, vcc, v15, v18, vcc
	v_add_u32_e32 v4, 0x3180, v4
	s_waitcnt vmcnt(0) lgkmcnt(0)
	ds_write2_b64 v13, v[8:9], v[10:11] offset1:1
	flat_load_dwordx4 v[8:11], v[14:15]
	v_add_u32_e32 v13, 8, v5
	v_add_u32_e32 v14, 16, v5
	;; [unrolled: 1-line block ×3, first 2 shown]
	s_waitcnt vmcnt(0) lgkmcnt(0)
	ds_write2_b64 v4, v[8:9], v[10:11] offset1:1
.LBB50_126:
	v_lshlrev_b32_e32 v4, 4, v5
	s_waitcnt lgkmcnt(0)
	s_barrier
	ds_read_b128 v[46:49], v44
	ds_read_b128 v[50:53], v4 offset:18176
	v_add_lshl_u32 v4, v13, v12, 4
	v_lshlrev_b32_e32 v5, 4, v13
	ds_read_b128 v[54:57], v4
	ds_read_b128 v[58:61], v5 offset:18176
	s_waitcnt lgkmcnt(2)
	v_mul_f64 v[4:5], v[48:49], v[52:53]
	v_fmac_f64_e32 v[4:5], v[46:47], v[50:51]
	v_add_f64 v[4:5], v[4:5], 0
	s_waitcnt lgkmcnt(0)
	v_mul_f64 v[6:7], v[56:57], v[60:61]
	v_fmac_f64_e32 v[6:7], v[54:55], v[58:59]
	v_add_f64 v[4:5], v[4:5], v[6:7]
	v_add_lshl_u32 v6, v14, v12, 4
	v_mul_f64 v[70:71], v[48:49], v[50:51]
	v_mul_f64 v[72:73], v[56:57], v[58:59]
	v_lshlrev_b32_e32 v7, 4, v14
	ds_read_b128 v[48:51], v6
	ds_read_b128 v[56:59], v7 offset:18176
	v_add_lshl_u32 v6, v15, v12, 4
	v_lshlrev_b32_e32 v7, 4, v15
	ds_read_b128 v[62:65], v6
	ds_read_b128 v[66:69], v7 offset:18176
	v_fma_f64 v[46:47], v[46:47], v[52:53], -v[70:71]
	s_waitcnt lgkmcnt(2)
	v_mul_f64 v[6:7], v[50:51], v[58:59]
	v_fmac_f64_e32 v[6:7], v[48:49], v[56:57]
	v_add_f64 v[4:5], v[4:5], v[6:7]
	s_waitcnt lgkmcnt(0)
	v_mul_f64 v[6:7], v[64:65], v[68:69]
	v_fmac_f64_e32 v[6:7], v[62:63], v[66:67]
	v_mul_f64 v[56:57], v[50:51], v[56:57]
	v_add_f64 v[50:51], v[4:5], v[6:7]
	ds_read_b128 v[20:23], v17 offset:528
	ds_read_b128 v[12:15], v17 offset:544
	;; [unrolled: 1-line block ×3, first 2 shown]
	ds_read_b128 v[32:35], v16
	ds_read_b128 v[4:7], v17 offset:560
	ds_read_b128 v[24:27], v45
	ds_read_b128 v[16:19], v45 offset:528
	ds_read_b128 v[8:11], v45 offset:1056
	v_add_f64 v[46:47], v[46:47], 0
	v_fma_f64 v[52:53], v[54:55], v[60:61], -v[72:73]
	v_mul_f64 v[64:65], v[64:65], v[66:67]
	v_add_f64 v[46:47], v[46:47], v[52:53]
	v_fma_f64 v[48:49], v[48:49], v[58:59], -v[56:57]
	v_add_f64 v[46:47], v[46:47], v[48:49]
	v_fma_f64 v[48:49], v[62:63], v[68:69], -v[64:65]
	v_add_f64 v[52:53], v[46:47], v[48:49]
	s_waitcnt lgkmcnt(0)
	s_barrier
	ds_write_b128 v44, v[50:53]
	s_waitcnt lgkmcnt(0)
	s_barrier
	s_and_saveexec_b64 s[8:9], s[4:5]
	s_cbranch_execz .LBB50_128
; %bb.127:
	ds_read_b128 v[46:49], v43
	ds_read_b128 v[50:53], v43 offset:16
	ds_read_b128 v[54:57], v43 offset:32
	;; [unrolled: 1-line block ×3, first 2 shown]
	s_waitcnt lgkmcnt(3)
	v_add_f64 v[0:1], v[0:1], v[46:47]
	v_add_f64 v[2:3], v[2:3], v[48:49]
	s_waitcnt lgkmcnt(2)
	v_add_f64 v[0:1], v[0:1], v[50:51]
	v_add_f64 v[46:47], v[2:3], v[52:53]
	s_waitcnt lgkmcnt(1)
	v_add_f64 v[48:49], v[0:1], v[54:55]
	ds_read_b128 v[0:3], v43 offset:64
	v_add_f64 v[46:47], v[46:47], v[56:57]
	s_waitcnt lgkmcnt(1)
	v_add_f64 v[50:51], v[48:49], v[58:59]
	v_add_f64 v[54:55], v[46:47], v[60:61]
	ds_read_b128 v[46:49], v43 offset:80
	s_waitcnt lgkmcnt(1)
	v_add_f64 v[56:57], v[50:51], v[0:1]
	ds_read_b128 v[50:53], v43 offset:96
	v_add_f64 v[54:55], v[54:55], v[2:3]
	ds_read_b128 v[0:3], v43 offset:112
	s_waitcnt lgkmcnt(2)
	v_add_f64 v[46:47], v[56:57], v[46:47]
	v_add_f64 v[48:49], v[54:55], v[48:49]
	s_waitcnt lgkmcnt(1)
	v_add_f64 v[46:47], v[46:47], v[50:51]
	v_add_f64 v[48:49], v[48:49], v[52:53]
	;; [unrolled: 3-line block ×3, first 2 shown]
.LBB50_128:
	s_or_b64 exec, exec, s[8:9]
	v_mul_f64 v[46:47], v[30:31], v[34:35]
	v_fma_f64 v[46:47], v[28:29], v[32:33], -v[46:47]
	v_mul_f64 v[28:29], v[28:29], v[34:35]
	v_fmac_f64_e32 v[28:29], v[30:31], v[32:33]
	v_mul_f64 v[32:33], v[22:23], v[26:27]
	v_fma_f64 v[32:33], v[20:21], v[24:25], -v[32:33]
	v_mul_f64 v[20:21], v[20:21], v[26:27]
	v_fmac_f64_e32 v[20:21], v[22:23], v[24:25]
	v_mul_f64 v[24:25], v[14:15], v[18:19]
	v_add_f64 v[30:31], v[46:47], 0
	v_add_f64 v[28:29], v[28:29], 0
	v_fma_f64 v[24:25], v[12:13], v[16:17], -v[24:25]
	v_mul_f64 v[12:13], v[12:13], v[18:19]
	v_add_f64 v[22:23], v[30:31], v[32:33]
	v_add_f64 v[20:21], v[28:29], v[20:21]
	v_fmac_f64_e32 v[12:13], v[14:15], v[16:17]
	v_mul_f64 v[16:17], v[6:7], v[10:11]
	v_mul_f64 v[10:11], v[4:5], v[10:11]
	v_add_f64 v[14:15], v[22:23], v[24:25]
	v_add_f64 v[12:13], v[20:21], v[12:13]
	v_fma_f64 v[16:17], v[4:5], v[8:9], -v[16:17]
	v_fmac_f64_e32 v[10:11], v[6:7], v[8:9]
	v_add_f64 v[4:5], v[14:15], v[16:17]
	v_add_f64 v[6:7], v[12:13], v[10:11]
	s_barrier
	ds_write_b128 v44, v[4:7]
	s_waitcnt lgkmcnt(0)
	s_barrier
	s_and_saveexec_b64 s[4:5], s[2:3]
	s_cbranch_execz .LBB50_130
; %bb.129:
	ds_read_b128 v[4:7], v43
	ds_read_b128 v[8:11], v43 offset:16
	ds_read_b128 v[12:15], v43 offset:32
	;; [unrolled: 1-line block ×3, first 2 shown]
	s_waitcnt lgkmcnt(3)
	v_add_f64 v[0:1], v[0:1], v[4:5]
	v_add_f64 v[2:3], v[2:3], v[6:7]
	s_waitcnt lgkmcnt(2)
	v_add_f64 v[0:1], v[0:1], v[8:9]
	v_add_f64 v[4:5], v[2:3], v[10:11]
	s_waitcnt lgkmcnt(1)
	v_add_f64 v[6:7], v[0:1], v[12:13]
	ds_read_b128 v[0:3], v43 offset:64
	v_add_f64 v[4:5], v[4:5], v[14:15]
	s_waitcnt lgkmcnt(1)
	v_add_f64 v[8:9], v[6:7], v[16:17]
	v_add_f64 v[12:13], v[4:5], v[18:19]
	ds_read_b128 v[4:7], v43 offset:80
	s_waitcnt lgkmcnt(1)
	v_add_f64 v[14:15], v[8:9], v[0:1]
	ds_read_b128 v[8:11], v43 offset:96
	v_add_f64 v[12:13], v[12:13], v[2:3]
	ds_read_b128 v[0:3], v43 offset:112
	s_waitcnt lgkmcnt(2)
	v_add_f64 v[4:5], v[14:15], v[4:5]
	v_add_f64 v[6:7], v[12:13], v[6:7]
	s_waitcnt lgkmcnt(1)
	v_add_f64 v[4:5], v[4:5], v[8:9]
	v_add_f64 v[6:7], v[6:7], v[10:11]
	;; [unrolled: 3-line block ×3, first 2 shown]
.LBB50_130:
	s_or_b64 exec, exec, s[4:5]
	s_mul_hi_u32 s2, s40, s20
	s_mul_i32 s41, s41, s20
	s_add_i32 s2, s2, s41
	s_mul_i32 s4, s40, s20
	s_mul_i32 s2, s2, s7
	s_mul_hi_u32 s3, s4, s7
	s_add_i32 s3, s3, s2
	s_mul_i32 s2, s4, s7
	s_lshl_b64 s[2:3], s[2:3], 4
	s_add_u32 s4, s22, s2
	s_addc_u32 s5, s23, s3
	s_mul_hi_i32 s3, s40, s6
	s_mul_i32 s2, s40, s6
	s_lshl_b64 s[2:3], s[2:3], 4
	s_add_u32 s17, s4, s2
	s_addc_u32 s25, s5, s3
	s_add_i32 s10, s6, 1
	s_cmp_ge_u32 s10, s7
	v_lshlrev_b32_e32 v211, 4, v168
	s_barrier
	s_cbranch_scc1 .LBB50_188
; %bb.131:
	v_and_b32_e32 v8, 48, v168
	s_mul_i32 s2, s24, s21
	v_and_b32_e32 v6, 15, v168
	v_lshlrev_b32_e32 v9, 4, v8
	s_movk_i32 s4, 0x430
	s_ashr_i32 s3, s2, 31
	v_lshrrev_b32_e32 v7, 4, v42
	v_mad_u32_u24 v217, v6, s4, v9
	v_or_b32_e32 v9, 0xf0, v211
	s_lshl_b64 s[2:3], s[2:3], 4
	v_mad_u32_u24 v218, v6, s4, v9
	v_lshlrev_b32_e32 v9, 6, v7
	v_lshlrev_b32_e32 v212, 2, v209
	v_mov_b32_e32 v4, s3
	v_subrev_co_u32_e32 v213, vcc, s2, v36
	s_lshl_b32 s35, s21, 6
	s_lshl_b32 s8, s26, 4
	v_mad_u32_u24 v219, v6, s4, v9
	s_ashr_i32 s27, s26, 31
	s_lshl_b32 s36, s26, 1
	s_movk_i32 s4, 0x10c0
	s_mul_i32 s14, s26, 3
	s_mul_i32 s21, s21, s10
	v_subb_co_u32_e32 v214, vcc, v37, v4, vcc
	v_mad_u64_u32 v[4:5], s[2:3], v212, s26, v[168:169]
	s_add_i32 s34, s7, -2
	s_ashr_i32 s9, s8, 31
	s_ashr_i32 s37, s36, 31
	v_mad_u32_u24 v224, v209, s4, v211
	s_ashr_i32 s15, s14, 31
	s_lshl_b64 s[4:5], s[26:27], 4
	s_lshl_b32 s10, s21, 6
	s_lshl_b64 s[22:23], s[26:27], 5
	v_ashrrev_i32_e32 v5, 31, v4
	v_mul_i32_i24_e32 v10, 0xffffffd0, v7
	v_add_u32_e32 v7, s24, v8
	v_sub_co_u32_e32 v237, vcc, 0, v38
	s_add_u32 s11, s22, s28
	v_mov_b32_e32 v9, 0x4300
	v_add3_u32 v170, v7, v6, 64
	v_subb_co_u32_e32 v238, vcc, 0, v39, vcc
	s_addc_u32 s24, s23, s29
	v_lshlrev_b64 v[6:7], 4, v[4:5]
	v_lshl_add_u32 v223, v209, 6, v9
	v_mov_b32_e32 v8, s24
	v_add_co_u32_e32 v9, vcc, s11, v6
	v_addc_co_u32_e32 v8, vcc, v8, v7, vcc
	v_add_co_u32_e32 v172, vcc, v40, v9
	v_addc_co_u32_e32 v167, vcc, v41, v8, vcc
	v_mov_b32_e32 v8, s31
	v_add_co_u32_e32 v4, vcc, s30, v4
	v_addc_co_u32_e32 v5, vcc, v8, v5, vcc
	v_lshlrev_b64 v[4:5], 4, v[4:5]
	v_mad_i64_i32 v[8:9], s[20:21], s8, 48, v[4:5]
	s_lshl_b64 s[14:15], s[14:15], 4
	v_mov_b32_e32 v11, s15
	v_add_co_u32_e32 v12, vcc, s14, v8
	s_lshl_b64 s[12:13], s[8:9], 6
	v_addc_co_u32_e32 v11, vcc, v9, v11, vcc
	v_add_co_u32_e32 v174, vcc, v40, v12
	s_add_u32 s30, s4, s28
	v_addc_co_u32_e32 v169, vcc, v41, v11, vcc
	s_addc_u32 s31, s5, s29
	v_mov_b32_e32 v11, s31
	v_add_co_u32_e32 v12, vcc, s30, v6
	v_addc_co_u32_e32 v11, vcc, v11, v7, vcc
	v_add_co_u32_e32 v176, vcc, v40, v12
	v_addc_co_u32_e32 v173, vcc, v41, v11, vcc
	s_lshl_b64 s[20:21], s[36:37], 4
	v_mov_b32_e32 v11, s21
	v_add_co_u32_e32 v12, vcc, s20, v8
	v_addc_co_u32_e32 v11, vcc, v9, v11, vcc
	v_add_co_u32_e32 v178, vcc, v40, v12
	v_addc_co_u32_e32 v175, vcc, v41, v11, vcc
	v_mov_b32_e32 v11, s29
	v_add_co_u32_e32 v12, vcc, s28, v6
	v_addc_co_u32_e32 v11, vcc, v11, v7, vcc
	v_add_co_u32_e32 v180, vcc, v40, v12
	v_addc_co_u32_e32 v177, vcc, v41, v11, vcc
	s_mul_i32 s38, s26, 0x300
	v_add_co_u32_e32 v182, vcc, v40, v8
	s_add_u32 s26, s28, s20
	v_addc_co_u32_e32 v179, vcc, v41, v9, vcc
	s_addc_u32 s27, s29, s21
	v_mov_b32_e32 v11, s27
	v_add_co_u32_e32 v12, vcc, s26, v6
	v_addc_co_u32_e32 v11, vcc, v11, v7, vcc
	v_add_co_u32_e32 v184, vcc, v40, v12
	v_addc_co_u32_e32 v181, vcc, v41, v11, vcc
	v_mov_b32_e32 v11, s5
	v_add_co_u32_e32 v8, vcc, s4, v8
	v_addc_co_u32_e32 v9, vcc, v9, v11, vcc
	v_add_co_u32_e32 v186, vcc, v40, v8
	s_add_u32 s26, s28, s14
	v_addc_co_u32_e32 v183, vcc, v41, v9, vcc
	s_addc_u32 s27, s29, s15
	v_mov_b32_e32 v8, s27
	v_add_co_u32_e32 v9, vcc, s26, v6
	v_addc_co_u32_e32 v8, vcc, v8, v7, vcc
	s_lshl_b64 s[26:27], s[8:9], 4
	v_add_co_u32_e32 v188, vcc, v40, v9
	s_add_u32 s36, s11, s26
	v_addc_co_u32_e32 v185, vcc, v41, v8, vcc
	s_addc_u32 s37, s24, s27
	v_mov_b32_e32 v8, s37
	v_add_co_u32_e32 v9, vcc, s36, v6
	v_addc_co_u32_e32 v8, vcc, v8, v7, vcc
	s_mul_hi_i32 s39, s8, 48
	v_add_co_u32_e32 v190, vcc, v40, v9
	s_add_u32 s22, s38, s22
	v_addc_co_u32_e32 v187, vcc, v41, v8, vcc
	s_addc_u32 s23, s39, s23
	s_lshl_b64 s[8:9], s[8:9], 5
	v_mov_b32_e32 v8, s23
	v_add_co_u32_e32 v4, vcc, s22, v4
	s_add_u32 s22, s8, s28
	v_addc_co_u32_e32 v5, vcc, v8, v5, vcc
	s_addc_u32 s23, s9, s29
	v_add_co_u32_e32 v192, vcc, v40, v4
	s_add_u32 s36, s22, s14
	v_addc_co_u32_e32 v189, vcc, v41, v5, vcc
	s_addc_u32 s37, s23, s15
	v_mov_b32_e32 v4, s37
	v_add_co_u32_e32 v5, vcc, s36, v6
	v_addc_co_u32_e32 v4, vcc, v4, v7, vcc
	v_add_co_u32_e32 v194, vcc, v40, v5
	s_add_u32 s30, s30, s26
	v_addc_co_u32_e32 v191, vcc, v41, v4, vcc
	s_addc_u32 s31, s31, s27
	v_mov_b32_e32 v4, s31
	v_add_co_u32_e32 v5, vcc, s30, v6
	v_addc_co_u32_e32 v4, vcc, v4, v7, vcc
	;; [unrolled: 7-line block ×4, first 2 shown]
	v_add_co_u32_e32 v200, vcc, v40, v5
	v_addc_co_u32_e32 v197, vcc, v41, v4, vcc
	v_mov_b32_e32 v4, s23
	v_add_co_u32_e32 v5, vcc, s22, v6
	v_addc_co_u32_e32 v4, vcc, v4, v7, vcc
	v_add_co_u32_e32 v202, vcc, v40, v5
	s_add_u32 s20, s26, s20
	v_addc_co_u32_e32 v199, vcc, v41, v4, vcc
	s_addc_u32 s21, s27, s21
	v_mov_b32_e32 v4, s21
	v_add_co_u32_e32 v5, vcc, s20, v6
	v_addc_co_u32_e32 v4, vcc, v4, v7, vcc
	v_add_co_u32_e32 v204, vcc, v40, v5
	s_add_u32 s4, s22, s4
	v_addc_co_u32_e32 v201, vcc, v41, v4, vcc
	s_addc_u32 s5, s23, s5
	;; [unrolled: 7-line block ×4, first 2 shown]
	v_mov_b32_e32 v4, s5
	v_add_co_u32_e32 v5, vcc, s4, v6
	v_addc_co_u32_e32 v4, vcc, v4, v7, vcc
	v_add_co_u32_e32 v210, vcc, v40, v5
	v_add_u32_e32 v215, 0x4300, v211
	v_add_u32_e32 v216, 0x4700, v211
	v_cmp_gt_u32_e64 s[2:3], 64, v42
	v_or_b32_e32 v220, 1, v212
	v_or_b32_e32 v221, 2, v212
	;; [unrolled: 1-line block ×3, first 2 shown]
	v_add_u32_e32 v225, 16, v212
	v_add_u32_e32 v226, 17, v212
	;; [unrolled: 1-line block ×12, first 2 shown]
	v_addc_co_u32_e32 v207, vcc, v41, v4, vcc
	v_add_u32_e32 v239, v219, v10
	v_mov_b32_e32 v4, 0
	s_cmp_eq_u32 s34, s6
	s_cselect_b32 s24, s33, 0
	s_and_saveexec_b64 s[4:5], s[0:1]
	s_cbranch_execz .LBB50_136
.LBB50_132:
	s_cmp_lg_u32 s24, 0
	s_cselect_b64 s[8:9], -1, 0
	v_cmp_le_i32_e32 vcc, s24, v168
	s_and_b64 s[8:9], s[8:9], vcc
	s_and_saveexec_b64 s[14:15], s[8:9]
	s_xor_b64 s[8:9], exec, s[14:15]
	s_cbranch_execz .LBB50_134
; %bb.133:
	v_mov_b32_e32 v5, v4
	v_mov_b32_e32 v6, v4
	;; [unrolled: 1-line block ×3, first 2 shown]
	ds_write_b128 v215, v[4:7]
.LBB50_134:
	s_andn2_saveexec_b64 s[8:9], s[8:9]
	s_cbranch_execz .LBB50_136
; %bb.135:
	s_ashr_i32 s11, s10, 31
	s_lshl_b64 s[8:9], s[10:11], 4
	v_mov_b32_e32 v5, s9
	v_add_co_u32_e32 v6, vcc, s8, v213
	v_addc_co_u32_e32 v7, vcc, v214, v5, vcc
	flat_load_dwordx4 v[6:9], v[6:7]
	s_waitcnt vmcnt(0) lgkmcnt(0)
	ds_write2_b64 v215, v[6:7], v[8:9] offset1:1
.LBB50_136:                             ; =>This Inner Loop Header: Depth=1
	s_or_b64 exec, exec, s[4:5]
	s_cmp_eq_u32 s24, 0
	v_add_co_u32_e32 v18, vcc, v180, v237
	s_cselect_b64 s[14:15], -1, 0
	s_cmp_lg_u32 s24, 0
	v_addc_co_u32_e32 v19, vcc, v177, v238, vcc
	s_cselect_b64 s[8:9], -1, 0
	s_and_b64 vcc, exec, s[8:9]
	s_waitcnt lgkmcnt(0)
	s_barrier
	s_cbranch_vccz .LBB50_144
; %bb.137:                              ;   in Loop: Header=BB50_136 Depth=1
	v_pk_mov_b32 v[10:11], 0, 0
	v_cmp_gt_i32_e32 vcc, s24, v212
	v_pk_mov_b32 v[6:7], v[10:11], v[10:11] op_sel:[0,1]
	v_pk_mov_b32 v[8:9], v[10:11], v[10:11] op_sel:[0,1]
	s_and_saveexec_b64 s[4:5], vcc
	s_cbranch_execz .LBB50_139
; %bb.138:                              ;   in Loop: Header=BB50_136 Depth=1
	flat_load_dwordx4 v[6:9], v[18:19]
.LBB50_139:                             ;   in Loop: Header=BB50_136 Depth=1
	s_or_b64 exec, exec, s[4:5]
	v_cmp_gt_i32_e32 vcc, s24, v220
	v_pk_mov_b32 v[12:13], v[10:11], v[10:11] op_sel:[0,1]
	s_and_saveexec_b64 s[4:5], vcc
	s_cbranch_execz .LBB50_141
; %bb.140:                              ;   in Loop: Header=BB50_136 Depth=1
	v_add_co_u32_e32 v10, vcc, v176, v237
	v_addc_co_u32_e32 v11, vcc, v173, v238, vcc
	flat_load_dwordx4 v[10:13], v[10:11]
.LBB50_141:                             ;   in Loop: Header=BB50_136 Depth=1
	s_or_b64 exec, exec, s[4:5]
	v_pk_mov_b32 v[14:15], 0, 0
	v_cmp_gt_i32_e32 vcc, s24, v221
	s_mov_b64 s[22:23], 0
	v_pk_mov_b32 v[16:17], v[14:15], v[14:15] op_sel:[0,1]
	s_and_saveexec_b64 s[4:5], vcc
	s_cbranch_execz .LBB50_143
; %bb.142:                              ;   in Loop: Header=BB50_136 Depth=1
	v_add_co_u32_e32 v14, vcc, v184, v237
	v_addc_co_u32_e32 v15, vcc, v181, v238, vcc
	flat_load_dwordx4 v[14:17], v[14:15]
.LBB50_143:                             ;   in Loop: Header=BB50_136 Depth=1
	s_or_b64 exec, exec, s[4:5]
	v_cmp_gt_i32_e64 s[4:5], s24, v222
	s_mov_b64 s[20:21], 0
	s_and_b64 vcc, exec, s[22:23]
	s_cbranch_vccnz .LBB50_145
	s_branch .LBB50_146
.LBB50_144:                             ;   in Loop: Header=BB50_136 Depth=1
	s_mov_b64 s[4:5], 0
                                        ; implicit-def: $sgpr20_sgpr21
                                        ; implicit-def: $vgpr16_vgpr17
                                        ; implicit-def: $vgpr12_vgpr13
                                        ; implicit-def: $vgpr8_vgpr9
	s_cbranch_execz .LBB50_146
.LBB50_145:                             ;   in Loop: Header=BB50_136 Depth=1
	s_waitcnt vmcnt(0) lgkmcnt(0)
	v_add_co_u32_e32 v10, vcc, v176, v237
	v_addc_co_u32_e32 v11, vcc, v173, v238, vcc
	v_add_co_u32_e32 v14, vcc, v172, v237
	v_addc_co_u32_e32 v15, vcc, v167, v238, vcc
	flat_load_dwordx4 v[6:9], v[18:19]
	s_or_b64 s[4:5], s[4:5], exec
	flat_load_dwordx4 v[10:13], v[10:11]
                                        ; implicit-def: $sgpr20_sgpr21
	s_nop 0
	flat_load_dwordx4 v[14:17], v[14:15]
.LBB50_146:                             ;   in Loop: Header=BB50_136 Depth=1
	v_pk_mov_b32 v[18:19], s[20:21], s[20:21] op_sel:[0,1]
	v_pk_mov_b32 v[20:21], s[20:21], s[20:21] op_sel:[0,1]
	s_and_saveexec_b64 s[20:21], s[4:5]
	s_cbranch_execz .LBB50_148
; %bb.147:                              ;   in Loop: Header=BB50_136 Depth=1
	v_add_co_u32_e32 v18, vcc, v188, v237
	v_addc_co_u32_e32 v19, vcc, v185, v238, vcc
	flat_load_dwordx4 v[18:21], v[18:19]
.LBB50_148:                             ;   in Loop: Header=BB50_136 Depth=1
	s_or_b64 exec, exec, s[20:21]
	ds_read_b128 v[34:37], v216
	ds_read_b128 v[22:25], v223
	v_cndmask_b32_e64 v5, 0, 1, s[8:9]
	s_andn2_b64 vcc, exec, s[8:9]
	v_add_co_u32_e64 v50, s[8:9], v200, v237
	s_waitcnt vmcnt(0) lgkmcnt(0)
	v_mul_f64 v[26:27], v[8:9], v[36:37]
	v_mul_f64 v[28:29], v[8:9], v[34:35]
	;; [unrolled: 1-line block ×3, first 2 shown]
	v_fmac_f64_e32 v[26:27], v[6:7], v[34:35]
	v_fma_f64 v[28:29], v[6:7], v[36:37], -v[28:29]
	v_mul_f64 v[32:33], v[12:13], v[34:35]
	ds_write_b128 v224, v[26:29]
	v_fmac_f64_e32 v[30:31], v[10:11], v[34:35]
	v_fma_f64 v[32:33], v[10:11], v[36:37], -v[32:33]
	v_mul_f64 v[38:39], v[16:17], v[36:37]
	v_mul_f64 v[40:41], v[16:17], v[34:35]
	;; [unrolled: 1-line block ×3, first 2 shown]
	ds_read_b128 v[26:29], v223 offset:16
	ds_write_b128 v224, v[30:33] offset:1072
	v_fmac_f64_e32 v[38:39], v[14:15], v[34:35]
	v_fma_f64 v[40:41], v[14:15], v[36:37], -v[40:41]
	v_fmac_f64_e32 v[42:43], v[18:19], v[34:35]
	v_mul_f64 v[34:35], v[20:21], v[34:35]
	ds_read_b128 v[30:33], v223 offset:32
	ds_write_b128 v224, v[38:41] offset:2144
	v_fma_f64 v[44:45], v[18:19], v[36:37], -v[34:35]
	ds_read_b128 v[38:41], v223 offset:48
	ds_write_b128 v224, v[42:45] offset:3216
	s_waitcnt lgkmcnt(0)
	s_barrier
	ds_read_b128 v[94:97], v219
	ds_read_b128 v[90:93], v219 offset:16
	ds_read_b128 v[86:89], v219 offset:32
	;; [unrolled: 1-line block ×3, first 2 shown]
	v_cmp_ne_u32_e64 s[4:5], 1, v5
	v_addc_co_u32_e64 v51, s[8:9], v197, v238, s[8:9]
	s_waitcnt lgkmcnt(0)
	s_barrier
	s_cbranch_vccnz .LBB50_156
; %bb.149:                              ;   in Loop: Header=BB50_136 Depth=1
	v_pk_mov_b32 v[42:43], 0, 0
	v_cmp_gt_i32_e32 vcc, s24, v225
	v_pk_mov_b32 v[34:35], v[42:43], v[42:43] op_sel:[0,1]
	v_pk_mov_b32 v[36:37], v[42:43], v[42:43] op_sel:[0,1]
	s_and_saveexec_b64 s[8:9], vcc
	s_cbranch_execz .LBB50_151
; %bb.150:                              ;   in Loop: Header=BB50_136 Depth=1
	flat_load_dwordx4 v[34:37], v[50:51]
.LBB50_151:                             ;   in Loop: Header=BB50_136 Depth=1
	s_or_b64 exec, exec, s[8:9]
	v_cmp_gt_i32_e32 vcc, s24, v226
	v_pk_mov_b32 v[44:45], v[42:43], v[42:43] op_sel:[0,1]
	s_and_saveexec_b64 s[8:9], vcc
	s_cbranch_execz .LBB50_153
; %bb.152:                              ;   in Loop: Header=BB50_136 Depth=1
	v_add_co_u32_e32 v42, vcc, v196, v237
	v_addc_co_u32_e32 v43, vcc, v193, v238, vcc
	flat_load_dwordx4 v[42:45], v[42:43]
.LBB50_153:                             ;   in Loop: Header=BB50_136 Depth=1
	s_or_b64 exec, exec, s[8:9]
	v_pk_mov_b32 v[46:47], 0, 0
	v_cmp_gt_i32_e32 vcc, s24, v227
	s_mov_b64 s[22:23], 0
	v_pk_mov_b32 v[48:49], v[46:47], v[46:47] op_sel:[0,1]
	s_and_saveexec_b64 s[8:9], vcc
	s_cbranch_execz .LBB50_155
; %bb.154:                              ;   in Loop: Header=BB50_136 Depth=1
	v_add_co_u32_e32 v46, vcc, v204, v237
	v_addc_co_u32_e32 v47, vcc, v201, v238, vcc
	flat_load_dwordx4 v[46:49], v[46:47]
.LBB50_155:                             ;   in Loop: Header=BB50_136 Depth=1
	s_or_b64 exec, exec, s[8:9]
	v_cmp_gt_i32_e64 s[8:9], s24, v228
	s_mov_b64 s[20:21], 0
	s_and_b64 vcc, exec, s[22:23]
	s_cbranch_vccnz .LBB50_157
	s_branch .LBB50_158
.LBB50_156:                             ;   in Loop: Header=BB50_136 Depth=1
	s_mov_b64 s[8:9], 0
                                        ; implicit-def: $sgpr20_sgpr21
                                        ; implicit-def: $vgpr48_vgpr49
                                        ; implicit-def: $vgpr44_vgpr45
                                        ; implicit-def: $vgpr36_vgpr37
	s_cbranch_execz .LBB50_158
.LBB50_157:                             ;   in Loop: Header=BB50_136 Depth=1
	s_waitcnt vmcnt(0) lgkmcnt(0)
	v_add_co_u32_e32 v42, vcc, v196, v237
	v_addc_co_u32_e32 v43, vcc, v193, v238, vcc
	v_add_co_u32_e32 v46, vcc, v190, v237
	v_addc_co_u32_e32 v47, vcc, v187, v238, vcc
	flat_load_dwordx4 v[34:37], v[50:51]
	s_or_b64 s[8:9], s[8:9], exec
	flat_load_dwordx4 v[42:45], v[42:43]
                                        ; implicit-def: $sgpr20_sgpr21
	s_nop 0
	flat_load_dwordx4 v[46:49], v[46:47]
.LBB50_158:                             ;   in Loop: Header=BB50_136 Depth=1
	v_pk_mov_b32 v[50:51], s[20:21], s[20:21] op_sel:[0,1]
	v_pk_mov_b32 v[52:53], s[20:21], s[20:21] op_sel:[0,1]
	s_and_saveexec_b64 s[20:21], s[8:9]
	s_cbranch_execz .LBB50_160
; %bb.159:                              ;   in Loop: Header=BB50_136 Depth=1
	v_add_co_u32_e32 v50, vcc, v208, v237
	v_addc_co_u32_e32 v51, vcc, v205, v238, vcc
	flat_load_dwordx4 v[50:53], v[50:51]
.LBB50_160:                             ;   in Loop: Header=BB50_136 Depth=1
	s_or_b64 exec, exec, s[20:21]
	ds_read_b128 v[66:69], v216
	ds_read_b128 v[54:57], v223 offset:256
	v_add_co_u32_e64 v98, s[8:9], v202, v237
	s_and_b64 vcc, exec, s[4:5]
	s_waitcnt vmcnt(0) lgkmcnt(0)
	v_mul_f64 v[58:59], v[36:37], v[68:69]
	v_mul_f64 v[60:61], v[36:37], v[66:67]
	;; [unrolled: 1-line block ×3, first 2 shown]
	v_fmac_f64_e32 v[58:59], v[34:35], v[66:67]
	v_fma_f64 v[60:61], v[34:35], v[68:69], -v[60:61]
	v_mul_f64 v[64:65], v[44:45], v[66:67]
	ds_write_b128 v224, v[58:61]
	v_fmac_f64_e32 v[62:63], v[42:43], v[66:67]
	v_fma_f64 v[64:65], v[42:43], v[68:69], -v[64:65]
	v_mul_f64 v[70:71], v[48:49], v[68:69]
	v_mul_f64 v[72:73], v[48:49], v[66:67]
	;; [unrolled: 1-line block ×3, first 2 shown]
	ds_read_b128 v[58:61], v223 offset:272
	ds_write_b128 v224, v[62:65] offset:1072
	v_fmac_f64_e32 v[70:71], v[46:47], v[66:67]
	v_fma_f64 v[72:73], v[46:47], v[68:69], -v[72:73]
	v_fmac_f64_e32 v[74:75], v[50:51], v[66:67]
	v_mul_f64 v[66:67], v[52:53], v[66:67]
	ds_read_b128 v[62:65], v223 offset:288
	ds_write_b128 v224, v[70:73] offset:2144
	v_fma_f64 v[76:77], v[50:51], v[68:69], -v[66:67]
	ds_read_b128 v[70:73], v223 offset:304
	ds_write_b128 v224, v[74:77] offset:3216
	s_waitcnt lgkmcnt(0)
	s_barrier
	ds_read_b128 v[146:149], v219
	ds_read_b128 v[142:145], v219 offset:16
	ds_read_b128 v[138:141], v219 offset:32
	;; [unrolled: 1-line block ×3, first 2 shown]
	v_addc_co_u32_e64 v99, s[8:9], v199, v238, s[8:9]
	s_waitcnt lgkmcnt(0)
	s_barrier
	s_cbranch_vccnz .LBB50_168
; %bb.161:                              ;   in Loop: Header=BB50_136 Depth=1
	v_pk_mov_b32 v[74:75], 0, 0
	v_cmp_gt_i32_e32 vcc, s24, v229
	v_pk_mov_b32 v[66:67], v[74:75], v[74:75] op_sel:[0,1]
	v_pk_mov_b32 v[68:69], v[74:75], v[74:75] op_sel:[0,1]
	s_and_saveexec_b64 s[8:9], vcc
	s_cbranch_execz .LBB50_163
; %bb.162:                              ;   in Loop: Header=BB50_136 Depth=1
	flat_load_dwordx4 v[66:69], v[98:99]
.LBB50_163:                             ;   in Loop: Header=BB50_136 Depth=1
	s_or_b64 exec, exec, s[8:9]
	v_cmp_gt_i32_e32 vcc, s24, v230
	v_pk_mov_b32 v[76:77], v[74:75], v[74:75] op_sel:[0,1]
	s_and_saveexec_b64 s[8:9], vcc
	s_cbranch_execz .LBB50_165
; %bb.164:                              ;   in Loop: Header=BB50_136 Depth=1
	v_add_co_u32_e32 v74, vcc, v206, v237
	v_addc_co_u32_e32 v75, vcc, v203, v238, vcc
	flat_load_dwordx4 v[74:77], v[74:75]
.LBB50_165:                             ;   in Loop: Header=BB50_136 Depth=1
	s_or_b64 exec, exec, s[8:9]
	v_pk_mov_b32 v[78:79], 0, 0
	v_cmp_gt_i32_e32 vcc, s24, v231
	s_mov_b64 s[22:23], 0
	v_pk_mov_b32 v[80:81], v[78:79], v[78:79] op_sel:[0,1]
	s_and_saveexec_b64 s[8:9], vcc
	s_cbranch_execz .LBB50_167
; %bb.166:                              ;   in Loop: Header=BB50_136 Depth=1
	v_add_co_u32_e32 v78, vcc, v198, v237
	v_addc_co_u32_e32 v79, vcc, v195, v238, vcc
	flat_load_dwordx4 v[78:81], v[78:79]
.LBB50_167:                             ;   in Loop: Header=BB50_136 Depth=1
	s_or_b64 exec, exec, s[8:9]
	v_cmp_gt_i32_e64 s[8:9], s24, v232
	s_mov_b64 s[20:21], 0
	s_and_b64 vcc, exec, s[22:23]
	s_cbranch_vccnz .LBB50_169
	s_branch .LBB50_170
.LBB50_168:                             ;   in Loop: Header=BB50_136 Depth=1
	s_mov_b64 s[8:9], 0
                                        ; implicit-def: $sgpr20_sgpr21
                                        ; implicit-def: $vgpr80_vgpr81
                                        ; implicit-def: $vgpr76_vgpr77
                                        ; implicit-def: $vgpr68_vgpr69
	s_cbranch_execz .LBB50_170
.LBB50_169:                             ;   in Loop: Header=BB50_136 Depth=1
	s_waitcnt vmcnt(0) lgkmcnt(0)
	v_add_co_u32_e32 v74, vcc, v206, v237
	v_addc_co_u32_e32 v75, vcc, v203, v238, vcc
	v_add_co_u32_e32 v78, vcc, v210, v237
	v_addc_co_u32_e32 v79, vcc, v207, v238, vcc
	flat_load_dwordx4 v[66:69], v[98:99]
	s_or_b64 s[8:9], s[8:9], exec
	flat_load_dwordx4 v[74:77], v[74:75]
                                        ; implicit-def: $sgpr20_sgpr21
	s_nop 0
	flat_load_dwordx4 v[78:81], v[78:79]
.LBB50_170:                             ;   in Loop: Header=BB50_136 Depth=1
	v_pk_mov_b32 v[98:99], s[20:21], s[20:21] op_sel:[0,1]
	v_pk_mov_b32 v[100:101], s[20:21], s[20:21] op_sel:[0,1]
	s_and_saveexec_b64 s[20:21], s[8:9]
	s_cbranch_execz .LBB50_172
; %bb.171:                              ;   in Loop: Header=BB50_136 Depth=1
	v_add_co_u32_e32 v98, vcc, v194, v237
	v_addc_co_u32_e32 v99, vcc, v191, v238, vcc
	flat_load_dwordx4 v[98:101], v[98:99]
.LBB50_172:                             ;   in Loop: Header=BB50_136 Depth=1
	s_or_b64 exec, exec, s[20:21]
	ds_read_b128 v[114:117], v216
	ds_read_b128 v[102:105], v223 offset:512
	s_and_b64 vcc, exec, s[4:5]
	v_add_co_u32_e64 v130, s[4:5], v182, v237
	s_waitcnt vmcnt(0) lgkmcnt(0)
	v_mul_f64 v[106:107], v[68:69], v[116:117]
	v_mul_f64 v[108:109], v[68:69], v[114:115]
	;; [unrolled: 1-line block ×3, first 2 shown]
	v_fmac_f64_e32 v[106:107], v[66:67], v[114:115]
	v_fma_f64 v[108:109], v[66:67], v[116:117], -v[108:109]
	v_mul_f64 v[112:113], v[76:77], v[114:115]
	ds_write_b128 v224, v[106:109]
	v_fmac_f64_e32 v[110:111], v[74:75], v[114:115]
	v_fma_f64 v[112:113], v[74:75], v[116:117], -v[112:113]
	v_mul_f64 v[118:119], v[80:81], v[116:117]
	v_mul_f64 v[120:121], v[80:81], v[114:115]
	v_mul_f64 v[122:123], v[100:101], v[116:117]
	ds_read_b128 v[106:109], v223 offset:528
	ds_write_b128 v224, v[110:113] offset:1072
	v_fmac_f64_e32 v[118:119], v[78:79], v[114:115]
	v_fma_f64 v[120:121], v[78:79], v[116:117], -v[120:121]
	v_fmac_f64_e32 v[122:123], v[98:99], v[114:115]
	v_mul_f64 v[114:115], v[100:101], v[114:115]
	ds_read_b128 v[110:113], v223 offset:544
	ds_write_b128 v224, v[118:121] offset:2144
	v_fma_f64 v[124:125], v[98:99], v[116:117], -v[114:115]
	ds_read_b128 v[118:121], v223 offset:560
	ds_write_b128 v224, v[122:125] offset:3216
	s_waitcnt lgkmcnt(0)
	s_barrier
	ds_read_b128 v[162:165], v219
	ds_read_b128 v[158:161], v219 offset:16
	ds_read_b128 v[154:157], v219 offset:32
	;; [unrolled: 1-line block ×3, first 2 shown]
	v_addc_co_u32_e64 v131, s[4:5], v179, v238, s[4:5]
	s_waitcnt lgkmcnt(0)
	s_barrier
	s_cbranch_vccnz .LBB50_180
; %bb.173:                              ;   in Loop: Header=BB50_136 Depth=1
	v_pk_mov_b32 v[122:123], 0, 0
	v_cmp_gt_i32_e32 vcc, s24, v233
	v_pk_mov_b32 v[114:115], v[122:123], v[122:123] op_sel:[0,1]
	v_pk_mov_b32 v[116:117], v[122:123], v[122:123] op_sel:[0,1]
	s_and_saveexec_b64 s[4:5], vcc
	s_cbranch_execz .LBB50_175
; %bb.174:                              ;   in Loop: Header=BB50_136 Depth=1
	flat_load_dwordx4 v[114:117], v[130:131]
.LBB50_175:                             ;   in Loop: Header=BB50_136 Depth=1
	s_or_b64 exec, exec, s[4:5]
	v_cmp_gt_i32_e32 vcc, s24, v234
	v_pk_mov_b32 v[124:125], v[122:123], v[122:123] op_sel:[0,1]
	s_and_saveexec_b64 s[4:5], vcc
	s_cbranch_execz .LBB50_177
; %bb.176:                              ;   in Loop: Header=BB50_136 Depth=1
	v_add_co_u32_e32 v122, vcc, v186, v237
	v_addc_co_u32_e32 v123, vcc, v183, v238, vcc
	flat_load_dwordx4 v[122:125], v[122:123]
.LBB50_177:                             ;   in Loop: Header=BB50_136 Depth=1
	s_or_b64 exec, exec, s[4:5]
	v_pk_mov_b32 v[126:127], 0, 0
	v_cmp_gt_i32_e32 vcc, s24, v235
	s_mov_b64 s[20:21], 0
	v_pk_mov_b32 v[128:129], v[126:127], v[126:127] op_sel:[0,1]
	s_and_saveexec_b64 s[4:5], vcc
	s_cbranch_execz .LBB50_179
; %bb.178:                              ;   in Loop: Header=BB50_136 Depth=1
	v_add_co_u32_e32 v126, vcc, v178, v237
	v_addc_co_u32_e32 v127, vcc, v175, v238, vcc
	flat_load_dwordx4 v[126:129], v[126:127]
.LBB50_179:                             ;   in Loop: Header=BB50_136 Depth=1
	s_or_b64 exec, exec, s[4:5]
	v_cmp_gt_i32_e64 s[4:5], s24, v236
	s_mov_b64 s[8:9], 0
	s_and_b64 vcc, exec, s[20:21]
	s_cbranch_vccnz .LBB50_181
	s_branch .LBB50_182
.LBB50_180:                             ;   in Loop: Header=BB50_136 Depth=1
	s_mov_b64 s[4:5], 0
                                        ; implicit-def: $sgpr8_sgpr9
                                        ; implicit-def: $vgpr128_vgpr129
                                        ; implicit-def: $vgpr124_vgpr125
                                        ; implicit-def: $vgpr116_vgpr117
	s_cbranch_execz .LBB50_182
.LBB50_181:                             ;   in Loop: Header=BB50_136 Depth=1
	s_waitcnt vmcnt(0) lgkmcnt(0)
	v_add_co_u32_e32 v122, vcc, v186, v237
	v_addc_co_u32_e32 v123, vcc, v183, v238, vcc
	v_add_co_u32_e32 v126, vcc, v192, v237
	v_addc_co_u32_e32 v127, vcc, v189, v238, vcc
	flat_load_dwordx4 v[114:117], v[130:131]
	s_or_b64 s[4:5], s[4:5], exec
	flat_load_dwordx4 v[122:125], v[122:123]
                                        ; implicit-def: $sgpr8_sgpr9
	s_nop 0
	flat_load_dwordx4 v[126:129], v[126:127]
.LBB50_182:                             ;   in Loop: Header=BB50_136 Depth=1
	v_pk_mov_b32 v[130:131], s[8:9], s[8:9] op_sel:[0,1]
	v_pk_mov_b32 v[132:133], s[8:9], s[8:9] op_sel:[0,1]
	s_and_saveexec_b64 s[8:9], s[4:5]
	s_cbranch_execz .LBB50_184
; %bb.183:                              ;   in Loop: Header=BB50_136 Depth=1
	v_add_co_u32_e32 v130, vcc, v174, v237
	v_addc_co_u32_e32 v131, vcc, v169, v238, vcc
	flat_load_dwordx4 v[130:133], v[130:131]
.LBB50_184:                             ;   in Loop: Header=BB50_136 Depth=1
	s_or_b64 exec, exec, s[8:9]
	v_add_f64 v[146:147], v[146:147], 0
	v_add_f64 v[148:149], v[148:149], 0
	;; [unrolled: 1-line block ×6, first 2 shown]
	ds_read_b128 v[142:145], v216
	v_add_f64 v[162:163], v[162:163], 0
	v_add_f64 v[94:95], v[94:95], 0
	;; [unrolled: 1-line block ×11, first 2 shown]
	ds_read_b128 v[86:89], v223 offset:768
	s_waitcnt vmcnt(0) lgkmcnt(0)
	v_mul_f64 v[90:91], v[116:117], v[144:145]
	v_mul_f64 v[92:93], v[116:117], v[142:143]
	v_fmac_f64_e32 v[90:91], v[114:115], v[142:143]
	v_fma_f64 v[92:93], v[114:115], v[144:145], -v[92:93]
	v_mul_f64 v[94:95], v[124:125], v[144:145]
	v_mul_f64 v[96:97], v[124:125], v[142:143]
	v_add_f64 v[138:139], v[138:139], v[134:135]
	v_add_f64 v[140:141], v[140:141], v[136:137]
	ds_write_b128 v224, v[90:93]
	v_fmac_f64_e32 v[94:95], v[122:123], v[142:143]
	v_fma_f64 v[96:97], v[122:123], v[144:145], -v[96:97]
	v_mul_f64 v[134:135], v[128:129], v[144:145]
	v_mul_f64 v[136:137], v[128:129], v[142:143]
	;; [unrolled: 1-line block ×3, first 2 shown]
	ds_read_b128 v[90:93], v223 offset:784
	ds_write_b128 v224, v[94:97] offset:1072
	v_fmac_f64_e32 v[134:135], v[126:127], v[142:143]
	v_fma_f64 v[136:137], v[126:127], v[144:145], -v[136:137]
	v_fmac_f64_e32 v[146:147], v[130:131], v[142:143]
	v_mul_f64 v[142:143], v[132:133], v[142:143]
	ds_read_b128 v[94:97], v223 offset:800
	ds_write_b128 v224, v[134:137] offset:2144
	v_fma_f64 v[148:149], v[130:131], v[144:145], -v[142:143]
	v_add_f64 v[164:165], v[164:165], 0
	ds_read_b128 v[134:137], v223 offset:816
	ds_write_b128 v224, v[146:149] offset:3216
	s_waitcnt lgkmcnt(0)
	s_barrier
	ds_read_b128 v[142:145], v219
	v_add_f64 v[160:161], v[164:165], v[160:161]
	v_add_f64 v[156:157], v[160:161], v[156:157]
	;; [unrolled: 1-line block ×4, first 2 shown]
	ds_read_b128 v[146:149], v219 offset:16
	ds_read_b128 v[154:157], v219 offset:32
	;; [unrolled: 1-line block ×3, first 2 shown]
	s_waitcnt lgkmcnt(3)
	v_add_f64 v[142:143], v[142:143], 0
	v_add_f64 v[144:145], v[144:145], 0
	v_cmp_gt_i32_e32 vcc, s24, v168
	s_waitcnt lgkmcnt(2)
	v_add_f64 v[142:143], v[142:143], v[146:147]
	v_add_f64 v[144:145], v[144:145], v[148:149]
	s_or_b64 s[4:5], s[14:15], vcc
	s_waitcnt lgkmcnt(1)
	v_add_f64 v[142:143], v[142:143], v[154:155]
	v_add_f64 v[144:145], v[144:145], v[156:157]
	s_and_b64 s[8:9], s[2:3], s[4:5]
	s_waitcnt lgkmcnt(0)
	v_add_f64 v[142:143], v[142:143], v[158:159]
	v_add_f64 v[144:145], v[144:145], v[160:161]
	s_barrier
	ds_write_b128 v239, v[82:85]
	ds_write_b128 v239, v[138:141] offset:256
	ds_write_b128 v239, v[150:153] offset:512
	ds_write_b128 v239, v[142:145] offset:768
	s_waitcnt lgkmcnt(0)
	s_barrier
	s_and_saveexec_b64 s[4:5], s[8:9]
	s_cbranch_execz .LBB50_186
; %bb.185:                              ;   in Loop: Header=BB50_136 Depth=1
	ds_read_b128 v[82:85], v217
	ds_read_b128 v[138:141], v217 offset:16
	ds_read_b128 v[142:145], v217 offset:32
	;; [unrolled: 1-line block ×3, first 2 shown]
	v_ashrrev_i32_e32 v171, 31, v170
	v_mov_b32_e32 v5, s25
	s_waitcnt lgkmcnt(2)
	v_add_f64 v[82:83], v[138:139], v[82:83]
	v_add_f64 v[138:139], v[140:141], v[84:85]
	s_waitcnt lgkmcnt(1)
	v_add_f64 v[140:141], v[82:83], v[142:143]
	ds_read_b128 v[82:85], v217 offset:64
	v_add_f64 v[142:143], v[138:139], v[144:145]
	s_waitcnt lgkmcnt(1)
	v_add_f64 v[144:145], v[140:141], v[146:147]
	ds_read_b128 v[138:141], v217 offset:80
	;; [unrolled: 4-line block ×9, first 2 shown]
	v_add_f64 v[84:85], v[146:147], v[84:85]
	s_waitcnt lgkmcnt(1)
	v_add_f64 v[138:139], v[82:83], v[138:139]
	v_add_f64 v[146:147], v[84:85], v[140:141]
	ds_read_b128 v[82:85], v217 offset:208
	s_waitcnt lgkmcnt(1)
	v_add_f64 v[148:149], v[138:139], v[142:143]
	ds_read_b128 v[138:141], v217 offset:224
	v_add_f64 v[146:147], v[146:147], v[144:145]
	ds_read_b128 v[142:145], v218
	s_waitcnt lgkmcnt(2)
	v_add_f64 v[82:83], v[148:149], v[82:83]
	v_add_f64 v[84:85], v[146:147], v[84:85]
	s_waitcnt lgkmcnt(1)
	v_add_f64 v[82:83], v[82:83], v[138:139]
	v_lshlrev_b64 v[138:139], 4, v[170:171]
	v_add_f64 v[84:85], v[84:85], v[140:141]
	v_add_co_u32_e32 v138, vcc, s17, v138
	s_waitcnt lgkmcnt(0)
	v_add_f64 v[82:83], v[82:83], v[142:143]
	v_add_f64 v[84:85], v[84:85], v[144:145]
	v_addc_co_u32_e32 v139, vcc, v5, v139, vcc
	global_store_dwordx4 v[138:139], v[82:85], off
.LBB50_186:                             ;   in Loop: Header=BB50_136 Depth=1
	s_or_b64 exec, exec, s[4:5]
	v_mov_b32_e32 v5, s13
	v_add_co_u32_e32 v172, vcc, s12, v172
	v_addc_co_u32_e32 v167, vcc, v167, v5, vcc
	v_add_co_u32_e32 v174, vcc, s12, v174
	v_addc_co_u32_e32 v169, vcc, v169, v5, vcc
	v_add_co_u32_e32 v176, vcc, s12, v176
	v_addc_co_u32_e32 v173, vcc, v173, v5, vcc
	v_add_co_u32_e32 v178, vcc, s12, v178
	v_addc_co_u32_e32 v175, vcc, v175, v5, vcc
	v_add_co_u32_e32 v180, vcc, s12, v180
	v_mul_f64 v[82:83], v[8:9], v[24:25]
	v_addc_co_u32_e32 v177, vcc, v177, v5, vcc
	v_fma_f64 v[82:83], v[6:7], v[22:23], -v[82:83]
	v_mul_f64 v[6:7], v[6:7], v[24:25]
	v_mul_f64 v[24:25], v[12:13], v[28:29]
	v_add_co_u32_e32 v182, vcc, s12, v182
	v_add_f64 v[0:1], v[0:1], v[82:83]
	v_fma_f64 v[24:25], v[10:11], v[26:27], -v[24:25]
	v_addc_co_u32_e32 v179, vcc, v179, v5, vcc
	v_add_f64 v[0:1], v[0:1], v[24:25]
	v_mul_f64 v[24:25], v[16:17], v[32:33]
	v_add_co_u32_e32 v184, vcc, s12, v184
	v_fma_f64 v[24:25], v[14:15], v[30:31], -v[24:25]
	v_addc_co_u32_e32 v181, vcc, v181, v5, vcc
	v_add_f64 v[0:1], v[0:1], v[24:25]
	v_mul_f64 v[24:25], v[20:21], v[40:41]
	v_fmac_f64_e32 v[6:7], v[8:9], v[22:23]
	v_add_co_u32_e32 v186, vcc, s12, v186
	v_fma_f64 v[24:25], v[18:19], v[38:39], -v[24:25]
	v_add_f64 v[2:3], v[2:3], v[6:7]
	v_mul_f64 v[6:7], v[36:37], v[56:57]
	v_addc_co_u32_e32 v183, vcc, v183, v5, vcc
	v_add_f64 v[0:1], v[0:1], v[24:25]
	v_fma_f64 v[6:7], v[34:35], v[54:55], -v[6:7]
	v_add_co_u32_e32 v188, vcc, s12, v188
	v_add_f64 v[0:1], v[0:1], v[6:7]
	v_mul_f64 v[6:7], v[44:45], v[60:61]
	v_addc_co_u32_e32 v185, vcc, v185, v5, vcc
	v_fma_f64 v[6:7], v[42:43], v[58:59], -v[6:7]
	v_add_co_u32_e32 v190, vcc, s12, v190
	v_add_f64 v[0:1], v[0:1], v[6:7]
	v_mul_f64 v[6:7], v[48:49], v[64:65]
	v_addc_co_u32_e32 v187, vcc, v187, v5, vcc
	;; [unrolled: 5-line block ×3, first 2 shown]
	v_fma_f64 v[6:7], v[50:51], v[70:71], -v[6:7]
	v_add_co_u32_e32 v194, vcc, s12, v194
	v_mul_f64 v[10:11], v[10:11], v[28:29]
	v_add_f64 v[0:1], v[0:1], v[6:7]
	v_mul_f64 v[6:7], v[68:69], v[104:105]
	v_addc_co_u32_e32 v191, vcc, v191, v5, vcc
	v_mul_f64 v[14:15], v[14:15], v[32:33]
	v_fmac_f64_e32 v[10:11], v[12:13], v[26:27]
	v_fma_f64 v[6:7], v[66:67], v[102:103], -v[6:7]
	v_add_co_u32_e32 v196, vcc, s12, v196
	v_mul_f64 v[18:19], v[18:19], v[40:41]
	v_add_f64 v[2:3], v[2:3], v[10:11]
	v_fmac_f64_e32 v[14:15], v[16:17], v[30:31]
	v_add_f64 v[0:1], v[0:1], v[6:7]
	v_mul_f64 v[6:7], v[76:77], v[108:109]
	v_addc_co_u32_e32 v193, vcc, v193, v5, vcc
	v_add_f64 v[2:3], v[2:3], v[14:15]
	v_fmac_f64_e32 v[18:19], v[20:21], v[38:39]
	v_mul_f64 v[8:9], v[34:35], v[56:57]
	v_fma_f64 v[6:7], v[74:75], v[106:107], -v[6:7]
	v_add_co_u32_e32 v198, vcc, s12, v198
	v_add_f64 v[2:3], v[2:3], v[18:19]
	v_mul_f64 v[10:11], v[42:43], v[60:61]
	v_fmac_f64_e32 v[8:9], v[36:37], v[54:55]
	v_add_f64 v[0:1], v[0:1], v[6:7]
	v_mul_f64 v[6:7], v[80:81], v[112:113]
	v_addc_co_u32_e32 v195, vcc, v195, v5, vcc
	v_mul_f64 v[12:13], v[46:47], v[64:65]
	v_add_f64 v[2:3], v[2:3], v[8:9]
	v_fmac_f64_e32 v[10:11], v[44:45], v[58:59]
	v_fma_f64 v[6:7], v[78:79], v[110:111], -v[6:7]
	v_add_co_u32_e32 v200, vcc, s12, v200
	v_mul_f64 v[14:15], v[50:51], v[72:73]
	v_add_f64 v[2:3], v[2:3], v[10:11]
	v_fmac_f64_e32 v[12:13], v[48:49], v[62:63]
	v_add_f64 v[0:1], v[0:1], v[6:7]
	v_mul_f64 v[6:7], v[100:101], v[120:121]
	v_addc_co_u32_e32 v197, vcc, v197, v5, vcc
	v_add_f64 v[2:3], v[2:3], v[12:13]
	v_fmac_f64_e32 v[14:15], v[52:53], v[70:71]
	v_mul_f64 v[8:9], v[66:67], v[104:105]
	v_fma_f64 v[6:7], v[98:99], v[118:119], -v[6:7]
	v_add_co_u32_e32 v202, vcc, s12, v202
	v_add_f64 v[2:3], v[2:3], v[14:15]
	v_mul_f64 v[10:11], v[74:75], v[108:109]
	v_add_f64 v[0:1], v[0:1], v[6:7]
	v_fmac_f64_e32 v[8:9], v[68:69], v[102:103]
	v_mul_f64 v[6:7], v[116:117], v[88:89]
	v_addc_co_u32_e32 v199, vcc, v199, v5, vcc
	v_mul_f64 v[12:13], v[78:79], v[112:113]
	v_add_f64 v[2:3], v[2:3], v[8:9]
	v_fmac_f64_e32 v[10:11], v[76:77], v[106:107]
	v_fma_f64 v[6:7], v[114:115], v[86:87], -v[6:7]
	v_add_co_u32_e32 v204, vcc, s12, v204
	v_mul_f64 v[14:15], v[98:99], v[120:121]
	v_add_f64 v[2:3], v[2:3], v[10:11]
	v_fmac_f64_e32 v[12:13], v[80:81], v[110:111]
	v_add_f64 v[0:1], v[0:1], v[6:7]
	v_mul_f64 v[6:7], v[124:125], v[92:93]
	v_addc_co_u32_e32 v201, vcc, v201, v5, vcc
	v_add_f64 v[2:3], v[2:3], v[12:13]
	v_fmac_f64_e32 v[14:15], v[100:101], v[118:119]
	v_mul_f64 v[8:9], v[114:115], v[88:89]
	v_fma_f64 v[6:7], v[122:123], v[90:91], -v[6:7]
	v_add_co_u32_e32 v206, vcc, s12, v206
	v_add_f64 v[2:3], v[2:3], v[14:15]
	v_mul_f64 v[10:11], v[122:123], v[92:93]
	v_add_f64 v[0:1], v[0:1], v[6:7]
	v_mul_f64 v[6:7], v[128:129], v[96:97]
	v_fmac_f64_e32 v[8:9], v[116:117], v[86:87]
	v_addc_co_u32_e32 v203, vcc, v203, v5, vcc
	v_fma_f64 v[6:7], v[126:127], v[94:95], -v[6:7]
	v_mul_f64 v[12:13], v[126:127], v[96:97]
	v_fmac_f64_e32 v[10:11], v[124:125], v[90:91]
	v_add_f64 v[2:3], v[2:3], v[8:9]
	v_add_co_u32_e32 v208, vcc, s12, v208
	v_add_f64 v[0:1], v[0:1], v[6:7]
	v_mul_f64 v[6:7], v[132:133], v[136:137]
	v_mul_f64 v[14:15], v[130:131], v[136:137]
	v_fmac_f64_e32 v[12:13], v[128:129], v[94:95]
	v_add_f64 v[2:3], v[2:3], v[10:11]
	v_addc_co_u32_e32 v205, vcc, v205, v5, vcc
	v_fma_f64 v[6:7], v[130:131], v[134:135], -v[6:7]
	v_fmac_f64_e32 v[14:15], v[132:133], v[134:135]
	v_add_f64 v[2:3], v[2:3], v[12:13]
	s_add_i32 s4, s6, 1
	s_add_i32 s10, s10, s35
	;; [unrolled: 1-line block ×3, first 2 shown]
	v_add_co_u32_e32 v210, vcc, s12, v210
	v_add_f64 v[0:1], v[0:1], v[6:7]
	v_add_f64 v[2:3], v[2:3], v[14:15]
	v_add_u32_e32 v170, 64, v170
	s_cmp_ge_u32 s5, s7
	v_addc_co_u32_e32 v207, vcc, v207, v5, vcc
	s_barrier
	s_cbranch_scc1 .LBB50_188
; %bb.187:                              ;   in Loop: Header=BB50_136 Depth=1
	s_mov_b32 s6, s4
	s_cmp_eq_u32 s34, s6
	s_cselect_b32 s24, s33, 0
	s_and_saveexec_b64 s[4:5], s[0:1]
	s_cbranch_execnz .LBB50_132
	s_branch .LBB50_136
.LBB50_188:
	s_movk_i32 s2, 0x430
	v_cmp_gt_i32_e32 vcc, s16, v168
	v_mad_u32_u24 v4, v209, s2, v211
	s_or_b64 s[2:3], s[18:19], vcc
	s_and_b64 s[0:1], s[0:1], s[2:3]
	ds_write_b128 v4, v[0:3]
	s_waitcnt lgkmcnt(0)
	s_barrier
	s_and_saveexec_b64 s[2:3], s[0:1]
	s_cbranch_execz .LBB50_190
; %bb.189:
	ds_read_b128 v[0:3], v211 offset:1072
	ds_read_b128 v[4:7], v211
	ds_read_b128 v[8:11], v211 offset:2144
	ds_read_b128 v[12:15], v211 offset:3216
	v_ashrrev_i32_e32 v167, 31, v166
	s_waitcnt lgkmcnt(2)
	v_add_f64 v[0:1], v[0:1], v[4:5]
	v_add_f64 v[2:3], v[2:3], v[6:7]
	v_lshlrev_b64 v[4:5], 4, v[166:167]
	s_waitcnt lgkmcnt(1)
	v_add_f64 v[0:1], v[0:1], v[8:9]
	v_add_f64 v[2:3], v[2:3], v[10:11]
	v_mov_b32_e32 v6, s25
	v_add_co_u32_e32 v4, vcc, s17, v4
	s_waitcnt lgkmcnt(0)
	v_add_f64 v[0:1], v[0:1], v[12:13]
	v_add_f64 v[2:3], v[2:3], v[14:15]
	v_addc_co_u32_e32 v5, vcc, v6, v5, vcc
	global_store_dwordx4 v[4:5], v[0:3], off
.LBB50_190:
	s_endpgm
	.section	.rodata,"a",@progbits
	.p2align	6, 0x0
	.amdhsa_kernel _ZL26rocblas_hemvn_kernel_upperILb1ELi64ELi4ELi33ELi32ELi16EiPK19rocblas_complex_numIdEPKS3_PS1_EviT6_lT7_lT5_lS8_lS9_lS7_lT8_i
		.amdhsa_group_segment_fixed_size 19200
		.amdhsa_private_segment_fixed_size 0
		.amdhsa_kernarg_size 376
		.amdhsa_user_sgpr_count 6
		.amdhsa_user_sgpr_private_segment_buffer 1
		.amdhsa_user_sgpr_dispatch_ptr 0
		.amdhsa_user_sgpr_queue_ptr 0
		.amdhsa_user_sgpr_kernarg_segment_ptr 1
		.amdhsa_user_sgpr_dispatch_id 0
		.amdhsa_user_sgpr_flat_scratch_init 0
		.amdhsa_user_sgpr_kernarg_preload_length 0
		.amdhsa_user_sgpr_kernarg_preload_offset 0
		.amdhsa_user_sgpr_private_segment_size 0
		.amdhsa_uses_dynamic_stack 0
		.amdhsa_system_sgpr_private_segment_wavefront_offset 0
		.amdhsa_system_sgpr_workgroup_id_x 1
		.amdhsa_system_sgpr_workgroup_id_y 0
		.amdhsa_system_sgpr_workgroup_id_z 1
		.amdhsa_system_sgpr_workgroup_info 0
		.amdhsa_system_vgpr_workitem_id 1
		.amdhsa_next_free_vgpr 240
		.amdhsa_next_free_sgpr 44
		.amdhsa_accum_offset 240
		.amdhsa_reserve_vcc 1
		.amdhsa_reserve_flat_scratch 0
		.amdhsa_float_round_mode_32 0
		.amdhsa_float_round_mode_16_64 0
		.amdhsa_float_denorm_mode_32 3
		.amdhsa_float_denorm_mode_16_64 3
		.amdhsa_dx10_clamp 1
		.amdhsa_ieee_mode 1
		.amdhsa_fp16_overflow 0
		.amdhsa_tg_split 0
		.amdhsa_exception_fp_ieee_invalid_op 0
		.amdhsa_exception_fp_denorm_src 0
		.amdhsa_exception_fp_ieee_div_zero 0
		.amdhsa_exception_fp_ieee_overflow 0
		.amdhsa_exception_fp_ieee_underflow 0
		.amdhsa_exception_fp_ieee_inexact 0
		.amdhsa_exception_int_div_zero 0
	.end_amdhsa_kernel
	.section	.text._ZL26rocblas_hemvn_kernel_upperILb1ELi64ELi4ELi33ELi32ELi16EiPK19rocblas_complex_numIdEPKS3_PS1_EviT6_lT7_lT5_lS8_lS9_lS7_lT8_i,"axG",@progbits,_ZL26rocblas_hemvn_kernel_upperILb1ELi64ELi4ELi33ELi32ELi16EiPK19rocblas_complex_numIdEPKS3_PS1_EviT6_lT7_lT5_lS8_lS9_lS7_lT8_i,comdat
.Lfunc_end50:
	.size	_ZL26rocblas_hemvn_kernel_upperILb1ELi64ELi4ELi33ELi32ELi16EiPK19rocblas_complex_numIdEPKS3_PS1_EviT6_lT7_lT5_lS8_lS9_lS7_lT8_i, .Lfunc_end50-_ZL26rocblas_hemvn_kernel_upperILb1ELi64ELi4ELi33ELi32ELi16EiPK19rocblas_complex_numIdEPKS3_PS1_EviT6_lT7_lT5_lS8_lS9_lS7_lT8_i
                                        ; -- End function
	.section	.AMDGPU.csdata,"",@progbits
; Kernel info:
; codeLenInByte = 11232
; NumSgprs: 48
; NumVgprs: 240
; NumAgprs: 0
; TotalNumVgprs: 240
; ScratchSize: 0
; MemoryBound: 1
; FloatMode: 240
; IeeeMode: 1
; LDSByteSize: 19200 bytes/workgroup (compile time only)
; SGPRBlocks: 5
; VGPRBlocks: 29
; NumSGPRsForWavesPerEU: 48
; NumVGPRsForWavesPerEU: 240
; AccumOffset: 240
; Occupancy: 2
; WaveLimiterHint : 1
; COMPUTE_PGM_RSRC2:SCRATCH_EN: 0
; COMPUTE_PGM_RSRC2:USER_SGPR: 6
; COMPUTE_PGM_RSRC2:TRAP_HANDLER: 0
; COMPUTE_PGM_RSRC2:TGID_X_EN: 1
; COMPUTE_PGM_RSRC2:TGID_Y_EN: 0
; COMPUTE_PGM_RSRC2:TGID_Z_EN: 1
; COMPUTE_PGM_RSRC2:TIDIG_COMP_CNT: 1
; COMPUTE_PGM_RSRC3_GFX90A:ACCUM_OFFSET: 59
; COMPUTE_PGM_RSRC3_GFX90A:TG_SPLIT: 0
	.section	.text._ZL36rocblas_hemvn_kernel_upper_block_sumILi64EiPK19rocblas_complex_numIdEPKPS1_S1_EviT1_lS7_lT2_lT0_lPT3_i,"axG",@progbits,_ZL36rocblas_hemvn_kernel_upper_block_sumILi64EiPK19rocblas_complex_numIdEPKPS1_S1_EviT1_lS7_lT2_lT0_lPT3_i,comdat
	.globl	_ZL36rocblas_hemvn_kernel_upper_block_sumILi64EiPK19rocblas_complex_numIdEPKPS1_S1_EviT1_lS7_lT2_lT0_lPT3_i ; -- Begin function _ZL36rocblas_hemvn_kernel_upper_block_sumILi64EiPK19rocblas_complex_numIdEPKPS1_S1_EviT1_lS7_lT2_lT0_lPT3_i
	.p2align	8
	.type	_ZL36rocblas_hemvn_kernel_upper_block_sumILi64EiPK19rocblas_complex_numIdEPKPS1_S1_EviT1_lS7_lT2_lT0_lPT3_i,@function
_ZL36rocblas_hemvn_kernel_upper_block_sumILi64EiPK19rocblas_complex_numIdEPKPS1_S1_EviT1_lS7_lT2_lT0_lPT3_i: ; @_ZL36rocblas_hemvn_kernel_upper_block_sumILi64EiPK19rocblas_complex_numIdEPKPS1_S1_EviT1_lS7_lT2_lT0_lPT3_i
; %bb.0:
	s_load_dwordx8 s[20:27], s[4:5], 0x8
	s_mov_b32 s16, s7
	s_waitcnt lgkmcnt(0)
	s_mul_i32 s0, s7, s23
	s_mul_hi_u32 s1, s7, s22
	s_add_i32 s1, s1, s0
	s_mul_i32 s0, s7, s22
	s_lshl_b64 s[0:1], s[0:1], 4
	s_add_u32 s0, s20, s0
	s_addc_u32 s1, s21, s1
	s_load_dwordx4 s[12:15], s[0:1], 0x0
	s_mul_i32 s0, s7, s27
	s_mul_hi_u32 s1, s7, s26
	s_add_i32 s1, s1, s0
	s_mul_i32 s0, s7, s26
	s_lshl_b64 s[0:1], s[0:1], 4
	s_add_u32 s0, s24, s0
	s_addc_u32 s1, s25, s1
	s_load_dwordx4 s[8:11], s[0:1], 0x0
	s_waitcnt lgkmcnt(0)
	v_cmp_neq_f64_e64 s[0:1], s[12:13], 0
	v_cmp_neq_f64_e64 s[2:3], s[14:15], 0
	s_or_b64 s[0:1], s[0:1], s[2:3]
	s_mov_b64 s[2:3], -1
	s_and_b64 vcc, exec, s[0:1]
	s_cbranch_vccnz .LBB51_2
; %bb.1:
	v_cmp_neq_f64_e64 s[2:3], s[8:9], 1.0
	v_cmp_neq_f64_e64 s[18:19], s[10:11], 0
	s_or_b64 s[2:3], s[2:3], s[18:19]
.LBB51_2:
	s_andn2_b64 vcc, exec, s[2:3]
	s_cbranch_vccnz .LBB51_22
; %bb.3:
	s_load_dwordx4 s[20:23], s[4:5], 0x28
	s_load_dword s24, s[4:5], 0x38
	s_load_dword s18, s[4:5], 0x0
	s_mov_b32 s17, 0
	s_lshl_b64 s[2:3], s[16:17], 3
	s_xor_b64 s[0:1], s[0:1], -1
	s_waitcnt lgkmcnt(0)
	s_add_u32 s2, s20, s2
	s_addc_u32 s3, s21, s3
	s_load_dwordx2 s[2:3], s[2:3], 0x0
	s_lshl_b64 s[20:21], s[22:23], 4
	v_lshl_or_b32 v4, s6, 6, v0
	s_waitcnt lgkmcnt(0)
	s_add_u32 s7, s2, s20
	s_addc_u32 s17, s3, s21
	s_andn2_b64 vcc, exec, s[0:1]
	v_cmp_gt_i32_e64 s[0:1], s18, v4
	s_cbranch_vccnz .LBB51_8
; %bb.4:
	s_mov_b64 s[20:21], 0
	s_mov_b64 s[2:3], 0
                                        ; implicit-def: $vgpr2_vgpr3
                                        ; implicit-def: $vgpr6_vgpr7
	s_and_saveexec_b64 s[22:23], s[0:1]
	s_cbranch_execz .LBB51_9
; %bb.5:
	v_cmp_neq_f64_e64 s[0:1], s[8:9], 0
	v_cmp_neq_f64_e64 s[2:3], s[10:11], 0
	v_pk_mov_b32 v[2:3], 0, 0
	v_mul_lo_u32 v6, v4, s24
	s_or_b64 s[0:1], s[0:1], s[2:3]
	v_ashrrev_i32_e32 v7, 31, v6
	s_andn2_b64 vcc, exec, s[0:1]
	v_pk_mov_b32 v[0:1], v[2:3], v[2:3] op_sel:[0,1]
	s_cbranch_vccnz .LBB51_7
; %bb.6:
	v_lshlrev_b64 v[0:1], 4, v[6:7]
	v_mov_b32_e32 v2, s17
	v_add_co_u32_e32 v0, vcc, s7, v0
	v_addc_co_u32_e32 v1, vcc, v2, v1, vcc
	global_load_dwordx4 v[8:11], v[0:1], off
	s_waitcnt vmcnt(0)
	v_mul_f64 v[0:1], s[10:11], v[10:11]
	v_mul_f64 v[2:3], s[8:9], v[10:11]
	v_fma_f64 v[0:1], s[8:9], v[8:9], -v[0:1]
	v_fmac_f64_e32 v[2:3], s[10:11], v[8:9]
.LBB51_7:
	s_mov_b64 s[2:3], exec
	s_or_b64 exec, exec, s[22:23]
	s_and_b64 vcc, exec, s[20:21]
	s_cbranch_vccnz .LBB51_10
	s_branch .LBB51_20
.LBB51_8:
	s_mov_b64 s[2:3], 0
                                        ; implicit-def: $vgpr2_vgpr3
                                        ; implicit-def: $vgpr6_vgpr7
	s_cbranch_execnz .LBB51_10
	s_branch .LBB51_20
.LBB51_9:
	s_or_b64 exec, exec, s[22:23]
	s_and_b64 vcc, exec, s[20:21]
	s_cbranch_vccz .LBB51_20
.LBB51_10:
	v_cmp_gt_i32_e32 vcc, s18, v4
                                        ; implicit-def: $vgpr2_vgpr3
                                        ; implicit-def: $vgpr6_vgpr7
	s_and_saveexec_b64 s[0:1], vcc
	s_cbranch_execz .LBB51_19
; %bb.11:
	v_pk_mov_b32 v[0:1], 0, 0
	s_cmp_lt_i32 s6, 0
	v_pk_mov_b32 v[8:9], v[0:1], v[0:1] op_sel:[0,1]
	s_cbranch_scc1 .LBB51_14
; %bb.12:
	s_load_dwordx2 s[20:21], s[4:5], 0x48
	s_load_dword s22, s[4:5], 0x58
	s_ashr_i32 s19, s18, 31
	s_mul_hi_u32 s4, s18, s16
	s_mul_i32 s5, s19, s16
	s_add_i32 s4, s4, s5
	s_mul_i32 s16, s18, s16
	s_waitcnt lgkmcnt(0)
	s_mul_i32 s4, s4, s22
	s_mul_hi_u32 s5, s16, s22
	s_add_i32 s5, s5, s4
	s_mul_i32 s4, s16, s22
	s_add_i32 s6, s6, 1
	s_lshl_b64 s[4:5], s[4:5], 4
	v_mov_b32_e32 v5, 0
	s_add_u32 s4, s20, s4
	v_lshlrev_b64 v[0:1], 4, v[4:5]
	s_addc_u32 s5, s21, s5
	v_mov_b32_e32 v2, s5
	v_add_co_u32_e32 v0, vcc, s4, v0
	v_addc_co_u32_e32 v1, vcc, v2, v1, vcc
	v_add_co_u32_e32 v2, vcc, 8, v0
	v_addc_co_u32_e32 v3, vcc, 0, v1, vcc
	s_lshl_b64 s[4:5], s[18:19], 4
	v_pk_mov_b32 v[0:1], 0, 0
	v_mov_b32_e32 v5, s5
	v_pk_mov_b32 v[8:9], v[0:1], v[0:1] op_sel:[0,1]
.LBB51_13:                              ; =>This Inner Loop Header: Depth=1
	global_load_dwordx4 v[10:13], v[2:3], off offset:-8
	s_add_i32 s6, s6, -1
	v_add_co_u32_e32 v2, vcc, s4, v2
	v_addc_co_u32_e32 v3, vcc, v3, v5, vcc
	s_cmp_eq_u32 s6, 0
	s_waitcnt vmcnt(0)
	v_add_f64 v[8:9], v[8:9], v[10:11]
	v_add_f64 v[0:1], v[0:1], v[12:13]
	s_cbranch_scc0 .LBB51_13
.LBB51_14:
	v_cmp_neq_f64_e64 s[18:19], s[8:9], 0
	v_cmp_neq_f64_e64 s[20:21], s[10:11], 0
	s_or_b64 s[18:19], s[18:19], s[20:21]
	v_mul_f64 v[10:11], s[14:15], v[0:1]
	v_mul_f64 v[2:3], s[12:13], v[0:1]
	v_mul_lo_u32 v6, v4, s24
	s_mov_b64 s[4:5], 0
	s_andn2_b64 vcc, exec, s[18:19]
	v_fma_f64 v[0:1], s[12:13], v[8:9], -v[10:11]
	v_fmac_f64_e32 v[2:3], s[14:15], v[8:9]
	v_ashrrev_i32_e32 v7, 31, v6
	s_cbranch_vccnz .LBB51_16
; %bb.15:
	s_mov_b64 s[4:5], -1
.LBB51_16:
	s_andn2_b64 vcc, exec, s[4:5]
	s_cbranch_vccnz .LBB51_18
; %bb.17:
	v_lshlrev_b64 v[4:5], 4, v[6:7]
	v_mov_b32_e32 v8, s17
	v_add_co_u32_e32 v4, vcc, s7, v4
	v_addc_co_u32_e32 v5, vcc, v8, v5, vcc
	global_load_dwordx4 v[8:11], v[4:5], off
	s_waitcnt vmcnt(0)
	v_mul_f64 v[4:5], s[10:11], v[10:11]
	v_mul_f64 v[10:11], s[8:9], v[10:11]
	v_fma_f64 v[4:5], s[8:9], v[8:9], -v[4:5]
	v_fmac_f64_e32 v[10:11], s[10:11], v[8:9]
	v_add_f64 v[0:1], v[0:1], v[4:5]
	v_add_f64 v[2:3], v[2:3], v[10:11]
.LBB51_18:
	s_or_b64 s[2:3], s[2:3], exec
.LBB51_19:
	s_or_b64 exec, exec, s[0:1]
.LBB51_20:
	s_and_saveexec_b64 s[0:1], s[2:3]
	s_cbranch_execz .LBB51_22
; %bb.21:
	v_lshlrev_b64 v[4:5], 4, v[6:7]
	v_mov_b32_e32 v6, s17
	v_add_co_u32_e32 v4, vcc, s7, v4
	v_addc_co_u32_e32 v5, vcc, v6, v5, vcc
	global_store_dwordx4 v[4:5], v[0:3], off
.LBB51_22:
	s_endpgm
	.section	.rodata,"a",@progbits
	.p2align	6, 0x0
	.amdhsa_kernel _ZL36rocblas_hemvn_kernel_upper_block_sumILi64EiPK19rocblas_complex_numIdEPKPS1_S1_EviT1_lS7_lT2_lT0_lPT3_i
		.amdhsa_group_segment_fixed_size 0
		.amdhsa_private_segment_fixed_size 0
		.amdhsa_kernarg_size 344
		.amdhsa_user_sgpr_count 6
		.amdhsa_user_sgpr_private_segment_buffer 1
		.amdhsa_user_sgpr_dispatch_ptr 0
		.amdhsa_user_sgpr_queue_ptr 0
		.amdhsa_user_sgpr_kernarg_segment_ptr 1
		.amdhsa_user_sgpr_dispatch_id 0
		.amdhsa_user_sgpr_flat_scratch_init 0
		.amdhsa_user_sgpr_kernarg_preload_length 0
		.amdhsa_user_sgpr_kernarg_preload_offset 0
		.amdhsa_user_sgpr_private_segment_size 0
		.amdhsa_uses_dynamic_stack 0
		.amdhsa_system_sgpr_private_segment_wavefront_offset 0
		.amdhsa_system_sgpr_workgroup_id_x 1
		.amdhsa_system_sgpr_workgroup_id_y 0
		.amdhsa_system_sgpr_workgroup_id_z 1
		.amdhsa_system_sgpr_workgroup_info 0
		.amdhsa_system_vgpr_workitem_id 0
		.amdhsa_next_free_vgpr 14
		.amdhsa_next_free_sgpr 28
		.amdhsa_accum_offset 16
		.amdhsa_reserve_vcc 1
		.amdhsa_reserve_flat_scratch 0
		.amdhsa_float_round_mode_32 0
		.amdhsa_float_round_mode_16_64 0
		.amdhsa_float_denorm_mode_32 3
		.amdhsa_float_denorm_mode_16_64 3
		.amdhsa_dx10_clamp 1
		.amdhsa_ieee_mode 1
		.amdhsa_fp16_overflow 0
		.amdhsa_tg_split 0
		.amdhsa_exception_fp_ieee_invalid_op 0
		.amdhsa_exception_fp_denorm_src 0
		.amdhsa_exception_fp_ieee_div_zero 0
		.amdhsa_exception_fp_ieee_overflow 0
		.amdhsa_exception_fp_ieee_underflow 0
		.amdhsa_exception_fp_ieee_inexact 0
		.amdhsa_exception_int_div_zero 0
	.end_amdhsa_kernel
	.section	.text._ZL36rocblas_hemvn_kernel_upper_block_sumILi64EiPK19rocblas_complex_numIdEPKPS1_S1_EviT1_lS7_lT2_lT0_lPT3_i,"axG",@progbits,_ZL36rocblas_hemvn_kernel_upper_block_sumILi64EiPK19rocblas_complex_numIdEPKPS1_S1_EviT1_lS7_lT2_lT0_lPT3_i,comdat
.Lfunc_end51:
	.size	_ZL36rocblas_hemvn_kernel_upper_block_sumILi64EiPK19rocblas_complex_numIdEPKPS1_S1_EviT1_lS7_lT2_lT0_lPT3_i, .Lfunc_end51-_ZL36rocblas_hemvn_kernel_upper_block_sumILi64EiPK19rocblas_complex_numIdEPKPS1_S1_EviT1_lS7_lT2_lT0_lPT3_i
                                        ; -- End function
	.section	.AMDGPU.csdata,"",@progbits
; Kernel info:
; codeLenInByte = 844
; NumSgprs: 32
; NumVgprs: 14
; NumAgprs: 0
; TotalNumVgprs: 14
; ScratchSize: 0
; MemoryBound: 0
; FloatMode: 240
; IeeeMode: 1
; LDSByteSize: 0 bytes/workgroup (compile time only)
; SGPRBlocks: 3
; VGPRBlocks: 1
; NumSGPRsForWavesPerEU: 32
; NumVGPRsForWavesPerEU: 14
; AccumOffset: 16
; Occupancy: 8
; WaveLimiterHint : 1
; COMPUTE_PGM_RSRC2:SCRATCH_EN: 0
; COMPUTE_PGM_RSRC2:USER_SGPR: 6
; COMPUTE_PGM_RSRC2:TRAP_HANDLER: 0
; COMPUTE_PGM_RSRC2:TGID_X_EN: 1
; COMPUTE_PGM_RSRC2:TGID_Y_EN: 0
; COMPUTE_PGM_RSRC2:TGID_Z_EN: 1
; COMPUTE_PGM_RSRC2:TIDIG_COMP_CNT: 0
; COMPUTE_PGM_RSRC3_GFX90A:ACCUM_OFFSET: 3
; COMPUTE_PGM_RSRC3_GFX90A:TG_SPLIT: 0
	.section	.text._ZL26rocblas_hemvn_kernel_upperILb1ELi64ELi4ELi33ELi32ELi16El19rocblas_complex_numIdEPKPKS1_PS1_EviT6_lT7_lT5_lS8_lS9_lS7_lT8_i,"axG",@progbits,_ZL26rocblas_hemvn_kernel_upperILb1ELi64ELi4ELi33ELi32ELi16El19rocblas_complex_numIdEPKPKS1_PS1_EviT6_lT7_lT5_lS8_lS9_lS7_lT8_i,comdat
	.globl	_ZL26rocblas_hemvn_kernel_upperILb1ELi64ELi4ELi33ELi32ELi16El19rocblas_complex_numIdEPKPKS1_PS1_EviT6_lT7_lT5_lS8_lS9_lS7_lT8_i ; -- Begin function _ZL26rocblas_hemvn_kernel_upperILb1ELi64ELi4ELi33ELi32ELi16El19rocblas_complex_numIdEPKPKS1_PS1_EviT6_lT7_lT5_lS8_lS9_lS7_lT8_i
	.p2align	8
	.type	_ZL26rocblas_hemvn_kernel_upperILb1ELi64ELi4ELi33ELi32ELi16El19rocblas_complex_numIdEPKPKS1_PS1_EviT6_lT7_lT5_lS8_lS9_lS7_lT8_i,@function
_ZL26rocblas_hemvn_kernel_upperILb1ELi64ELi4ELi33ELi32ELi16El19rocblas_complex_numIdEPKPKS1_PS1_EviT6_lT7_lT5_lS8_lS9_lS7_lT8_i: ; @_ZL26rocblas_hemvn_kernel_upperILb1ELi64ELi4ELi33ELi32ELi16El19rocblas_complex_numIdEPKPKS1_PS1_EviT6_lT7_lT5_lS8_lS9_lS7_lT8_i
; %bb.0:
	s_load_dwordx2 s[0:1], s[4:5], 0x94
	s_add_u32 s14, s4, 0x88
	s_addc_u32 s15, s5, 0
	s_waitcnt lgkmcnt(0)
	s_lshr_b32 s2, s0, 16
	s_and_b32 s0, s0, 0xffff
	s_and_b32 s1, s1, 0xffff
	s_mul_i32 s0, s2, s0
	s_mul_i32 s0, s0, s1
	s_cmpk_lg_i32 s0, 0x100
	s_cbranch_scc1 .LBB52_190
; %bb.1:
	s_load_dwordx4 s[16:19], s[4:5], 0x8
	s_load_dwordx4 s[0:3], s[4:5], 0x20
	s_load_dwordx2 s[24:25], s[4:5], 0x30
	s_mov_b32 s26, s7
	s_mov_b64 s[8:9], 0
	s_waitcnt lgkmcnt(0)
	v_cmp_neq_f64_e64 s[10:11], s[16:17], 0
	v_cmp_neq_f64_e64 s[12:13], s[18:19], 0
	s_or_b64 s[16:17], s[10:11], s[12:13]
	s_and_b64 vcc, exec, s[16:17]
	s_cbranch_vccnz .LBB52_3
; %bb.2:
	s_load_dwordx4 s[8:11], s[4:5], 0x60
	s_mov_b64 s[12:13], 0
	s_waitcnt lgkmcnt(0)
	v_cmp_neq_f64_e64 s[8:9], s[8:9], 1.0
	v_cmp_neq_f64_e64 s[10:11], s[10:11], 0
	s_or_b64 s[8:9], s[8:9], s[10:11]
	s_cbranch_execz .LBB52_4
	s_branch .LBB52_5
.LBB52_3:
	s_mov_b64 s[12:13], -1
.LBB52_4:
	s_mov_b32 s27, 0
	s_lshl_b64 s[8:9], s[26:27], 3
	s_add_u32 s0, s0, s8
	s_addc_u32 s1, s1, s9
	s_load_dwordx2 s[0:1], s[0:1], 0x0
	s_lshl_b64 s[2:3], s[2:3], 4
	s_mov_b64 s[8:9], -1
	s_waitcnt lgkmcnt(0)
	s_add_u32 s12, s0, s2
	s_addc_u32 s13, s1, s3
.LBB52_5:
	s_andn2_b64 vcc, exec, s[8:9]
	s_cbranch_vccnz .LBB52_190
; %bb.6:
	s_load_dwordx4 s[8:11], s[4:5], 0x40
	s_load_dwordx2 s[18:19], s[4:5], 0x50
	v_cndmask_b32_e64 v1, 0, 1, s[16:17]
	v_cmp_ne_u32_e64 s[0:1], 1, v1
	s_andn2_b64 vcc, exec, s[16:17]
	s_mov_b64 s[2:3], 0
	s_cbranch_vccnz .LBB52_8
; %bb.7:
	s_mov_b32 s27, 0
	s_lshl_b64 s[2:3], s[26:27], 3
	s_waitcnt lgkmcnt(0)
	s_add_u32 s2, s8, s2
	s_addc_u32 s3, s9, s3
	s_load_dwordx2 s[2:3], s[2:3], 0x0
	s_lshl_b64 s[8:9], s[10:11], 4
	s_waitcnt lgkmcnt(0)
	s_add_u32 s2, s2, s8
	s_addc_u32 s3, s3, s9
.LBB52_8:
	s_and_b64 vcc, exec, s[0:1]
	s_cbranch_vccnz .LBB52_190
; %bb.9:
	s_load_dword s7, s[14:15], 0x0
	s_load_dword s33, s[4:5], 0x0
	v_and_b32_e32 v201, 0x3ff, v0
	s_lshl_b32 s28, s6, 6
	v_add_u32_e32 v166, s28, v201
	s_waitcnt lgkmcnt(0)
	s_add_i32 s0, s7, -1
	s_ashr_i32 s38, s33, 31
	s_lshr_b32 s1, s38, 26
	s_add_i32 s1, s33, s1
	s_andn2_b32 s1, s1, 63
	s_sub_i32 s27, s33, s1
	v_ashrrev_i32_e32 v167, 31, v166
	v_bfe_u32 v202, v0, 10, 10
	s_cmp_eq_u32 s6, s0
	v_mul_lo_u32 v2, v167, s18
	v_mul_lo_u32 v3, v166, s19
	v_mad_u64_u32 v[0:1], s[0:1], v166, s18, 0
	v_add3_u32 v1, v1, v3, v2
	v_lshlrev_b64 v[0:1], 4, v[0:1]
	v_mov_b32_e32 v2, s3
	v_add_co_u32_e32 v38, vcc, s2, v0
	s_cselect_b32 s20, s27, 0
	v_addc_co_u32_e32 v39, vcc, v2, v1, vcc
	v_cmp_eq_u32_e64 s[0:1], 0, v202
	s_and_saveexec_b64 s[2:3], s[0:1]
	s_cbranch_execz .LBB52_14
; %bb.10:
	s_cmp_lg_u32 s20, 0
	s_cselect_b64 s[8:9], -1, 0
	v_cmp_le_i32_e32 vcc, s20, v201
	v_mov_b32_e32 v0, 0x4700
	s_and_b64 s[8:9], s[8:9], vcc
	v_lshl_add_u32 v0, v201, 4, v0
	s_and_saveexec_b64 s[10:11], s[8:9]
	s_xor_b64 s[8:9], exec, s[10:11]
	s_cbranch_execz .LBB52_12
; %bb.11:
	v_mov_b32_e32 v2, 0
	v_mov_b32_e32 v3, v2
	;; [unrolled: 1-line block ×4, first 2 shown]
	ds_write_b128 v0, v[2:5]
                                        ; implicit-def: $vgpr0
.LBB52_12:
	s_andn2_saveexec_b64 s[8:9], s[8:9]
	s_cbranch_execz .LBB52_14
; %bb.13:
	flat_load_dwordx4 v[2:5], v[38:39]
	s_waitcnt vmcnt(0) lgkmcnt(0)
	ds_write2_b64 v0, v[2:3], v[4:5] offset1:1
.LBB52_14:
	s_or_b64 exec, exec, s[2:3]
	s_ashr_i32 s29, s28, 31
	v_lshl_add_u32 v42, v202, 6, v201
	s_lshl_b64 s[2:3], s[28:29], 4
	v_and_b32_e32 v4, 31, v201
	v_lshrrev_b32_e32 v12, 5, v42
	s_add_u32 s8, s12, s2
	v_mov_b32_e32 v5, 0
	s_addc_u32 s9, s13, s3
	v_mad_u64_u32 v[0:1], s[2:3], v12, s24, v[4:5]
	v_mov_b32_e32 v2, v1
	v_mad_u64_u32 v[2:3], s[2:3], v12, s25, v[2:3]
	s_mul_i32 s2, s28, s25
	s_mul_hi_u32 s3, s28, s24
	s_add_i32 s2, s3, s2
	s_mul_i32 s3, s29, s24
	s_add_i32 s3, s2, s3
	s_mul_i32 s2, s28, s24
	s_lshl_b64 s[2:3], s[2:3], 4
	s_add_u32 s2, s2, s8
	v_mov_b32_e32 v1, v2
	s_addc_u32 s3, s3, s9
	v_lshlrev_b64 v[36:37], 4, v[0:1]
	s_cmp_eq_u32 s20, 0
	v_mov_b32_e32 v1, s3
	v_add_co_u32_e32 v0, vcc, s2, v36
	s_cselect_b64 s[22:23], -1, 0
	s_cmp_lg_u32 s20, 0
	v_addc_co_u32_e32 v1, vcc, v1, v37, vcc
	s_cselect_b64 s[30:31], -1, 0
	s_and_b64 vcc, exec, s[30:31]
	v_cmp_gt_i32_e64 s[2:3], s20, v4
	v_lshlrev_b32_e32 v13, 4, v4
	v_mul_u32_u24_e32 v5, 33, v12
	s_mul_i32 s39, s25, 0x180
	s_cbranch_vccz .LBB52_32
; %bb.15:
	v_sub_co_u32_e32 v2, vcc, v0, v13
	s_ashr_i32 s21, s20, 31
	v_subbrev_co_u32_e32 v3, vcc, 0, v1, vcc
	s_lshl_b64 s[8:9], s[20:21], 4
	v_mov_b32_e32 v6, s9
	v_add_co_u32_e32 v2, vcc, s8, v2
	v_addc_co_u32_e32 v3, vcc, v3, v6, vcc
	v_add_co_u32_e32 v2, vcc, -16, v2
	v_addc_co_u32_e32 v3, vcc, -1, v3, vcc
	v_cndmask_b32_e64 v3, v3, v1, s[2:3]
	v_cndmask_b32_e64 v2, v2, v0, s[2:3]
	v_cmp_le_i32_e32 vcc, s20, v12
	v_add_lshl_u32 v6, v5, v4, 4
	s_and_saveexec_b64 s[10:11], vcc
	s_xor_b64 s[10:11], exec, s[10:11]
	s_cbranch_execz .LBB52_17
; %bb.16:
	v_mov_b32_e32 v8, 0
	v_mov_b32_e32 v9, v8
	;; [unrolled: 1-line block ×4, first 2 shown]
	ds_write_b128 v6, v[8:11]
.LBB52_17:
	s_andn2_saveexec_b64 s[10:11], s[10:11]
	s_cbranch_execz .LBB52_19
; %bb.18:
	flat_load_dwordx4 v[8:11], v[2:3]
	s_waitcnt vmcnt(0) lgkmcnt(0)
	ds_write2_b64 v6, v[8:9], v[10:11] offset1:1
.LBB52_19:
	s_or_b64 exec, exec, s[10:11]
	v_add_u32_e32 v7, 8, v12
	v_cmp_le_i32_e32 vcc, s20, v7
	s_and_saveexec_b64 s[10:11], vcc
	s_xor_b64 s[10:11], exec, s[10:11]
	s_cbranch_execz .LBB52_21
; %bb.20:
	v_mul_u32_u24_e32 v7, 33, v7
	v_mov_b32_e32 v8, 0
	v_add_lshl_u32 v7, v7, v4, 4
	v_mov_b32_e32 v9, v8
	v_mov_b32_e32 v10, v8
	;; [unrolled: 1-line block ×3, first 2 shown]
	ds_write_b128 v7, v[8:11]
.LBB52_21:
	s_andn2_saveexec_b64 s[10:11], s[10:11]
	s_cbranch_execz .LBB52_23
; %bb.22:
	s_lshl_b64 s[12:13], s[24:25], 7
	v_mov_b32_e32 v7, s13
	v_add_co_u32_e32 v8, vcc, s12, v2
	v_addc_co_u32_e32 v9, vcc, v3, v7, vcc
	flat_load_dwordx4 v[8:11], v[8:9]
	v_add_u32_e32 v7, 0x1080, v6
	s_waitcnt vmcnt(0) lgkmcnt(0)
	ds_write2_b64 v7, v[8:9], v[10:11] offset1:1
.LBB52_23:
	s_or_b64 exec, exec, s[10:11]
	v_add_u32_e32 v7, 16, v12
	v_cmp_le_i32_e32 vcc, s20, v7
	s_and_saveexec_b64 s[10:11], vcc
	s_xor_b64 s[10:11], exec, s[10:11]
	s_cbranch_execz .LBB52_25
; %bb.24:
	v_mov_b32_e32 v8, 0
	v_mov_b32_e32 v9, v8
	;; [unrolled: 1-line block ×4, first 2 shown]
	ds_write_b128 v6, v[8:11] offset:8448
.LBB52_25:
	s_andn2_saveexec_b64 s[10:11], s[10:11]
	s_cbranch_execz .LBB52_27
; %bb.26:
	s_lshl_b64 s[12:13], s[24:25], 8
	v_mov_b32_e32 v7, s13
	v_add_co_u32_e32 v8, vcc, s12, v2
	v_addc_co_u32_e32 v9, vcc, v3, v7, vcc
	flat_load_dwordx4 v[8:11], v[8:9]
	v_add_u32_e32 v7, 0x2100, v6
	s_waitcnt vmcnt(0) lgkmcnt(0)
	ds_write2_b64 v7, v[8:9], v[10:11] offset1:1
.LBB52_27:
	s_or_b64 exec, exec, s[10:11]
	v_add_u32_e32 v7, 24, v12
	v_cmp_le_i32_e32 vcc, s20, v7
	s_and_saveexec_b64 s[10:11], vcc
	s_xor_b64 s[10:11], exec, s[10:11]
	s_cbranch_execz .LBB52_29
; %bb.28:
	v_mov_b32_e32 v8, 0
	v_mov_b32_e32 v9, v8
	;; [unrolled: 1-line block ×4, first 2 shown]
	ds_write_b128 v6, v[8:11] offset:12672
                                        ; implicit-def: $vgpr6
.LBB52_29:
	s_andn2_saveexec_b64 s[10:11], s[10:11]
	s_cbranch_execz .LBB52_31
; %bb.30:
	v_mov_b32_e32 v7, 0x180
	v_mad_u64_u32 v[8:9], s[12:13], s24, v7, v[2:3]
	v_add_u32_e32 v9, s39, v9
	flat_load_dwordx4 v[8:11], v[8:9]
	v_add_u32_e32 v6, 0x3180, v6
	s_waitcnt vmcnt(0) lgkmcnt(0)
	ds_write2_b64 v6, v[8:9], v[10:11] offset1:1
.LBB52_31:
	s_or_b64 exec, exec, s[10:11]
	v_add_co_u32_e32 v2, vcc, v2, v13
	v_addc_co_u32_e32 v3, vcc, 0, v3, vcc
	v_mov_b32_e32 v6, s9
	v_subrev_co_u32_e32 v2, vcc, s8, v2
	v_subb_co_u32_e32 v3, vcc, v3, v6, vcc
	v_add_co_u32_e32 v2, vcc, 16, v2
	v_addc_co_u32_e32 v3, vcc, 0, v3, vcc
	v_cndmask_b32_e64 v7, v3, v1, s[2:3]
	v_cndmask_b32_e64 v6, v2, v0, s[2:3]
	s_branch .LBB52_34
.LBB52_32:
                                        ; implicit-def: $vgpr6_vgpr7
	s_cbranch_execz .LBB52_34
; %bb.33:
	flat_load_dwordx4 v[6:9], v[0:1]
	s_lshl_b64 s[2:3], s[24:25], 7
	v_add_lshl_u32 v10, v5, v4, 4
	v_mov_b32_e32 v11, s3
	v_add_co_u32_e32 v2, vcc, s2, v0
	v_addc_co_u32_e32 v3, vcc, v1, v11, vcc
	v_add_u32_e32 v14, 0x1080, v10
	s_waitcnt vmcnt(0) lgkmcnt(0)
	ds_write2_b64 v10, v[6:7], v[8:9] offset1:1
	flat_load_dwordx4 v[6:9], v[2:3]
	v_add_co_u32_e32 v2, vcc, s2, v2
	v_addc_co_u32_e32 v3, vcc, v3, v11, vcc
	v_add_u32_e32 v11, 0x2100, v10
	s_waitcnt vmcnt(0) lgkmcnt(0)
	ds_write2_b64 v14, v[6:7], v[8:9] offset1:1
	flat_load_dwordx4 v[6:9], v[2:3]
	v_mov_b32_e32 v2, 0x180
	v_mad_u64_u32 v[2:3], s[2:3], s24, v2, v[0:1]
	v_add_u32_e32 v3, s39, v3
	s_waitcnt vmcnt(0) lgkmcnt(0)
	ds_write2_b64 v11, v[6:7], v[8:9] offset1:1
	flat_load_dwordx4 v[6:9], v[2:3]
	v_add_u32_e32 v2, 0x3180, v10
	s_waitcnt vmcnt(0) lgkmcnt(0)
	ds_write2_b64 v2, v[6:7], v[8:9] offset1:1
	v_pk_mov_b32 v[6:7], v[0:1], v[0:1] op_sel:[0,1]
.LBB52_34:
	v_lshlrev_b32_e32 v18, 2, v12
	v_cmp_le_u32_e64 s[16:17], v18, v4
	s_waitcnt lgkmcnt(0)
	s_barrier
	s_and_saveexec_b64 s[2:3], s[16:17]
	s_xor_b64 s[2:3], exec, s[2:3]
	s_cbranch_execz .LBB52_38
; %bb.35:
	v_cmp_eq_u32_e32 vcc, v18, v4
	s_and_saveexec_b64 s[8:9], vcc
	s_cbranch_execz .LBB52_37
; %bb.36:
	v_mul_u32_u24_e32 v0, 34, v4
	v_lshlrev_b32_e32 v2, 4, v0
	v_mov_b32_e32 v0, 0
	v_mov_b32_e32 v1, v0
	ds_write_b64 v2, v[0:1] offset:8
.LBB52_37:
	s_or_b64 exec, exec, s[8:9]
.LBB52_38:
	s_or_saveexec_b64 s[2:3], s[2:3]
	v_mul_u32_u24_e32 v14, 33, v4
	v_add_lshl_u32 v15, v18, v14, 4
	s_xor_b64 exec, exec, s[2:3]
	s_cbranch_execz .LBB52_40
; %bb.39:
	v_mul_u32_u24_e32 v0, 0x84, v12
	v_add_lshl_u32 v0, v0, v4, 4
	ds_read_b128 v[0:3], v0
	s_waitcnt lgkmcnt(0)
	v_xor_b32_e32 v3, 0x80000000, v3
	ds_write_b128 v15, v[0:3]
.LBB52_40:
	s_or_b64 exec, exec, s[2:3]
	v_or_b32_e32 v17, 1, v18
	v_cmp_ge_u32_e64 s[8:9], v18, v4
	v_mul_u32_u24_e32 v0, 33, v17
	s_and_saveexec_b64 s[2:3], s[8:9]
	s_xor_b64 s[2:3], exec, s[2:3]
	s_cbranch_execz .LBB52_42
; %bb.41:
	v_add_lshl_u32 v1, v0, v4, 4
	ds_read_b128 v[8:11], v1
	s_waitcnt lgkmcnt(0)
	v_xor_b32_e32 v11, 0x80000000, v11
	ds_write_b128 v15, v[8:11] offset:16
.LBB52_42:
	s_andn2_saveexec_b64 s[2:3], s[2:3]
	s_cbranch_execz .LBB52_46
; %bb.43:
	v_cmp_eq_u32_e32 vcc, v17, v4
	s_and_saveexec_b64 s[10:11], vcc
	s_cbranch_execz .LBB52_45
; %bb.44:
	v_mul_u32_u24_e32 v1, 34, v4
	v_mov_b32_e32 v2, 0
	v_lshlrev_b32_e32 v1, 4, v1
	v_mov_b32_e32 v3, v2
	ds_write_b64 v1, v[2:3] offset:8
.LBB52_45:
	s_or_b64 exec, exec, s[10:11]
.LBB52_46:
	s_or_b64 exec, exec, s[2:3]
	v_or_b32_e32 v19, 2, v18
	v_cmp_le_u32_e64 s[10:11], v19, v4
	s_and_saveexec_b64 s[2:3], s[10:11]
	s_xor_b64 s[2:3], exec, s[2:3]
	s_cbranch_execz .LBB52_50
; %bb.47:
	v_cmp_eq_u32_e32 vcc, v19, v4
	s_and_saveexec_b64 s[12:13], vcc
	s_cbranch_execz .LBB52_49
; %bb.48:
	v_mul_u32_u24_e32 v1, 34, v4
	v_mov_b32_e32 v2, 0
	v_lshlrev_b32_e32 v1, 4, v1
	v_mov_b32_e32 v3, v2
	ds_write_b64 v1, v[2:3] offset:8
.LBB52_49:
	s_or_b64 exec, exec, s[12:13]
.LBB52_50:
	s_andn2_saveexec_b64 s[2:3], s[2:3]
	s_cbranch_execz .LBB52_52
; %bb.51:
	v_mul_u32_u24_e32 v1, 33, v19
	v_add_lshl_u32 v1, v1, v4, 4
	ds_read_b128 v[8:11], v1
	s_waitcnt lgkmcnt(0)
	v_xor_b32_e32 v11, 0x80000000, v11
	ds_write_b128 v15, v[8:11] offset:32
.LBB52_52:
	s_or_b64 exec, exec, s[2:3]
	v_or_b32_e32 v20, 3, v18
	v_cmp_le_u32_e64 s[12:13], v20, v4
	s_and_saveexec_b64 s[2:3], s[12:13]
	s_xor_b64 s[2:3], exec, s[2:3]
	s_cbranch_execz .LBB52_56
; %bb.53:
	v_cmp_eq_u32_e32 vcc, v20, v4
	s_and_saveexec_b64 s[14:15], vcc
	s_cbranch_execz .LBB52_55
; %bb.54:
	v_mul_u32_u24_e32 v1, 34, v4
	v_mov_b32_e32 v2, 0
	v_lshlrev_b32_e32 v1, 4, v1
	v_mov_b32_e32 v3, v2
	ds_write_b64 v1, v[2:3] offset:8
.LBB52_55:
	s_or_b64 exec, exec, s[14:15]
.LBB52_56:
	s_andn2_saveexec_b64 s[2:3], s[2:3]
	s_cbranch_execz .LBB52_58
; %bb.57:
	v_mul_u32_u24_e32 v1, 33, v20
	v_add_lshl_u32 v1, v1, v4, 4
	ds_read_b128 v[8:11], v1
	s_waitcnt lgkmcnt(0)
	v_xor_b32_e32 v11, 0x80000000, v11
	ds_write_b128 v15, v[8:11] offset:48
.LBB52_58:
	s_or_b64 exec, exec, s[2:3]
	v_mul_u32_u24_e32 v1, 0x84, v12
	v_lshlrev_b32_e32 v21, 4, v18
	s_waitcnt lgkmcnt(0)
	s_barrier
	v_add_lshl_u32 v16, v1, v4, 4
	ds_read_b128 v[8:11], v21 offset:18176
	ds_read_b128 v[22:25], v21 offset:18192
	ds_read_b128 v[26:29], v16
	ds_read_b128 v[30:33], v21 offset:18208
	ds_read_b128 v[46:49], v21 offset:18224
	v_add_lshl_u32 v45, v0, v4, 4
	ds_read_b128 v[0:3], v45
	s_waitcnt lgkmcnt(3)
	v_mul_f64 v[34:35], v[10:11], v[28:29]
	v_fma_f64 v[34:35], v[8:9], v[26:27], -v[34:35]
	v_mul_f64 v[8:9], v[8:9], v[28:29]
	v_fmac_f64_e32 v[8:9], v[10:11], v[26:27]
	v_add_f64 v[28:29], v[8:9], 0
	s_waitcnt lgkmcnt(0)
	v_mul_f64 v[8:9], v[24:25], v[2:3]
	v_add_f64 v[26:27], v[34:35], 0
	v_fma_f64 v[34:35], v[22:23], v[0:1], -v[8:9]
	v_mul_f64 v[2:3], v[22:23], v[2:3]
	ds_read_b128 v[8:11], v45 offset:528
	v_fmac_f64_e32 v[2:3], v[24:25], v[0:1]
	v_add_f64 v[24:25], v[28:29], v[2:3]
	ds_read_b128 v[0:3], v45 offset:1056
	v_add_f64 v[22:23], v[26:27], v[34:35]
	s_waitcnt lgkmcnt(1)
	v_mul_f64 v[26:27], v[32:33], v[10:11]
	v_fma_f64 v[26:27], v[30:31], v[8:9], -v[26:27]
	v_mul_f64 v[10:11], v[30:31], v[10:11]
	v_fmac_f64_e32 v[10:11], v[32:33], v[8:9]
	v_add_f64 v[8:9], v[22:23], v[26:27]
	s_waitcnt lgkmcnt(0)
	v_mul_f64 v[22:23], v[48:49], v[2:3]
	v_mul_f64 v[2:3], v[46:47], v[2:3]
	v_add_f64 v[10:11], v[24:25], v[10:11]
	v_fma_f64 v[22:23], v[46:47], v[0:1], -v[22:23]
	v_fmac_f64_e32 v[2:3], v[48:49], v[0:1]
	v_add_f64 v[0:1], v[8:9], v[22:23]
	v_add_f64 v[2:3], v[10:11], v[2:3]
	v_add_lshl_u32 v44, v12, v14, 4
	s_barrier
	ds_write_b128 v44, v[0:3]
	v_pk_mov_b32 v[0:1], 0, 0
	v_cmp_gt_u32_e64 s[2:3], 32, v42
	v_lshlrev_b32_e32 v43, 4, v14
	v_pk_mov_b32 v[2:3], v[0:1], v[0:1] op_sel:[0,1]
	s_waitcnt lgkmcnt(0)
	s_barrier
	s_and_saveexec_b64 s[14:15], s[2:3]
	s_cbranch_execz .LBB52_60
; %bb.59:
	ds_read_b128 v[0:3], v43
	ds_read_b128 v[8:11], v43 offset:16
	ds_read_b128 v[22:25], v43 offset:32
	;; [unrolled: 1-line block ×3, first 2 shown]
	s_waitcnt lgkmcnt(2)
	v_add_f64 v[0:1], v[8:9], v[0:1]
	v_add_f64 v[8:9], v[10:11], v[2:3]
	s_waitcnt lgkmcnt(1)
	v_add_f64 v[10:11], v[0:1], v[22:23]
	ds_read_b128 v[0:3], v43 offset:64
	v_add_f64 v[8:9], v[8:9], v[24:25]
	s_waitcnt lgkmcnt(1)
	v_add_f64 v[22:23], v[10:11], v[26:27]
	v_add_f64 v[26:27], v[8:9], v[28:29]
	ds_read_b128 v[8:11], v43 offset:80
	s_waitcnt lgkmcnt(1)
	v_add_f64 v[28:29], v[22:23], v[0:1]
	ds_read_b128 v[22:25], v43 offset:96
	v_add_f64 v[26:27], v[26:27], v[2:3]
	ds_read_b128 v[0:3], v43 offset:112
	s_waitcnt lgkmcnt(2)
	v_add_f64 v[8:9], v[28:29], v[8:9]
	v_add_f64 v[10:11], v[26:27], v[10:11]
	s_waitcnt lgkmcnt(1)
	v_add_f64 v[8:9], v[8:9], v[22:23]
	v_add_f64 v[10:11], v[10:11], v[24:25]
	;; [unrolled: 3-line block ×3, first 2 shown]
.LBB52_60:
	s_or_b64 exec, exec, s[14:15]
	s_lshl_b64 s[14:15], s[24:25], 9
	v_mov_b32_e32 v8, s15
	v_add_co_u32_e32 v10, vcc, s14, v6
	v_addc_co_u32_e32 v11, vcc, v7, v8, vcc
	v_add_co_u32_e32 v8, vcc, 0x200, v10
	v_addc_co_u32_e32 v9, vcc, 0, v11, vcc
	s_and_b64 vcc, exec, s[30:31]
	s_barrier
	s_cbranch_vccz .LBB52_78
; %bb.61:
	v_or_b32_e32 v6, 32, v4
	v_lshlrev_b32_e32 v7, 4, v6
	v_sub_co_u32_e32 v7, vcc, v8, v7
	s_ashr_i32 s21, s20, 31
	v_subbrev_co_u32_e32 v22, vcc, 0, v9, vcc
	s_lshl_b64 s[34:35], s[20:21], 4
	v_mov_b32_e32 v23, s35
	v_add_co_u32_e32 v7, vcc, s34, v7
	v_addc_co_u32_e32 v22, vcc, v22, v23, vcc
	v_add_co_u32_e32 v23, vcc, -16, v7
	v_addc_co_u32_e32 v7, vcc, -1, v22, vcc
	v_cmp_gt_i32_e64 s[14:15], s20, v6
	s_sub_i32 s21, s20, 32
	v_cndmask_b32_e64 v7, v7, v9, s[14:15]
	v_cndmask_b32_e64 v6, v23, v8, s[14:15]
	v_cmp_le_i32_e32 vcc, s21, v12
	v_add_lshl_u32 v22, v5, v4, 4
	s_and_saveexec_b64 s[36:37], vcc
	s_xor_b64 s[36:37], exec, s[36:37]
	s_cbranch_execz .LBB52_63
; %bb.62:
	v_mov_b32_e32 v24, 0
	v_mov_b32_e32 v25, v24
	;; [unrolled: 1-line block ×4, first 2 shown]
	ds_write_b128 v22, v[24:27]
.LBB52_63:
	s_andn2_saveexec_b64 s[36:37], s[36:37]
	s_cbranch_execz .LBB52_65
; %bb.64:
	flat_load_dwordx4 v[24:27], v[6:7]
	s_waitcnt vmcnt(0) lgkmcnt(0)
	ds_write2_b64 v22, v[24:25], v[26:27] offset1:1
.LBB52_65:
	s_or_b64 exec, exec, s[36:37]
	v_add_u32_e32 v23, 8, v12
	v_cmp_le_i32_e32 vcc, s21, v23
	s_and_saveexec_b64 s[36:37], vcc
	s_xor_b64 s[36:37], exec, s[36:37]
	s_cbranch_execz .LBB52_67
; %bb.66:
	v_mul_u32_u24_e32 v23, 33, v23
	v_mov_b32_e32 v24, 0
	v_add_lshl_u32 v23, v23, v4, 4
	v_mov_b32_e32 v25, v24
	v_mov_b32_e32 v26, v24
	;; [unrolled: 1-line block ×3, first 2 shown]
	ds_write_b128 v23, v[24:27]
.LBB52_67:
	s_andn2_saveexec_b64 s[36:37], s[36:37]
	s_cbranch_execz .LBB52_69
; %bb.68:
	s_lshl_b64 s[40:41], s[24:25], 7
	v_mov_b32_e32 v23, s41
	v_add_co_u32_e32 v24, vcc, s40, v6
	v_addc_co_u32_e32 v25, vcc, v7, v23, vcc
	flat_load_dwordx4 v[24:27], v[24:25]
	v_add_u32_e32 v23, 0x1080, v22
	s_waitcnt vmcnt(0) lgkmcnt(0)
	ds_write2_b64 v23, v[24:25], v[26:27] offset1:1
.LBB52_69:
	s_or_b64 exec, exec, s[36:37]
	v_add_u32_e32 v23, 16, v12
	v_cmp_le_i32_e32 vcc, s21, v23
	s_and_saveexec_b64 s[36:37], vcc
	s_xor_b64 s[36:37], exec, s[36:37]
	s_cbranch_execz .LBB52_71
; %bb.70:
	v_mov_b32_e32 v24, 0
	v_mov_b32_e32 v25, v24
	;; [unrolled: 1-line block ×4, first 2 shown]
	ds_write_b128 v22, v[24:27] offset:8448
.LBB52_71:
	s_andn2_saveexec_b64 s[36:37], s[36:37]
	s_cbranch_execz .LBB52_73
; %bb.72:
	s_lshl_b64 s[40:41], s[24:25], 8
	v_mov_b32_e32 v23, s41
	v_add_co_u32_e32 v24, vcc, s40, v6
	v_addc_co_u32_e32 v25, vcc, v7, v23, vcc
	flat_load_dwordx4 v[24:27], v[24:25]
	v_add_u32_e32 v23, 0x2100, v22
	s_waitcnt vmcnt(0) lgkmcnt(0)
	ds_write2_b64 v23, v[24:25], v[26:27] offset1:1
.LBB52_73:
	s_or_b64 exec, exec, s[36:37]
	v_add_u32_e32 v23, 24, v12
	v_cmp_le_i32_e32 vcc, s21, v23
	s_and_saveexec_b64 s[36:37], vcc
	s_xor_b64 s[36:37], exec, s[36:37]
	s_cbranch_execz .LBB52_75
; %bb.74:
	v_mov_b32_e32 v24, 0
	v_mov_b32_e32 v25, v24
	;; [unrolled: 1-line block ×4, first 2 shown]
	ds_write_b128 v22, v[24:27] offset:12672
                                        ; implicit-def: $vgpr22
.LBB52_75:
	s_andn2_saveexec_b64 s[36:37], s[36:37]
	s_cbranch_execz .LBB52_77
; %bb.76:
	v_mov_b32_e32 v23, 0x180
	v_mad_u64_u32 v[24:25], s[40:41], s24, v23, v[6:7]
	v_add_u32_e32 v25, s39, v25
	flat_load_dwordx4 v[24:27], v[24:25]
	v_add_u32_e32 v22, 0x3180, v22
	s_waitcnt vmcnt(0) lgkmcnt(0)
	ds_write2_b64 v22, v[24:25], v[26:27] offset1:1
.LBB52_77:
	s_or_b64 exec, exec, s[36:37]
	v_add_co_u32_e32 v6, vcc, v6, v13
	v_addc_co_u32_e32 v7, vcc, 0, v7, vcc
	v_mov_b32_e32 v22, s35
	v_subrev_co_u32_e32 v6, vcc, s34, v6
	v_subb_co_u32_e32 v7, vcc, v7, v22, vcc
	v_add_co_u32_e32 v6, vcc, 0x210, v6
	v_addc_co_u32_e32 v7, vcc, 0, v7, vcc
	v_cndmask_b32_e64 v7, v7, v9, s[14:15]
	v_cndmask_b32_e64 v6, v6, v8, s[14:15]
	s_branch .LBB52_80
.LBB52_78:
                                        ; implicit-def: $vgpr6_vgpr7
	s_cbranch_execz .LBB52_80
; %bb.79:
	flat_load_dwordx4 v[22:25], v[8:9]
	s_lshl_b64 s[14:15], s[24:25], 7
	v_add_lshl_u32 v26, v5, v4, 4
	v_mov_b32_e32 v27, s15
	v_add_co_u32_e32 v6, vcc, s14, v10
	v_addc_co_u32_e32 v7, vcc, v11, v27, vcc
	v_add_u32_e32 v28, 0x1080, v26
	s_waitcnt vmcnt(0) lgkmcnt(0)
	ds_write2_b64 v26, v[22:23], v[24:25] offset1:1
	flat_load_dwordx4 v[22:25], v[6:7] offset:512
	v_add_co_u32_e32 v6, vcc, s14, v6
	v_addc_co_u32_e32 v7, vcc, v7, v27, vcc
	v_add_u32_e32 v27, 0x2100, v26
	s_waitcnt vmcnt(0) lgkmcnt(0)
	ds_write2_b64 v28, v[22:23], v[24:25] offset1:1
	flat_load_dwordx4 v[22:25], v[6:7] offset:512
	v_mov_b32_e32 v6, 0x180
	v_mad_u64_u32 v[6:7], s[14:15], s24, v6, v[10:11]
	v_add_u32_e32 v7, s39, v7
	s_waitcnt vmcnt(0) lgkmcnt(0)
	ds_write2_b64 v27, v[22:23], v[24:25] offset1:1
	flat_load_dwordx4 v[22:25], v[6:7] offset:512
	v_add_u32_e32 v6, 0x3180, v26
	s_waitcnt vmcnt(0) lgkmcnt(0)
	ds_write2_b64 v6, v[22:23], v[24:25] offset1:1
	v_pk_mov_b32 v[6:7], v[8:9], v[8:9] op_sel:[0,1]
.LBB52_80:
	s_waitcnt lgkmcnt(0)
	s_barrier
	s_and_saveexec_b64 s[14:15], s[16:17]
	s_xor_b64 s[14:15], exec, s[14:15]
	s_cbranch_execnz .LBB52_109
; %bb.81:
	s_andn2_saveexec_b64 s[14:15], s[14:15]
	s_cbranch_execnz .LBB52_112
.LBB52_82:
	s_or_b64 exec, exec, s[14:15]
	s_and_saveexec_b64 s[14:15], s[8:9]
	s_xor_b64 s[8:9], exec, s[14:15]
	s_cbranch_execnz .LBB52_113
.LBB52_83:
	s_andn2_saveexec_b64 s[8:9], s[8:9]
	s_cbranch_execnz .LBB52_114
.LBB52_84:
	s_or_b64 exec, exec, s[8:9]
	s_and_saveexec_b64 s[8:9], s[10:11]
	s_xor_b64 s[8:9], exec, s[8:9]
	s_cbranch_execnz .LBB52_117
.LBB52_85:
	s_andn2_saveexec_b64 s[8:9], s[8:9]
	s_cbranch_execnz .LBB52_120
.LBB52_86:
	s_or_b64 exec, exec, s[8:9]
	s_and_saveexec_b64 s[8:9], s[12:13]
	s_xor_b64 s[8:9], exec, s[8:9]
	s_cbranch_execnz .LBB52_121
.LBB52_87:
	s_or_saveexec_b64 s[8:9], s[8:9]
	v_add_u32_e32 v10, 0x4700, v21
	s_xor_b64 exec, exec, s[8:9]
	s_cbranch_execz .LBB52_89
.LBB52_88:
	ds_read_b128 v[18:21], v45 offset:1056
	s_waitcnt lgkmcnt(0)
	v_xor_b32_e32 v21, 0x80000000, v21
	ds_write_b128 v15, v[18:21] offset:48
.LBB52_89:
	s_or_b64 exec, exec, s[8:9]
	s_waitcnt lgkmcnt(0)
	s_barrier
	ds_read_b128 v[18:21], v10 offset:512
	ds_read_b128 v[22:25], v16
	ds_read_b128 v[26:29], v10 offset:528
	ds_read_b128 v[30:33], v10 offset:544
	;; [unrolled: 1-line block ×3, first 2 shown]
	ds_read_b128 v[50:53], v45
	v_cmp_eq_u32_e64 s[8:9], 1, v12
	s_waitcnt lgkmcnt(4)
	v_mul_f64 v[8:9], v[20:21], v[24:25]
	v_fma_f64 v[8:9], v[18:19], v[22:23], -v[8:9]
	v_mul_f64 v[18:19], v[18:19], v[24:25]
	v_fmac_f64_e32 v[18:19], v[20:21], v[22:23]
	v_add_f64 v[22:23], v[18:19], 0
	s_waitcnt lgkmcnt(0)
	v_mul_f64 v[18:19], v[28:29], v[52:53]
	v_fma_f64 v[24:25], v[26:27], v[50:51], -v[18:19]
	v_mul_f64 v[26:27], v[26:27], v[52:53]
	v_add_f64 v[8:9], v[8:9], 0
	ds_read_b128 v[18:21], v45 offset:528
	v_fmac_f64_e32 v[26:27], v[28:29], v[50:51]
	v_add_f64 v[8:9], v[8:9], v[24:25]
	v_add_f64 v[26:27], v[22:23], v[26:27]
	ds_read_b128 v[22:25], v45 offset:1056
	s_waitcnt lgkmcnt(1)
	v_mul_f64 v[28:29], v[32:33], v[20:21]
	v_mul_f64 v[20:21], v[30:31], v[20:21]
	v_fma_f64 v[28:29], v[30:31], v[18:19], -v[28:29]
	v_fmac_f64_e32 v[20:21], v[32:33], v[18:19]
	s_waitcnt lgkmcnt(0)
	v_mul_f64 v[18:19], v[48:49], v[24:25]
	v_mul_f64 v[24:25], v[46:47], v[24:25]
	v_add_f64 v[8:9], v[8:9], v[28:29]
	v_add_f64 v[20:21], v[26:27], v[20:21]
	v_fma_f64 v[18:19], v[46:47], v[22:23], -v[18:19]
	v_fmac_f64_e32 v[24:25], v[48:49], v[22:23]
	v_add_f64 v[18:19], v[8:9], v[18:19]
	v_add_f64 v[20:21], v[20:21], v[24:25]
	s_barrier
	ds_write_b128 v44, v[18:21]
	s_waitcnt lgkmcnt(0)
	s_barrier
	s_and_saveexec_b64 s[10:11], s[8:9]
	s_cbranch_execz .LBB52_91
; %bb.90:
	ds_read_b128 v[0:3], v43
	ds_read_b128 v[18:21], v43 offset:16
	ds_read_b128 v[22:25], v43 offset:32
	;; [unrolled: 1-line block ×3, first 2 shown]
	s_waitcnt lgkmcnt(2)
	v_add_f64 v[0:1], v[18:19], v[0:1]
	v_add_f64 v[8:9], v[20:21], v[2:3]
	s_waitcnt lgkmcnt(1)
	v_add_f64 v[18:19], v[0:1], v[22:23]
	ds_read_b128 v[0:3], v43 offset:64
	v_add_f64 v[8:9], v[8:9], v[24:25]
	s_waitcnt lgkmcnt(1)
	v_add_f64 v[22:23], v[18:19], v[26:27]
	ds_read_b128 v[18:21], v43 offset:80
	;; [unrolled: 4-line block ×3, first 2 shown]
	v_add_f64 v[8:9], v[8:9], v[2:3]
	ds_read_b128 v[0:3], v43 offset:112
	s_waitcnt lgkmcnt(2)
	v_add_f64 v[18:19], v[26:27], v[18:19]
	v_add_f64 v[8:9], v[8:9], v[20:21]
	s_waitcnt lgkmcnt(1)
	v_add_f64 v[18:19], v[18:19], v[22:23]
	v_add_f64 v[8:9], v[8:9], v[24:25]
	s_waitcnt lgkmcnt(0)
	v_add_f64 v[0:1], v[18:19], v[0:1]
	v_add_f64 v[2:3], v[8:9], v[2:3]
.LBB52_91:
	s_or_b64 exec, exec, s[10:11]
	v_add_co_u32_e32 v6, vcc, 0xfffffe00, v6
	v_addc_co_u32_e32 v7, vcc, -1, v7, vcc
	s_and_b64 vcc, exec, s[30:31]
	s_barrier
	s_cbranch_vccz .LBB52_124
; %bb.92:
	v_sub_co_u32_e32 v8, vcc, v6, v13
	s_ashr_i32 s21, s20, 31
	v_subbrev_co_u32_e32 v9, vcc, 0, v7, vcc
	s_lshl_b64 s[12:13], s[20:21], 4
	v_mov_b32_e32 v11, s13
	v_add_co_u32_e32 v8, vcc, s12, v8
	v_addc_co_u32_e32 v9, vcc, v9, v11, vcc
	v_add_co_u32_e32 v8, vcc, -16, v8
	v_addc_co_u32_e32 v9, vcc, -1, v9, vcc
	v_cmp_gt_i32_e32 vcc, s20, v4
	s_sub_i32 s16, s20, 32
	v_cndmask_b32_e32 v9, v9, v7, vcc
	v_cndmask_b32_e32 v8, v8, v6, vcc
	v_cmp_le_i32_e64 s[10:11], s16, v12
	v_add_lshl_u32 v18, v5, v4, 4
	s_and_saveexec_b64 s[14:15], s[10:11]
	s_xor_b64 s[10:11], exec, s[14:15]
	s_cbranch_execz .LBB52_94
; %bb.93:
	v_mov_b32_e32 v20, 0
	v_mov_b32_e32 v21, v20
	;; [unrolled: 1-line block ×4, first 2 shown]
	ds_write_b128 v18, v[20:23]
.LBB52_94:
	s_andn2_saveexec_b64 s[10:11], s[10:11]
	s_cbranch_execz .LBB52_96
; %bb.95:
	flat_load_dwordx4 v[20:23], v[8:9]
	s_waitcnt vmcnt(0) lgkmcnt(0)
	ds_write2_b64 v18, v[20:21], v[22:23] offset1:1
.LBB52_96:
	s_or_b64 exec, exec, s[10:11]
	v_add_u32_e32 v11, 8, v12
	v_cmp_le_i32_e64 s[10:11], s16, v11
	s_and_saveexec_b64 s[14:15], s[10:11]
	s_xor_b64 s[10:11], exec, s[14:15]
	s_cbranch_execz .LBB52_98
; %bb.97:
	v_mul_u32_u24_e32 v15, 33, v11
	v_mov_b32_e32 v20, 0
	v_add_lshl_u32 v15, v15, v4, 4
	v_mov_b32_e32 v21, v20
	v_mov_b32_e32 v22, v20
	;; [unrolled: 1-line block ×3, first 2 shown]
	ds_write_b128 v15, v[20:23]
.LBB52_98:
	s_andn2_saveexec_b64 s[14:15], s[10:11]
	s_cbranch_execz .LBB52_100
; %bb.99:
	s_lshl_b64 s[10:11], s[24:25], 7
	v_mov_b32_e32 v15, s11
	v_add_co_u32_e64 v20, s[10:11], s10, v8
	v_addc_co_u32_e64 v21, s[10:11], v9, v15, s[10:11]
	flat_load_dwordx4 v[20:23], v[20:21]
	v_add_u32_e32 v15, 0x1080, v18
	s_waitcnt vmcnt(0) lgkmcnt(0)
	ds_write2_b64 v15, v[20:21], v[22:23] offset1:1
.LBB52_100:
	s_or_b64 exec, exec, s[14:15]
	v_add_u32_e32 v15, 16, v12
	v_cmp_le_i32_e64 s[10:11], s16, v15
	s_and_saveexec_b64 s[14:15], s[10:11]
	s_xor_b64 s[10:11], exec, s[14:15]
	s_cbranch_execz .LBB52_102
; %bb.101:
	v_mov_b32_e32 v20, 0
	v_mov_b32_e32 v21, v20
	;; [unrolled: 1-line block ×4, first 2 shown]
	ds_write_b128 v18, v[20:23] offset:8448
.LBB52_102:
	s_andn2_saveexec_b64 s[14:15], s[10:11]
	s_cbranch_execz .LBB52_104
; %bb.103:
	s_lshl_b64 s[10:11], s[24:25], 8
	v_mov_b32_e32 v17, s11
	v_add_co_u32_e64 v20, s[10:11], s10, v8
	v_addc_co_u32_e64 v21, s[10:11], v9, v17, s[10:11]
	flat_load_dwordx4 v[20:23], v[20:21]
	v_add_u32_e32 v17, 0x2100, v18
	s_waitcnt vmcnt(0) lgkmcnt(0)
	ds_write2_b64 v17, v[20:21], v[22:23] offset1:1
.LBB52_104:
	s_or_b64 exec, exec, s[14:15]
	v_add_u32_e32 v17, 24, v12
	v_cmp_le_i32_e64 s[10:11], s16, v17
	s_and_saveexec_b64 s[14:15], s[10:11]
	s_xor_b64 s[10:11], exec, s[14:15]
	s_cbranch_execz .LBB52_106
; %bb.105:
	v_mov_b32_e32 v20, 0
	v_mov_b32_e32 v21, v20
	;; [unrolled: 1-line block ×4, first 2 shown]
	ds_write_b128 v18, v[20:23] offset:12672
                                        ; implicit-def: $vgpr18
.LBB52_106:
	s_andn2_saveexec_b64 s[10:11], s[10:11]
	s_cbranch_execz .LBB52_108
; %bb.107:
	v_mov_b32_e32 v19, 0x180
	v_mad_u64_u32 v[20:21], s[14:15], s24, v19, v[8:9]
	v_add_u32_e32 v21, s39, v21
	flat_load_dwordx4 v[20:23], v[20:21]
	v_add_u32_e32 v18, 0x3180, v18
	s_waitcnt vmcnt(0) lgkmcnt(0)
	ds_write2_b64 v18, v[20:21], v[22:23] offset1:1
.LBB52_108:
	s_or_b64 exec, exec, s[10:11]
	v_add_co_u32_e64 v8, s[10:11], v8, v13
	v_addc_co_u32_e64 v9, s[10:11], 0, v9, s[10:11]
	v_mov_b32_e32 v13, s13
	v_subrev_co_u32_e64 v8, s[10:11], s12, v8
	v_subb_co_u32_e64 v9, s[10:11], v9, v13, s[10:11]
	v_add_co_u32_e64 v8, s[10:11], 16, v8
	v_addc_co_u32_e64 v9, s[10:11], 0, v9, s[10:11]
	v_cndmask_b32_e32 v41, v9, v7, vcc
	v_cndmask_b32_e32 v40, v8, v6, vcc
	s_branch .LBB52_126
.LBB52_109:
	v_cmp_eq_u32_e32 vcc, v18, v4
	s_and_saveexec_b64 s[16:17], vcc
	s_cbranch_execz .LBB52_111
; %bb.110:
	v_mul_u32_u24_e32 v8, 34, v4
	v_lshlrev_b32_e32 v10, 4, v8
	v_mov_b32_e32 v8, 0
	v_mov_b32_e32 v9, v8
	ds_write_b64 v10, v[8:9] offset:8
.LBB52_111:
	s_or_b64 exec, exec, s[16:17]
	s_andn2_saveexec_b64 s[14:15], s[14:15]
	s_cbranch_execz .LBB52_82
.LBB52_112:
	ds_read_b128 v[8:11], v16
	s_waitcnt lgkmcnt(0)
	v_xor_b32_e32 v11, 0x80000000, v11
	ds_write_b128 v15, v[8:11]
	s_or_b64 exec, exec, s[14:15]
	s_and_saveexec_b64 s[14:15], s[8:9]
	s_xor_b64 s[8:9], exec, s[14:15]
	s_cbranch_execz .LBB52_83
.LBB52_113:
	ds_read_b128 v[8:11], v45
                                        ; implicit-def: $vgpr17
	s_waitcnt lgkmcnt(0)
	v_xor_b32_e32 v11, 0x80000000, v11
	ds_write_b128 v15, v[8:11] offset:16
	s_andn2_saveexec_b64 s[8:9], s[8:9]
	s_cbranch_execz .LBB52_84
.LBB52_114:
	v_cmp_eq_u32_e32 vcc, v17, v4
	s_and_saveexec_b64 s[14:15], vcc
	s_cbranch_execz .LBB52_116
; %bb.115:
	v_mul_u32_u24_e32 v8, 34, v4
	v_lshlrev_b32_e32 v10, 4, v8
	v_mov_b32_e32 v8, 0
	v_mov_b32_e32 v9, v8
	ds_write_b64 v10, v[8:9] offset:8
.LBB52_116:
	s_or_b64 exec, exec, s[14:15]
	s_or_b64 exec, exec, s[8:9]
	s_and_saveexec_b64 s[8:9], s[10:11]
	s_xor_b64 s[8:9], exec, s[8:9]
	s_cbranch_execz .LBB52_85
.LBB52_117:
	v_cmp_eq_u32_e32 vcc, v19, v4
	s_and_saveexec_b64 s[10:11], vcc
	s_cbranch_execz .LBB52_119
; %bb.118:
	v_mul_u32_u24_e32 v8, 34, v4
	v_lshlrev_b32_e32 v10, 4, v8
	v_mov_b32_e32 v8, 0
	v_mov_b32_e32 v9, v8
	ds_write_b64 v10, v[8:9] offset:8
.LBB52_119:
	s_or_b64 exec, exec, s[10:11]
	s_andn2_saveexec_b64 s[8:9], s[8:9]
	s_cbranch_execz .LBB52_86
.LBB52_120:
	ds_read_b128 v[8:11], v45 offset:528
	s_waitcnt lgkmcnt(0)
	v_xor_b32_e32 v11, 0x80000000, v11
	ds_write_b128 v15, v[8:11] offset:32
	s_or_b64 exec, exec, s[8:9]
	s_and_saveexec_b64 s[8:9], s[12:13]
	s_xor_b64 s[8:9], exec, s[8:9]
	s_cbranch_execz .LBB52_87
.LBB52_121:
	v_cmp_eq_u32_e32 vcc, v20, v4
	s_and_saveexec_b64 s[10:11], vcc
	s_cbranch_execz .LBB52_123
; %bb.122:
	v_mul_u32_u24_e32 v8, 34, v4
	v_lshlrev_b32_e32 v10, 4, v8
	v_mov_b32_e32 v8, 0
	v_mov_b32_e32 v9, v8
	ds_write_b64 v10, v[8:9] offset:8
.LBB52_123:
	s_or_b64 exec, exec, s[10:11]
                                        ; implicit-def: $vgpr15
	s_or_saveexec_b64 s[8:9], s[8:9]
	v_add_u32_e32 v10, 0x4700, v21
	s_xor_b64 exec, exec, s[8:9]
	s_cbranch_execnz .LBB52_88
	s_branch .LBB52_89
.LBB52_124:
                                        ; implicit-def: $vgpr40_vgpr41
                                        ; implicit-def: $vgpr11
                                        ; implicit-def: $vgpr15
                                        ; implicit-def: $vgpr17
	s_cbranch_execz .LBB52_126
; %bb.125:
	flat_load_dwordx4 v[18:21], v[6:7]
	s_lshl_b64 s[10:11], s[24:25], 7
	v_add_lshl_u32 v8, v5, v4, 4
	v_mov_b32_e32 v9, s11
	v_add_co_u32_e32 v4, vcc, s10, v6
	v_addc_co_u32_e32 v5, vcc, v7, v9, vcc
	v_add_u32_e32 v11, 0x1080, v8
	v_add_u32_e32 v15, 16, v12
	;; [unrolled: 1-line block ×3, first 2 shown]
	v_pk_mov_b32 v[40:41], v[6:7], v[6:7] op_sel:[0,1]
	s_waitcnt vmcnt(0) lgkmcnt(0)
	ds_write2_b64 v8, v[18:19], v[20:21] offset1:1
	flat_load_dwordx4 v[18:21], v[4:5]
	v_add_co_u32_e32 v4, vcc, s10, v4
	v_addc_co_u32_e32 v5, vcc, v5, v9, vcc
	v_add_u32_e32 v9, 0x2100, v8
	s_waitcnt vmcnt(0) lgkmcnt(0)
	ds_write2_b64 v11, v[18:19], v[20:21] offset1:1
	flat_load_dwordx4 v[18:21], v[4:5]
	v_mov_b32_e32 v4, 0x180
	v_mad_u64_u32 v[4:5], s[10:11], s24, v4, v[6:7]
	v_add_u32_e32 v5, s39, v5
	v_add_u32_e32 v11, 8, v12
	s_waitcnt vmcnt(0) lgkmcnt(0)
	ds_write2_b64 v9, v[18:19], v[20:21] offset1:1
	flat_load_dwordx4 v[18:21], v[4:5]
	v_add_u32_e32 v4, 0x3180, v8
	s_waitcnt vmcnt(0) lgkmcnt(0)
	ds_write2_b64 v4, v[18:19], v[20:21] offset1:1
.LBB52_126:
	v_lshlrev_b32_e32 v4, 4, v12
	s_waitcnt lgkmcnt(0)
	s_barrier
	ds_read_b128 v[46:49], v44
	ds_read_b128 v[50:53], v4 offset:18176
	v_add_lshl_u32 v4, v11, v14, 4
	v_lshlrev_b32_e32 v5, 4, v11
	ds_read_b128 v[54:57], v4
	ds_read_b128 v[58:61], v5 offset:18176
	s_waitcnt lgkmcnt(2)
	v_mul_f64 v[4:5], v[48:49], v[52:53]
	v_fmac_f64_e32 v[4:5], v[46:47], v[50:51]
	v_add_f64 v[4:5], v[4:5], 0
	s_waitcnt lgkmcnt(0)
	v_mul_f64 v[6:7], v[56:57], v[60:61]
	v_fmac_f64_e32 v[6:7], v[54:55], v[58:59]
	v_add_f64 v[4:5], v[4:5], v[6:7]
	v_add_lshl_u32 v6, v15, v14, 4
	v_mul_f64 v[70:71], v[48:49], v[50:51]
	v_mul_f64 v[72:73], v[56:57], v[58:59]
	v_lshlrev_b32_e32 v7, 4, v15
	ds_read_b128 v[48:51], v6
	ds_read_b128 v[56:59], v7 offset:18176
	v_add_lshl_u32 v6, v17, v14, 4
	v_lshlrev_b32_e32 v7, 4, v17
	ds_read_b128 v[62:65], v6
	ds_read_b128 v[66:69], v7 offset:18176
	v_fma_f64 v[46:47], v[46:47], v[52:53], -v[70:71]
	s_waitcnt lgkmcnt(2)
	v_mul_f64 v[6:7], v[50:51], v[58:59]
	v_fmac_f64_e32 v[6:7], v[48:49], v[56:57]
	v_add_f64 v[4:5], v[4:5], v[6:7]
	s_waitcnt lgkmcnt(0)
	v_mul_f64 v[6:7], v[64:65], v[68:69]
	v_fmac_f64_e32 v[6:7], v[62:63], v[66:67]
	v_mul_f64 v[56:57], v[50:51], v[56:57]
	v_add_f64 v[50:51], v[4:5], v[6:7]
	ds_read_b128 v[20:23], v10 offset:528
	ds_read_b128 v[12:15], v10 offset:544
	;; [unrolled: 1-line block ×3, first 2 shown]
	ds_read_b128 v[32:35], v16
	ds_read_b128 v[4:7], v10 offset:560
	ds_read_b128 v[24:27], v45
	ds_read_b128 v[16:19], v45 offset:528
	ds_read_b128 v[8:11], v45 offset:1056
	v_add_f64 v[46:47], v[46:47], 0
	v_fma_f64 v[52:53], v[54:55], v[60:61], -v[72:73]
	v_mul_f64 v[64:65], v[64:65], v[66:67]
	v_add_f64 v[46:47], v[46:47], v[52:53]
	v_fma_f64 v[48:49], v[48:49], v[58:59], -v[56:57]
	v_add_f64 v[46:47], v[46:47], v[48:49]
	v_fma_f64 v[48:49], v[62:63], v[68:69], -v[64:65]
	v_add_f64 v[52:53], v[46:47], v[48:49]
	s_waitcnt lgkmcnt(0)
	s_barrier
	ds_write_b128 v44, v[50:53]
	s_waitcnt lgkmcnt(0)
	s_barrier
	s_and_saveexec_b64 s[10:11], s[8:9]
	s_cbranch_execz .LBB52_128
; %bb.127:
	ds_read_b128 v[46:49], v43
	ds_read_b128 v[50:53], v43 offset:16
	ds_read_b128 v[54:57], v43 offset:32
	;; [unrolled: 1-line block ×3, first 2 shown]
	s_waitcnt lgkmcnt(3)
	v_add_f64 v[0:1], v[0:1], v[46:47]
	v_add_f64 v[2:3], v[2:3], v[48:49]
	s_waitcnt lgkmcnt(2)
	v_add_f64 v[0:1], v[0:1], v[50:51]
	v_add_f64 v[46:47], v[2:3], v[52:53]
	s_waitcnt lgkmcnt(1)
	v_add_f64 v[48:49], v[0:1], v[54:55]
	ds_read_b128 v[0:3], v43 offset:64
	v_add_f64 v[46:47], v[46:47], v[56:57]
	s_waitcnt lgkmcnt(1)
	v_add_f64 v[50:51], v[48:49], v[58:59]
	v_add_f64 v[54:55], v[46:47], v[60:61]
	ds_read_b128 v[46:49], v43 offset:80
	s_waitcnt lgkmcnt(1)
	v_add_f64 v[56:57], v[50:51], v[0:1]
	ds_read_b128 v[50:53], v43 offset:96
	v_add_f64 v[54:55], v[54:55], v[2:3]
	ds_read_b128 v[0:3], v43 offset:112
	s_waitcnt lgkmcnt(2)
	v_add_f64 v[46:47], v[56:57], v[46:47]
	v_add_f64 v[48:49], v[54:55], v[48:49]
	s_waitcnt lgkmcnt(1)
	v_add_f64 v[46:47], v[46:47], v[50:51]
	v_add_f64 v[48:49], v[48:49], v[52:53]
	;; [unrolled: 3-line block ×3, first 2 shown]
.LBB52_128:
	s_or_b64 exec, exec, s[10:11]
	v_mul_f64 v[46:47], v[30:31], v[34:35]
	v_fma_f64 v[46:47], v[28:29], v[32:33], -v[46:47]
	v_mul_f64 v[28:29], v[28:29], v[34:35]
	v_fmac_f64_e32 v[28:29], v[30:31], v[32:33]
	v_mul_f64 v[32:33], v[22:23], v[26:27]
	v_fma_f64 v[32:33], v[20:21], v[24:25], -v[32:33]
	v_mul_f64 v[20:21], v[20:21], v[26:27]
	v_fmac_f64_e32 v[20:21], v[22:23], v[24:25]
	v_mul_f64 v[24:25], v[14:15], v[18:19]
	v_add_f64 v[30:31], v[46:47], 0
	v_add_f64 v[28:29], v[28:29], 0
	v_fma_f64 v[24:25], v[12:13], v[16:17], -v[24:25]
	v_mul_f64 v[12:13], v[12:13], v[18:19]
	v_add_f64 v[22:23], v[30:31], v[32:33]
	v_add_f64 v[20:21], v[28:29], v[20:21]
	v_fmac_f64_e32 v[12:13], v[14:15], v[16:17]
	v_mul_f64 v[16:17], v[6:7], v[10:11]
	v_mul_f64 v[10:11], v[4:5], v[10:11]
	v_add_f64 v[14:15], v[22:23], v[24:25]
	v_add_f64 v[12:13], v[20:21], v[12:13]
	v_fma_f64 v[16:17], v[4:5], v[8:9], -v[16:17]
	v_fmac_f64_e32 v[10:11], v[6:7], v[8:9]
	v_add_f64 v[4:5], v[14:15], v[16:17]
	v_add_f64 v[6:7], v[12:13], v[10:11]
	s_barrier
	ds_write_b128 v44, v[4:7]
	s_waitcnt lgkmcnt(0)
	s_barrier
	s_and_saveexec_b64 s[8:9], s[2:3]
	s_cbranch_execz .LBB52_130
; %bb.129:
	ds_read_b128 v[4:7], v43
	ds_read_b128 v[8:11], v43 offset:16
	ds_read_b128 v[12:15], v43 offset:32
	ds_read_b128 v[16:19], v43 offset:48
	s_waitcnt lgkmcnt(3)
	v_add_f64 v[0:1], v[0:1], v[4:5]
	v_add_f64 v[2:3], v[2:3], v[6:7]
	s_waitcnt lgkmcnt(2)
	v_add_f64 v[0:1], v[0:1], v[8:9]
	v_add_f64 v[4:5], v[2:3], v[10:11]
	s_waitcnt lgkmcnt(1)
	v_add_f64 v[6:7], v[0:1], v[12:13]
	ds_read_b128 v[0:3], v43 offset:64
	v_add_f64 v[4:5], v[4:5], v[14:15]
	s_waitcnt lgkmcnt(1)
	v_add_f64 v[8:9], v[6:7], v[16:17]
	v_add_f64 v[12:13], v[4:5], v[18:19]
	ds_read_b128 v[4:7], v43 offset:80
	s_waitcnt lgkmcnt(1)
	v_add_f64 v[14:15], v[8:9], v[0:1]
	ds_read_b128 v[8:11], v43 offset:96
	v_add_f64 v[12:13], v[12:13], v[2:3]
	ds_read_b128 v[0:3], v43 offset:112
	s_waitcnt lgkmcnt(2)
	v_add_f64 v[4:5], v[14:15], v[4:5]
	v_add_f64 v[6:7], v[12:13], v[6:7]
	s_waitcnt lgkmcnt(1)
	v_add_f64 v[4:5], v[4:5], v[8:9]
	v_add_f64 v[6:7], v[6:7], v[10:11]
	s_waitcnt lgkmcnt(0)
	v_add_f64 v[0:1], v[4:5], v[0:1]
	v_add_f64 v[2:3], v[6:7], v[2:3]
.LBB52_130:
	s_or_b64 exec, exec, s[8:9]
	s_load_dwordx2 s[2:3], s[4:5], 0x78
	s_mul_hi_u32 s4, s33, s26
	s_mul_i32 s38, s38, s26
	s_add_i32 s4, s4, s38
	s_mul_i32 s8, s33, s26
	s_mul_i32 s4, s4, s7
	s_mul_hi_u32 s5, s8, s7
	s_add_i32 s5, s5, s4
	s_mul_i32 s4, s8, s7
	s_lshl_b64 s[4:5], s[4:5], 4
	s_waitcnt lgkmcnt(0)
	s_add_u32 s4, s2, s4
	s_addc_u32 s5, s3, s5
	s_mul_hi_i32 s3, s33, s6
	s_mul_i32 s2, s33, s6
	s_lshl_b64 s[2:3], s[2:3], 4
	s_add_u32 s21, s4, s2
	s_addc_u32 s26, s5, s3
	s_add_i32 s2, s6, 1
	s_cmp_ge_u32 s2, s7
	v_lshlrev_b32_e32 v168, 4, v201
	s_barrier
	s_cbranch_scc1 .LBB52_188
; %bb.131:
	s_mul_i32 s2, s28, s19
	s_mul_hi_u32 s3, s28, s18
	s_add_i32 s2, s3, s2
	s_mul_i32 s3, s29, s18
	s_add_i32 s3, s2, s3
	s_mul_i32 s2, s28, s18
	s_lshl_b64 s[2:3], s[2:3], 4
	v_mov_b32_e32 v4, s3
	v_subrev_co_u32_e32 v204, vcc, s2, v38
	v_and_b32_e32 v6, 48, v201
	v_subb_co_u32_e32 v205, vcc, v39, v4, vcc
	v_and_b32_e32 v4, 15, v201
	v_lshlrev_b32_e32 v7, 4, v6
	s_movk_i32 s4, 0x430
	v_lshrrev_b32_e32 v5, 4, v42
	v_mad_u32_u24 v208, v4, s4, v7
	v_or_b32_e32 v7, 0xf0, v168
	v_mad_u32_u24 v209, v4, s4, v7
	v_lshlrev_b32_e32 v7, 6, v5
	v_lshlrev_b32_e32 v10, 6, v202
	v_mad_u32_u24 v210, v4, s4, v7
	s_movk_i32 s4, 0x10c0
	v_mul_i32_i24_e32 v11, 0xffffffd0, v5
	v_add_u32_e32 v5, 0x220, v10
	v_mad_u32_u24 v215, v202, s4, v168
	v_or_b32_e32 v228, v6, v4
	v_mad_u64_u32 v[6:7], s[4:5], s24, v5, 0
	v_mov_b32_e32 v8, v7
	v_mad_u64_u32 v[8:9], s[4:5], s25, v5, v[8:9]
	v_mov_b32_e32 v5, v8
	v_sub_co_u32_e32 v6, vcc, v6, v36
	v_subb_co_u32_e32 v5, vcc, v5, v37, vcc
	v_add_co_u32_e32 v170, vcc, v40, v6
	v_addc_co_u32_e32 v169, vcc, v41, v5, vcc
	v_add_u32_e32 v5, 0x530, v10
	v_mad_u64_u32 v[6:7], s[4:5], s24, v5, 0
	v_mov_b32_e32 v8, v7
	v_mad_u64_u32 v[8:9], s[4:5], s25, v5, v[8:9]
	v_mov_b32_e32 v5, v8
	v_sub_co_u32_e32 v6, vcc, v6, v36
	v_subb_co_u32_e32 v5, vcc, v5, v37, vcc
	v_add_co_u32_e32 v172, vcc, v40, v6
	v_addc_co_u32_e32 v171, vcc, v41, v5, vcc
	v_add_u32_e32 v5, 0x210, v10
	;; [unrolled: 9-line block ×15, first 2 shown]
	v_mad_u64_u32 v[6:7], s[4:5], s24, v5, 0
	v_mov_b32_e32 v8, v7
	v_mad_u64_u32 v[8:9], s[4:5], s25, v5, v[8:9]
	v_mov_b32_e32 v5, v8
	v_sub_co_u32_e32 v6, vcc, v6, v36
	v_subb_co_u32_e32 v5, vcc, v5, v37, vcc
	v_lshlrev_b32_e32 v203, 2, v202
	v_add_co_u32_e32 v200, vcc, v40, v6
	s_add_i32 s29, s7, -2
	v_add_u32_e32 v206, 0x4300, v168
	v_add_u32_e32 v207, 0x4700, v168
	v_cmp_gt_u32_e64 s[2:3], 64, v42
	v_or_b32_e32 v211, 1, v203
	v_or_b32_e32 v212, 2, v203
	;; [unrolled: 1-line block ×3, first 2 shown]
	v_add_u32_e32 v214, 0x4300, v10
	v_add_u32_e32 v216, 16, v203
	;; [unrolled: 1-line block ×13, first 2 shown]
	s_add_i32 s28, s28, 64
	v_mov_b32_e32 v4, 0
	s_lshl_b64 s[10:11], s[24:25], 10
	v_addc_co_u32_e32 v199, vcc, v41, v5, vcc
	v_add_u32_e32 v229, v210, v11
	s_cmp_eq_u32 s29, s6
	s_cselect_b32 s24, s27, 0
	s_and_saveexec_b64 s[4:5], s[0:1]
	s_cbranch_execz .LBB52_136
.LBB52_132:
	s_cmp_lg_u32 s24, 0
	s_cselect_b64 s[8:9], -1, 0
	v_cmp_le_i32_e32 vcc, s24, v201
	s_and_b64 s[8:9], s[8:9], vcc
	s_and_saveexec_b64 s[12:13], s[8:9]
	s_xor_b64 s[8:9], exec, s[12:13]
	s_cbranch_execz .LBB52_134
; %bb.133:
	v_mov_b32_e32 v5, v4
	v_mov_b32_e32 v6, v4
	;; [unrolled: 1-line block ×3, first 2 shown]
	ds_write_b128 v206, v[4:7]
.LBB52_134:
	s_andn2_saveexec_b64 s[8:9], s[8:9]
	s_cbranch_execz .LBB52_136
; %bb.135:
	s_ashr_i32 s8, s28, 31
	s_mul_i32 s9, s28, s19
	s_mul_hi_u32 s12, s28, s18
	s_add_i32 s9, s12, s9
	s_mul_i32 s8, s8, s18
	s_add_i32 s9, s9, s8
	s_mul_i32 s8, s28, s18
	s_lshl_b64 s[8:9], s[8:9], 4
	v_mov_b32_e32 v5, s9
	v_add_co_u32_e32 v6, vcc, s8, v204
	v_addc_co_u32_e32 v7, vcc, v205, v5, vcc
	flat_load_dwordx4 v[6:9], v[6:7]
	s_waitcnt vmcnt(0) lgkmcnt(0)
	ds_write2_b64 v206, v[6:7], v[8:9] offset1:1
.LBB52_136:                             ; =>This Inner Loop Header: Depth=1
	s_or_b64 exec, exec, s[4:5]
	s_cmp_eq_u32 s24, 0
	v_add_co_u32_e32 v18, vcc, v178, v168
	s_cselect_b64 s[12:13], -1, 0
	s_cmp_lg_u32 s24, 0
	v_addc_co_u32_e32 v19, vcc, 0, v177, vcc
	s_cselect_b64 s[8:9], -1, 0
	s_and_b64 vcc, exec, s[8:9]
	s_waitcnt lgkmcnt(0)
	s_barrier
	s_cbranch_vccz .LBB52_144
; %bb.137:                              ;   in Loop: Header=BB52_136 Depth=1
	v_pk_mov_b32 v[10:11], 0, 0
	v_cmp_gt_i32_e32 vcc, s24, v203
	v_pk_mov_b32 v[6:7], v[10:11], v[10:11] op_sel:[0,1]
	v_pk_mov_b32 v[8:9], v[10:11], v[10:11] op_sel:[0,1]
	s_and_saveexec_b64 s[4:5], vcc
	s_cbranch_execz .LBB52_139
; %bb.138:                              ;   in Loop: Header=BB52_136 Depth=1
	flat_load_dwordx4 v[6:9], v[18:19]
.LBB52_139:                             ;   in Loop: Header=BB52_136 Depth=1
	s_or_b64 exec, exec, s[4:5]
	v_cmp_gt_i32_e32 vcc, s24, v211
	v_pk_mov_b32 v[12:13], v[10:11], v[10:11] op_sel:[0,1]
	s_and_saveexec_b64 s[4:5], vcc
	s_cbranch_execz .LBB52_141
; %bb.140:                              ;   in Loop: Header=BB52_136 Depth=1
	v_add_co_u32_e32 v10, vcc, v174, v168
	v_addc_co_u32_e32 v11, vcc, 0, v173, vcc
	flat_load_dwordx4 v[10:13], v[10:11]
.LBB52_141:                             ;   in Loop: Header=BB52_136 Depth=1
	s_or_b64 exec, exec, s[4:5]
	v_pk_mov_b32 v[14:15], 0, 0
	v_cmp_gt_i32_e32 vcc, s24, v212
	s_mov_b64 s[16:17], 0
	v_pk_mov_b32 v[16:17], v[14:15], v[14:15] op_sel:[0,1]
	s_and_saveexec_b64 s[4:5], vcc
	s_cbranch_execz .LBB52_143
; %bb.142:                              ;   in Loop: Header=BB52_136 Depth=1
	v_add_co_u32_e32 v14, vcc, v170, v168
	v_addc_co_u32_e32 v15, vcc, 0, v169, vcc
	flat_load_dwordx4 v[14:17], v[14:15]
.LBB52_143:                             ;   in Loop: Header=BB52_136 Depth=1
	s_or_b64 exec, exec, s[4:5]
	v_cmp_gt_i32_e64 s[4:5], s24, v213
	s_mov_b64 s[14:15], 0
	s_and_b64 vcc, exec, s[16:17]
	s_cbranch_vccnz .LBB52_145
	s_branch .LBB52_146
.LBB52_144:                             ;   in Loop: Header=BB52_136 Depth=1
	s_mov_b64 s[4:5], 0
                                        ; implicit-def: $sgpr14_sgpr15
                                        ; implicit-def: $vgpr16_vgpr17
                                        ; implicit-def: $vgpr12_vgpr13
                                        ; implicit-def: $vgpr8_vgpr9
	s_cbranch_execz .LBB52_146
.LBB52_145:                             ;   in Loop: Header=BB52_136 Depth=1
	s_waitcnt vmcnt(0) lgkmcnt(0)
	v_add_co_u32_e32 v10, vcc, v174, v168
	v_addc_co_u32_e32 v11, vcc, 0, v173, vcc
	v_add_co_u32_e32 v14, vcc, v170, v168
	v_addc_co_u32_e32 v15, vcc, 0, v169, vcc
	flat_load_dwordx4 v[6:9], v[18:19]
	s_or_b64 s[4:5], s[4:5], exec
	flat_load_dwordx4 v[10:13], v[10:11]
                                        ; implicit-def: $sgpr14_sgpr15
	s_nop 0
	flat_load_dwordx4 v[14:17], v[14:15]
.LBB52_146:                             ;   in Loop: Header=BB52_136 Depth=1
	v_pk_mov_b32 v[18:19], s[14:15], s[14:15] op_sel:[0,1]
	v_pk_mov_b32 v[20:21], s[14:15], s[14:15] op_sel:[0,1]
	s_and_saveexec_b64 s[14:15], s[4:5]
	s_cbranch_execz .LBB52_148
; %bb.147:                              ;   in Loop: Header=BB52_136 Depth=1
	v_add_co_u32_e32 v18, vcc, v182, v168
	v_addc_co_u32_e32 v19, vcc, 0, v181, vcc
	flat_load_dwordx4 v[18:21], v[18:19]
.LBB52_148:                             ;   in Loop: Header=BB52_136 Depth=1
	s_or_b64 exec, exec, s[14:15]
	ds_read_b128 v[34:37], v207
	ds_read_b128 v[22:25], v214
	v_cndmask_b32_e64 v5, 0, 1, s[8:9]
	s_andn2_b64 vcc, exec, s[8:9]
	v_add_co_u32_e64 v50, s[8:9], v194, v168
	s_waitcnt vmcnt(0) lgkmcnt(0)
	v_mul_f64 v[26:27], v[8:9], v[36:37]
	v_mul_f64 v[28:29], v[8:9], v[34:35]
	;; [unrolled: 1-line block ×3, first 2 shown]
	v_fmac_f64_e32 v[26:27], v[6:7], v[34:35]
	v_fma_f64 v[28:29], v[6:7], v[36:37], -v[28:29]
	v_mul_f64 v[32:33], v[12:13], v[34:35]
	ds_write_b128 v215, v[26:29]
	v_fmac_f64_e32 v[30:31], v[10:11], v[34:35]
	v_fma_f64 v[32:33], v[10:11], v[36:37], -v[32:33]
	v_mul_f64 v[38:39], v[16:17], v[36:37]
	v_mul_f64 v[40:41], v[16:17], v[34:35]
	;; [unrolled: 1-line block ×3, first 2 shown]
	ds_read_b128 v[26:29], v214 offset:16
	ds_write_b128 v215, v[30:33] offset:1072
	v_fmac_f64_e32 v[38:39], v[14:15], v[34:35]
	v_fma_f64 v[40:41], v[14:15], v[36:37], -v[40:41]
	v_fmac_f64_e32 v[42:43], v[18:19], v[34:35]
	v_mul_f64 v[34:35], v[20:21], v[34:35]
	ds_read_b128 v[30:33], v214 offset:32
	ds_write_b128 v215, v[38:41] offset:2144
	v_fma_f64 v[44:45], v[18:19], v[36:37], -v[34:35]
	ds_read_b128 v[38:41], v214 offset:48
	ds_write_b128 v215, v[42:45] offset:3216
	s_waitcnt lgkmcnt(0)
	s_barrier
	ds_read_b128 v[94:97], v210
	ds_read_b128 v[90:93], v210 offset:16
	ds_read_b128 v[86:89], v210 offset:32
	;; [unrolled: 1-line block ×3, first 2 shown]
	v_cmp_ne_u32_e64 s[4:5], 1, v5
	v_addc_co_u32_e64 v51, s[8:9], 0, v193, s[8:9]
	s_waitcnt lgkmcnt(0)
	s_barrier
	s_cbranch_vccnz .LBB52_156
; %bb.149:                              ;   in Loop: Header=BB52_136 Depth=1
	v_pk_mov_b32 v[42:43], 0, 0
	v_cmp_gt_i32_e32 vcc, s24, v216
	v_pk_mov_b32 v[34:35], v[42:43], v[42:43] op_sel:[0,1]
	v_pk_mov_b32 v[36:37], v[42:43], v[42:43] op_sel:[0,1]
	s_and_saveexec_b64 s[8:9], vcc
	s_cbranch_execz .LBB52_151
; %bb.150:                              ;   in Loop: Header=BB52_136 Depth=1
	flat_load_dwordx4 v[34:37], v[50:51]
.LBB52_151:                             ;   in Loop: Header=BB52_136 Depth=1
	s_or_b64 exec, exec, s[8:9]
	v_cmp_gt_i32_e32 vcc, s24, v217
	v_pk_mov_b32 v[44:45], v[42:43], v[42:43] op_sel:[0,1]
	s_and_saveexec_b64 s[8:9], vcc
	s_cbranch_execz .LBB52_153
; %bb.152:                              ;   in Loop: Header=BB52_136 Depth=1
	v_add_co_u32_e32 v42, vcc, v190, v168
	v_addc_co_u32_e32 v43, vcc, 0, v189, vcc
	flat_load_dwordx4 v[42:45], v[42:43]
.LBB52_153:                             ;   in Loop: Header=BB52_136 Depth=1
	s_or_b64 exec, exec, s[8:9]
	v_pk_mov_b32 v[46:47], 0, 0
	v_cmp_gt_i32_e32 vcc, s24, v218
	s_mov_b64 s[16:17], 0
	v_pk_mov_b32 v[48:49], v[46:47], v[46:47] op_sel:[0,1]
	s_and_saveexec_b64 s[8:9], vcc
	s_cbranch_execz .LBB52_155
; %bb.154:                              ;   in Loop: Header=BB52_136 Depth=1
	v_add_co_u32_e32 v46, vcc, v184, v168
	v_addc_co_u32_e32 v47, vcc, 0, v183, vcc
	flat_load_dwordx4 v[46:49], v[46:47]
.LBB52_155:                             ;   in Loop: Header=BB52_136 Depth=1
	s_or_b64 exec, exec, s[8:9]
	v_cmp_gt_i32_e64 s[8:9], s24, v219
	s_mov_b64 s[14:15], 0
	s_and_b64 vcc, exec, s[16:17]
	s_cbranch_vccnz .LBB52_157
	s_branch .LBB52_158
.LBB52_156:                             ;   in Loop: Header=BB52_136 Depth=1
	s_mov_b64 s[8:9], 0
                                        ; implicit-def: $sgpr14_sgpr15
                                        ; implicit-def: $vgpr48_vgpr49
                                        ; implicit-def: $vgpr44_vgpr45
                                        ; implicit-def: $vgpr36_vgpr37
	s_cbranch_execz .LBB52_158
.LBB52_157:                             ;   in Loop: Header=BB52_136 Depth=1
	s_waitcnt vmcnt(0) lgkmcnt(0)
	v_add_co_u32_e32 v42, vcc, v190, v168
	v_addc_co_u32_e32 v43, vcc, 0, v189, vcc
	v_add_co_u32_e32 v46, vcc, v184, v168
	v_addc_co_u32_e32 v47, vcc, 0, v183, vcc
	flat_load_dwordx4 v[34:37], v[50:51]
	s_or_b64 s[8:9], s[8:9], exec
	flat_load_dwordx4 v[42:45], v[42:43]
                                        ; implicit-def: $sgpr14_sgpr15
	s_nop 0
	flat_load_dwordx4 v[46:49], v[46:47]
.LBB52_158:                             ;   in Loop: Header=BB52_136 Depth=1
	v_pk_mov_b32 v[50:51], s[14:15], s[14:15] op_sel:[0,1]
	v_pk_mov_b32 v[52:53], s[14:15], s[14:15] op_sel:[0,1]
	s_and_saveexec_b64 s[14:15], s[8:9]
	s_cbranch_execz .LBB52_160
; %bb.159:                              ;   in Loop: Header=BB52_136 Depth=1
	v_add_co_u32_e32 v50, vcc, v198, v168
	v_addc_co_u32_e32 v51, vcc, 0, v197, vcc
	flat_load_dwordx4 v[50:53], v[50:51]
.LBB52_160:                             ;   in Loop: Header=BB52_136 Depth=1
	s_or_b64 exec, exec, s[14:15]
	ds_read_b128 v[66:69], v207
	ds_read_b128 v[54:57], v214 offset:256
	v_add_co_u32_e64 v98, s[8:9], v192, v168
	s_and_b64 vcc, exec, s[4:5]
	s_waitcnt vmcnt(0) lgkmcnt(0)
	v_mul_f64 v[58:59], v[36:37], v[68:69]
	v_mul_f64 v[60:61], v[36:37], v[66:67]
	;; [unrolled: 1-line block ×3, first 2 shown]
	v_fmac_f64_e32 v[58:59], v[34:35], v[66:67]
	v_fma_f64 v[60:61], v[34:35], v[68:69], -v[60:61]
	v_mul_f64 v[64:65], v[44:45], v[66:67]
	ds_write_b128 v215, v[58:61]
	v_fmac_f64_e32 v[62:63], v[42:43], v[66:67]
	v_fma_f64 v[64:65], v[42:43], v[68:69], -v[64:65]
	v_mul_f64 v[70:71], v[48:49], v[68:69]
	v_mul_f64 v[72:73], v[48:49], v[66:67]
	;; [unrolled: 1-line block ×3, first 2 shown]
	ds_read_b128 v[58:61], v214 offset:272
	ds_write_b128 v215, v[62:65] offset:1072
	v_fmac_f64_e32 v[70:71], v[46:47], v[66:67]
	v_fma_f64 v[72:73], v[46:47], v[68:69], -v[72:73]
	v_fmac_f64_e32 v[74:75], v[50:51], v[66:67]
	v_mul_f64 v[66:67], v[52:53], v[66:67]
	ds_read_b128 v[62:65], v214 offset:288
	ds_write_b128 v215, v[70:73] offset:2144
	v_fma_f64 v[76:77], v[50:51], v[68:69], -v[66:67]
	ds_read_b128 v[70:73], v214 offset:304
	ds_write_b128 v215, v[74:77] offset:3216
	s_waitcnt lgkmcnt(0)
	s_barrier
	ds_read_b128 v[146:149], v210
	ds_read_b128 v[142:145], v210 offset:16
	ds_read_b128 v[138:141], v210 offset:32
	;; [unrolled: 1-line block ×3, first 2 shown]
	v_addc_co_u32_e64 v99, s[8:9], 0, v191, s[8:9]
	s_waitcnt lgkmcnt(0)
	s_barrier
	s_cbranch_vccnz .LBB52_168
; %bb.161:                              ;   in Loop: Header=BB52_136 Depth=1
	v_pk_mov_b32 v[74:75], 0, 0
	v_cmp_gt_i32_e32 vcc, s24, v220
	v_pk_mov_b32 v[66:67], v[74:75], v[74:75] op_sel:[0,1]
	v_pk_mov_b32 v[68:69], v[74:75], v[74:75] op_sel:[0,1]
	s_and_saveexec_b64 s[8:9], vcc
	s_cbranch_execz .LBB52_163
; %bb.162:                              ;   in Loop: Header=BB52_136 Depth=1
	flat_load_dwordx4 v[66:69], v[98:99]
.LBB52_163:                             ;   in Loop: Header=BB52_136 Depth=1
	s_or_b64 exec, exec, s[8:9]
	v_cmp_gt_i32_e32 vcc, s24, v221
	v_pk_mov_b32 v[76:77], v[74:75], v[74:75] op_sel:[0,1]
	s_and_saveexec_b64 s[8:9], vcc
	s_cbranch_execz .LBB52_165
; %bb.164:                              ;   in Loop: Header=BB52_136 Depth=1
	v_add_co_u32_e32 v74, vcc, v196, v168
	v_addc_co_u32_e32 v75, vcc, 0, v195, vcc
	flat_load_dwordx4 v[74:77], v[74:75]
.LBB52_165:                             ;   in Loop: Header=BB52_136 Depth=1
	s_or_b64 exec, exec, s[8:9]
	v_pk_mov_b32 v[78:79], 0, 0
	v_cmp_gt_i32_e32 vcc, s24, v222
	s_mov_b64 s[16:17], 0
	v_pk_mov_b32 v[80:81], v[78:79], v[78:79] op_sel:[0,1]
	s_and_saveexec_b64 s[8:9], vcc
	s_cbranch_execz .LBB52_167
; %bb.166:                              ;   in Loop: Header=BB52_136 Depth=1
	v_add_co_u32_e32 v78, vcc, v200, v168
	v_addc_co_u32_e32 v79, vcc, 0, v199, vcc
	flat_load_dwordx4 v[78:81], v[78:79]
.LBB52_167:                             ;   in Loop: Header=BB52_136 Depth=1
	s_or_b64 exec, exec, s[8:9]
	v_cmp_gt_i32_e64 s[8:9], s24, v223
	s_mov_b64 s[14:15], 0
	s_and_b64 vcc, exec, s[16:17]
	s_cbranch_vccnz .LBB52_169
	s_branch .LBB52_170
.LBB52_168:                             ;   in Loop: Header=BB52_136 Depth=1
	s_mov_b64 s[8:9], 0
                                        ; implicit-def: $sgpr14_sgpr15
                                        ; implicit-def: $vgpr80_vgpr81
                                        ; implicit-def: $vgpr76_vgpr77
                                        ; implicit-def: $vgpr68_vgpr69
	s_cbranch_execz .LBB52_170
.LBB52_169:                             ;   in Loop: Header=BB52_136 Depth=1
	s_waitcnt vmcnt(0) lgkmcnt(0)
	v_add_co_u32_e32 v74, vcc, v196, v168
	v_addc_co_u32_e32 v75, vcc, 0, v195, vcc
	v_add_co_u32_e32 v78, vcc, v200, v168
	v_addc_co_u32_e32 v79, vcc, 0, v199, vcc
	flat_load_dwordx4 v[66:69], v[98:99]
	s_or_b64 s[8:9], s[8:9], exec
	flat_load_dwordx4 v[74:77], v[74:75]
                                        ; implicit-def: $sgpr14_sgpr15
	s_nop 0
	flat_load_dwordx4 v[78:81], v[78:79]
.LBB52_170:                             ;   in Loop: Header=BB52_136 Depth=1
	v_pk_mov_b32 v[98:99], s[14:15], s[14:15] op_sel:[0,1]
	v_pk_mov_b32 v[100:101], s[14:15], s[14:15] op_sel:[0,1]
	s_and_saveexec_b64 s[14:15], s[8:9]
	s_cbranch_execz .LBB52_172
; %bb.171:                              ;   in Loop: Header=BB52_136 Depth=1
	v_add_co_u32_e32 v98, vcc, v188, v168
	v_addc_co_u32_e32 v99, vcc, 0, v187, vcc
	flat_load_dwordx4 v[98:101], v[98:99]
.LBB52_172:                             ;   in Loop: Header=BB52_136 Depth=1
	s_or_b64 exec, exec, s[14:15]
	ds_read_b128 v[114:117], v207
	ds_read_b128 v[102:105], v214 offset:512
	s_and_b64 vcc, exec, s[4:5]
	v_add_co_u32_e64 v130, s[4:5], v176, v168
	s_waitcnt vmcnt(0) lgkmcnt(0)
	v_mul_f64 v[106:107], v[68:69], v[116:117]
	v_mul_f64 v[108:109], v[68:69], v[114:115]
	;; [unrolled: 1-line block ×3, first 2 shown]
	v_fmac_f64_e32 v[106:107], v[66:67], v[114:115]
	v_fma_f64 v[108:109], v[66:67], v[116:117], -v[108:109]
	v_mul_f64 v[112:113], v[76:77], v[114:115]
	ds_write_b128 v215, v[106:109]
	v_fmac_f64_e32 v[110:111], v[74:75], v[114:115]
	v_fma_f64 v[112:113], v[74:75], v[116:117], -v[112:113]
	v_mul_f64 v[118:119], v[80:81], v[116:117]
	v_mul_f64 v[120:121], v[80:81], v[114:115]
	;; [unrolled: 1-line block ×3, first 2 shown]
	ds_read_b128 v[106:109], v214 offset:528
	ds_write_b128 v215, v[110:113] offset:1072
	v_fmac_f64_e32 v[118:119], v[78:79], v[114:115]
	v_fma_f64 v[120:121], v[78:79], v[116:117], -v[120:121]
	v_fmac_f64_e32 v[122:123], v[98:99], v[114:115]
	v_mul_f64 v[114:115], v[100:101], v[114:115]
	ds_read_b128 v[110:113], v214 offset:544
	ds_write_b128 v215, v[118:121] offset:2144
	v_fma_f64 v[124:125], v[98:99], v[116:117], -v[114:115]
	ds_read_b128 v[118:121], v214 offset:560
	ds_write_b128 v215, v[122:125] offset:3216
	s_waitcnt lgkmcnt(0)
	s_barrier
	ds_read_b128 v[162:165], v210
	ds_read_b128 v[158:161], v210 offset:16
	ds_read_b128 v[154:157], v210 offset:32
	;; [unrolled: 1-line block ×3, first 2 shown]
	v_addc_co_u32_e64 v131, s[4:5], 0, v175, s[4:5]
	s_waitcnt lgkmcnt(0)
	s_barrier
	s_cbranch_vccnz .LBB52_180
; %bb.173:                              ;   in Loop: Header=BB52_136 Depth=1
	v_pk_mov_b32 v[122:123], 0, 0
	v_cmp_gt_i32_e32 vcc, s24, v224
	v_pk_mov_b32 v[114:115], v[122:123], v[122:123] op_sel:[0,1]
	v_pk_mov_b32 v[116:117], v[122:123], v[122:123] op_sel:[0,1]
	s_and_saveexec_b64 s[4:5], vcc
	s_cbranch_execz .LBB52_175
; %bb.174:                              ;   in Loop: Header=BB52_136 Depth=1
	flat_load_dwordx4 v[114:117], v[130:131]
.LBB52_175:                             ;   in Loop: Header=BB52_136 Depth=1
	s_or_b64 exec, exec, s[4:5]
	v_cmp_gt_i32_e32 vcc, s24, v225
	v_pk_mov_b32 v[124:125], v[122:123], v[122:123] op_sel:[0,1]
	s_and_saveexec_b64 s[4:5], vcc
	s_cbranch_execz .LBB52_177
; %bb.176:                              ;   in Loop: Header=BB52_136 Depth=1
	v_add_co_u32_e32 v122, vcc, v180, v168
	v_addc_co_u32_e32 v123, vcc, 0, v179, vcc
	flat_load_dwordx4 v[122:125], v[122:123]
.LBB52_177:                             ;   in Loop: Header=BB52_136 Depth=1
	s_or_b64 exec, exec, s[4:5]
	v_pk_mov_b32 v[126:127], 0, 0
	v_cmp_gt_i32_e32 vcc, s24, v226
	s_mov_b64 s[14:15], 0
	v_pk_mov_b32 v[128:129], v[126:127], v[126:127] op_sel:[0,1]
	s_and_saveexec_b64 s[4:5], vcc
	s_cbranch_execz .LBB52_179
; %bb.178:                              ;   in Loop: Header=BB52_136 Depth=1
	v_add_co_u32_e32 v126, vcc, v186, v168
	v_addc_co_u32_e32 v127, vcc, 0, v185, vcc
	flat_load_dwordx4 v[126:129], v[126:127]
.LBB52_179:                             ;   in Loop: Header=BB52_136 Depth=1
	s_or_b64 exec, exec, s[4:5]
	v_cmp_gt_i32_e64 s[4:5], s24, v227
	s_mov_b64 s[8:9], 0
	s_and_b64 vcc, exec, s[14:15]
	s_cbranch_vccnz .LBB52_181
	s_branch .LBB52_182
.LBB52_180:                             ;   in Loop: Header=BB52_136 Depth=1
	s_mov_b64 s[4:5], 0
                                        ; implicit-def: $sgpr8_sgpr9
                                        ; implicit-def: $vgpr128_vgpr129
                                        ; implicit-def: $vgpr124_vgpr125
                                        ; implicit-def: $vgpr116_vgpr117
	s_cbranch_execz .LBB52_182
.LBB52_181:                             ;   in Loop: Header=BB52_136 Depth=1
	s_waitcnt vmcnt(0) lgkmcnt(0)
	v_add_co_u32_e32 v122, vcc, v180, v168
	v_addc_co_u32_e32 v123, vcc, 0, v179, vcc
	v_add_co_u32_e32 v126, vcc, v186, v168
	v_addc_co_u32_e32 v127, vcc, 0, v185, vcc
	flat_load_dwordx4 v[114:117], v[130:131]
	s_or_b64 s[4:5], s[4:5], exec
	flat_load_dwordx4 v[122:125], v[122:123]
                                        ; implicit-def: $sgpr8_sgpr9
	s_nop 0
	flat_load_dwordx4 v[126:129], v[126:127]
.LBB52_182:                             ;   in Loop: Header=BB52_136 Depth=1
	v_pk_mov_b32 v[130:131], s[8:9], s[8:9] op_sel:[0,1]
	v_pk_mov_b32 v[132:133], s[8:9], s[8:9] op_sel:[0,1]
	s_and_saveexec_b64 s[8:9], s[4:5]
	s_cbranch_execz .LBB52_184
; %bb.183:                              ;   in Loop: Header=BB52_136 Depth=1
	v_add_co_u32_e32 v130, vcc, v172, v168
	v_addc_co_u32_e32 v131, vcc, 0, v171, vcc
	flat_load_dwordx4 v[130:133], v[130:131]
.LBB52_184:                             ;   in Loop: Header=BB52_136 Depth=1
	s_or_b64 exec, exec, s[8:9]
	v_add_f64 v[146:147], v[146:147], 0
	v_add_f64 v[148:149], v[148:149], 0
	;; [unrolled: 1-line block ×6, first 2 shown]
	ds_read_b128 v[142:145], v207
	v_add_f64 v[162:163], v[162:163], 0
	v_add_f64 v[94:95], v[94:95], 0
	;; [unrolled: 1-line block ×11, first 2 shown]
	ds_read_b128 v[86:89], v214 offset:768
	s_waitcnt vmcnt(0) lgkmcnt(0)
	v_mul_f64 v[90:91], v[116:117], v[144:145]
	v_mul_f64 v[92:93], v[116:117], v[142:143]
	v_fmac_f64_e32 v[90:91], v[114:115], v[142:143]
	v_fma_f64 v[92:93], v[114:115], v[144:145], -v[92:93]
	v_mul_f64 v[94:95], v[124:125], v[144:145]
	v_mul_f64 v[96:97], v[124:125], v[142:143]
	v_add_f64 v[138:139], v[138:139], v[134:135]
	v_add_f64 v[140:141], v[140:141], v[136:137]
	ds_write_b128 v215, v[90:93]
	v_fmac_f64_e32 v[94:95], v[122:123], v[142:143]
	v_fma_f64 v[96:97], v[122:123], v[144:145], -v[96:97]
	v_mul_f64 v[134:135], v[128:129], v[144:145]
	v_mul_f64 v[136:137], v[128:129], v[142:143]
	;; [unrolled: 1-line block ×3, first 2 shown]
	ds_read_b128 v[90:93], v214 offset:784
	ds_write_b128 v215, v[94:97] offset:1072
	v_fmac_f64_e32 v[134:135], v[126:127], v[142:143]
	v_fma_f64 v[136:137], v[126:127], v[144:145], -v[136:137]
	v_fmac_f64_e32 v[146:147], v[130:131], v[142:143]
	v_mul_f64 v[142:143], v[132:133], v[142:143]
	ds_read_b128 v[94:97], v214 offset:800
	ds_write_b128 v215, v[134:137] offset:2144
	v_fma_f64 v[148:149], v[130:131], v[144:145], -v[142:143]
	v_add_f64 v[164:165], v[164:165], 0
	ds_read_b128 v[134:137], v214 offset:816
	ds_write_b128 v215, v[146:149] offset:3216
	s_waitcnt lgkmcnt(0)
	s_barrier
	ds_read_b128 v[142:145], v210
	v_add_f64 v[160:161], v[164:165], v[160:161]
	v_add_f64 v[156:157], v[160:161], v[156:157]
	;; [unrolled: 1-line block ×4, first 2 shown]
	ds_read_b128 v[146:149], v210 offset:16
	ds_read_b128 v[154:157], v210 offset:32
	;; [unrolled: 1-line block ×3, first 2 shown]
	s_waitcnt lgkmcnt(3)
	v_add_f64 v[142:143], v[142:143], 0
	v_add_f64 v[144:145], v[144:145], 0
	v_cmp_gt_i32_e32 vcc, s24, v201
	s_waitcnt lgkmcnt(2)
	v_add_f64 v[142:143], v[142:143], v[146:147]
	v_add_f64 v[144:145], v[144:145], v[148:149]
	s_or_b64 s[4:5], s[12:13], vcc
	s_waitcnt lgkmcnt(1)
	v_add_f64 v[142:143], v[142:143], v[154:155]
	v_add_f64 v[144:145], v[144:145], v[156:157]
	s_and_b64 s[8:9], s[2:3], s[4:5]
	s_waitcnt lgkmcnt(0)
	v_add_f64 v[142:143], v[142:143], v[158:159]
	v_add_f64 v[144:145], v[144:145], v[160:161]
	s_barrier
	ds_write_b128 v229, v[82:85]
	ds_write_b128 v229, v[138:141] offset:256
	ds_write_b128 v229, v[150:153] offset:512
	;; [unrolled: 1-line block ×3, first 2 shown]
	s_waitcnt lgkmcnt(0)
	s_barrier
	s_and_saveexec_b64 s[4:5], s[8:9]
	s_cbranch_execz .LBB52_186
; %bb.185:                              ;   in Loop: Header=BB52_136 Depth=1
	ds_read_b128 v[82:85], v208
	ds_read_b128 v[138:141], v208 offset:16
	ds_read_b128 v[142:145], v208 offset:32
	;; [unrolled: 1-line block ×3, first 2 shown]
	v_mov_b32_e32 v5, s26
	s_waitcnt lgkmcnt(2)
	v_add_f64 v[82:83], v[138:139], v[82:83]
	v_add_f64 v[138:139], v[140:141], v[84:85]
	s_waitcnt lgkmcnt(1)
	v_add_f64 v[140:141], v[82:83], v[142:143]
	ds_read_b128 v[82:85], v208 offset:64
	v_add_f64 v[142:143], v[138:139], v[144:145]
	s_waitcnt lgkmcnt(1)
	v_add_f64 v[144:145], v[140:141], v[146:147]
	ds_read_b128 v[138:141], v208 offset:80
	;; [unrolled: 4-line block ×9, first 2 shown]
	v_add_f64 v[84:85], v[146:147], v[84:85]
	s_waitcnt lgkmcnt(1)
	v_add_f64 v[138:139], v[82:83], v[138:139]
	v_add_f64 v[146:147], v[84:85], v[140:141]
	ds_read_b128 v[82:85], v208 offset:208
	s_waitcnt lgkmcnt(1)
	v_add_f64 v[148:149], v[138:139], v[142:143]
	ds_read_b128 v[138:141], v208 offset:224
	v_add_f64 v[146:147], v[146:147], v[144:145]
	ds_read_b128 v[142:145], v209
	s_waitcnt lgkmcnt(2)
	v_add_f64 v[82:83], v[148:149], v[82:83]
	v_add_f64 v[84:85], v[146:147], v[84:85]
	s_waitcnt lgkmcnt(1)
	v_add_f64 v[82:83], v[82:83], v[138:139]
	v_add_u32_e32 v138, s28, v228
	v_ashrrev_i32_e32 v139, 31, v138
	v_lshlrev_b64 v[138:139], 4, v[138:139]
	v_add_f64 v[84:85], v[84:85], v[140:141]
	v_add_co_u32_e32 v138, vcc, s21, v138
	s_waitcnt lgkmcnt(0)
	v_add_f64 v[82:83], v[82:83], v[142:143]
	v_add_f64 v[84:85], v[84:85], v[144:145]
	v_addc_co_u32_e32 v139, vcc, v5, v139, vcc
	global_store_dwordx4 v[138:139], v[82:85], off
.LBB52_186:                             ;   in Loop: Header=BB52_136 Depth=1
	s_or_b64 exec, exec, s[4:5]
	v_mov_b32_e32 v5, s11
	v_add_co_u32_e32 v170, vcc, s10, v170
	v_mul_f64 v[82:83], v[8:9], v[24:25]
	v_addc_co_u32_e32 v169, vcc, v169, v5, vcc
	v_fma_f64 v[82:83], v[6:7], v[22:23], -v[82:83]
	v_mul_f64 v[6:7], v[6:7], v[24:25]
	v_mul_f64 v[24:25], v[12:13], v[28:29]
	v_add_co_u32_e32 v172, vcc, s10, v172
	v_add_f64 v[0:1], v[0:1], v[82:83]
	v_fma_f64 v[24:25], v[10:11], v[26:27], -v[24:25]
	v_addc_co_u32_e32 v171, vcc, v171, v5, vcc
	v_add_f64 v[0:1], v[0:1], v[24:25]
	v_mul_f64 v[24:25], v[16:17], v[32:33]
	v_add_co_u32_e32 v174, vcc, s10, v174
	v_fma_f64 v[24:25], v[14:15], v[30:31], -v[24:25]
	v_addc_co_u32_e32 v173, vcc, v173, v5, vcc
	v_add_f64 v[0:1], v[0:1], v[24:25]
	v_mul_f64 v[24:25], v[20:21], v[40:41]
	v_fmac_f64_e32 v[6:7], v[8:9], v[22:23]
	v_add_co_u32_e32 v176, vcc, s10, v176
	v_fma_f64 v[24:25], v[18:19], v[38:39], -v[24:25]
	v_add_f64 v[2:3], v[2:3], v[6:7]
	v_mul_f64 v[6:7], v[36:37], v[56:57]
	v_addc_co_u32_e32 v175, vcc, v175, v5, vcc
	v_add_f64 v[0:1], v[0:1], v[24:25]
	v_fma_f64 v[6:7], v[34:35], v[54:55], -v[6:7]
	v_add_co_u32_e32 v178, vcc, s10, v178
	v_add_f64 v[0:1], v[0:1], v[6:7]
	v_mul_f64 v[6:7], v[44:45], v[60:61]
	v_addc_co_u32_e32 v177, vcc, v177, v5, vcc
	v_fma_f64 v[6:7], v[42:43], v[58:59], -v[6:7]
	v_add_co_u32_e32 v180, vcc, s10, v180
	v_add_f64 v[0:1], v[0:1], v[6:7]
	v_mul_f64 v[6:7], v[48:49], v[64:65]
	v_addc_co_u32_e32 v179, vcc, v179, v5, vcc
	;; [unrolled: 5-line block ×3, first 2 shown]
	v_fma_f64 v[6:7], v[50:51], v[70:71], -v[6:7]
	v_add_co_u32_e32 v184, vcc, s10, v184
	v_mul_f64 v[10:11], v[10:11], v[28:29]
	v_add_f64 v[0:1], v[0:1], v[6:7]
	v_mul_f64 v[6:7], v[68:69], v[104:105]
	v_addc_co_u32_e32 v183, vcc, v183, v5, vcc
	v_mul_f64 v[14:15], v[14:15], v[32:33]
	v_fmac_f64_e32 v[10:11], v[12:13], v[26:27]
	v_fma_f64 v[6:7], v[66:67], v[102:103], -v[6:7]
	v_add_co_u32_e32 v186, vcc, s10, v186
	v_mul_f64 v[18:19], v[18:19], v[40:41]
	v_add_f64 v[2:3], v[2:3], v[10:11]
	v_fmac_f64_e32 v[14:15], v[16:17], v[30:31]
	v_add_f64 v[0:1], v[0:1], v[6:7]
	v_mul_f64 v[6:7], v[76:77], v[108:109]
	v_addc_co_u32_e32 v185, vcc, v185, v5, vcc
	v_add_f64 v[2:3], v[2:3], v[14:15]
	v_fmac_f64_e32 v[18:19], v[20:21], v[38:39]
	v_mul_f64 v[8:9], v[34:35], v[56:57]
	v_fma_f64 v[6:7], v[74:75], v[106:107], -v[6:7]
	v_add_co_u32_e32 v188, vcc, s10, v188
	v_add_f64 v[2:3], v[2:3], v[18:19]
	v_mul_f64 v[10:11], v[42:43], v[60:61]
	v_fmac_f64_e32 v[8:9], v[36:37], v[54:55]
	v_add_f64 v[0:1], v[0:1], v[6:7]
	v_mul_f64 v[6:7], v[80:81], v[112:113]
	v_addc_co_u32_e32 v187, vcc, v187, v5, vcc
	v_mul_f64 v[12:13], v[46:47], v[64:65]
	v_add_f64 v[2:3], v[2:3], v[8:9]
	v_fmac_f64_e32 v[10:11], v[44:45], v[58:59]
	v_fma_f64 v[6:7], v[78:79], v[110:111], -v[6:7]
	v_add_co_u32_e32 v190, vcc, s10, v190
	v_mul_f64 v[14:15], v[50:51], v[72:73]
	v_add_f64 v[2:3], v[2:3], v[10:11]
	v_fmac_f64_e32 v[12:13], v[48:49], v[62:63]
	v_add_f64 v[0:1], v[0:1], v[6:7]
	v_mul_f64 v[6:7], v[100:101], v[120:121]
	v_addc_co_u32_e32 v189, vcc, v189, v5, vcc
	v_add_f64 v[2:3], v[2:3], v[12:13]
	v_fmac_f64_e32 v[14:15], v[52:53], v[70:71]
	v_mul_f64 v[8:9], v[66:67], v[104:105]
	v_fma_f64 v[6:7], v[98:99], v[118:119], -v[6:7]
	v_add_co_u32_e32 v192, vcc, s10, v192
	v_add_f64 v[2:3], v[2:3], v[14:15]
	v_mul_f64 v[10:11], v[74:75], v[108:109]
	v_add_f64 v[0:1], v[0:1], v[6:7]
	v_fmac_f64_e32 v[8:9], v[68:69], v[102:103]
	v_mul_f64 v[6:7], v[116:117], v[88:89]
	v_addc_co_u32_e32 v191, vcc, v191, v5, vcc
	v_mul_f64 v[12:13], v[78:79], v[112:113]
	v_add_f64 v[2:3], v[2:3], v[8:9]
	v_fmac_f64_e32 v[10:11], v[76:77], v[106:107]
	v_fma_f64 v[6:7], v[114:115], v[86:87], -v[6:7]
	v_add_co_u32_e32 v194, vcc, s10, v194
	v_mul_f64 v[14:15], v[98:99], v[120:121]
	v_add_f64 v[2:3], v[2:3], v[10:11]
	v_fmac_f64_e32 v[12:13], v[80:81], v[110:111]
	v_add_f64 v[0:1], v[0:1], v[6:7]
	v_mul_f64 v[6:7], v[124:125], v[92:93]
	v_addc_co_u32_e32 v193, vcc, v193, v5, vcc
	v_add_f64 v[2:3], v[2:3], v[12:13]
	v_fmac_f64_e32 v[14:15], v[100:101], v[118:119]
	v_mul_f64 v[8:9], v[114:115], v[88:89]
	v_fma_f64 v[6:7], v[122:123], v[90:91], -v[6:7]
	v_add_co_u32_e32 v196, vcc, s10, v196
	v_add_f64 v[2:3], v[2:3], v[14:15]
	v_mul_f64 v[10:11], v[122:123], v[92:93]
	v_add_f64 v[0:1], v[0:1], v[6:7]
	v_mul_f64 v[6:7], v[128:129], v[96:97]
	v_fmac_f64_e32 v[8:9], v[116:117], v[86:87]
	v_addc_co_u32_e32 v195, vcc, v195, v5, vcc
	v_fma_f64 v[6:7], v[126:127], v[94:95], -v[6:7]
	v_mul_f64 v[12:13], v[126:127], v[96:97]
	v_fmac_f64_e32 v[10:11], v[124:125], v[90:91]
	v_add_f64 v[2:3], v[2:3], v[8:9]
	v_add_co_u32_e32 v198, vcc, s10, v198
	v_add_f64 v[0:1], v[0:1], v[6:7]
	v_mul_f64 v[6:7], v[132:133], v[136:137]
	v_mul_f64 v[14:15], v[130:131], v[136:137]
	v_fmac_f64_e32 v[12:13], v[128:129], v[94:95]
	v_add_f64 v[2:3], v[2:3], v[10:11]
	v_addc_co_u32_e32 v197, vcc, v197, v5, vcc
	v_fma_f64 v[6:7], v[130:131], v[134:135], -v[6:7]
	v_fmac_f64_e32 v[14:15], v[132:133], v[134:135]
	v_add_f64 v[2:3], v[2:3], v[12:13]
	s_add_i32 s4, s6, 1
	s_add_i32 s28, s28, 64
	;; [unrolled: 1-line block ×3, first 2 shown]
	v_add_co_u32_e32 v200, vcc, s10, v200
	v_add_f64 v[0:1], v[0:1], v[6:7]
	v_add_f64 v[2:3], v[2:3], v[14:15]
	s_cmp_ge_u32 s5, s7
	v_addc_co_u32_e32 v199, vcc, v199, v5, vcc
	s_barrier
	s_cbranch_scc1 .LBB52_188
; %bb.187:                              ;   in Loop: Header=BB52_136 Depth=1
	s_mov_b32 s6, s4
	s_cmp_eq_u32 s29, s6
	s_cselect_b32 s24, s27, 0
	s_and_saveexec_b64 s[4:5], s[0:1]
	s_cbranch_execnz .LBB52_132
	s_branch .LBB52_136
.LBB52_188:
	s_movk_i32 s2, 0x430
	v_cmp_gt_i32_e32 vcc, s20, v201
	v_mad_u32_u24 v4, v202, s2, v168
	s_or_b64 s[2:3], s[22:23], vcc
	s_and_b64 s[0:1], s[0:1], s[2:3]
	ds_write_b128 v4, v[0:3]
	s_waitcnt lgkmcnt(0)
	s_barrier
	s_and_saveexec_b64 s[2:3], s[0:1]
	s_cbranch_execz .LBB52_190
; %bb.189:
	ds_read_b128 v[0:3], v168 offset:1072
	ds_read_b128 v[4:7], v168
	ds_read_b128 v[8:11], v168 offset:2144
	ds_read_b128 v[12:15], v168 offset:3216
	s_waitcnt lgkmcnt(2)
	v_add_f64 v[0:1], v[0:1], v[4:5]
	v_add_f64 v[2:3], v[2:3], v[6:7]
	v_lshlrev_b64 v[4:5], 4, v[166:167]
	s_waitcnt lgkmcnt(1)
	v_add_f64 v[0:1], v[0:1], v[8:9]
	v_add_f64 v[2:3], v[2:3], v[10:11]
	v_mov_b32_e32 v6, s26
	v_add_co_u32_e32 v4, vcc, s21, v4
	s_waitcnt lgkmcnt(0)
	v_add_f64 v[0:1], v[0:1], v[12:13]
	v_add_f64 v[2:3], v[2:3], v[14:15]
	v_addc_co_u32_e32 v5, vcc, v6, v5, vcc
	global_store_dwordx4 v[4:5], v[0:3], off
.LBB52_190:
	s_endpgm
	.section	.rodata,"a",@progbits
	.p2align	6, 0x0
	.amdhsa_kernel _ZL26rocblas_hemvn_kernel_upperILb1ELi64ELi4ELi33ELi32ELi16El19rocblas_complex_numIdEPKPKS1_PS1_EviT6_lT7_lT5_lS8_lS9_lS7_lT8_i
		.amdhsa_group_segment_fixed_size 19200
		.amdhsa_private_segment_fixed_size 0
		.amdhsa_kernarg_size 392
		.amdhsa_user_sgpr_count 6
		.amdhsa_user_sgpr_private_segment_buffer 1
		.amdhsa_user_sgpr_dispatch_ptr 0
		.amdhsa_user_sgpr_queue_ptr 0
		.amdhsa_user_sgpr_kernarg_segment_ptr 1
		.amdhsa_user_sgpr_dispatch_id 0
		.amdhsa_user_sgpr_flat_scratch_init 0
		.amdhsa_user_sgpr_kernarg_preload_length 0
		.amdhsa_user_sgpr_kernarg_preload_offset 0
		.amdhsa_user_sgpr_private_segment_size 0
		.amdhsa_uses_dynamic_stack 0
		.amdhsa_system_sgpr_private_segment_wavefront_offset 0
		.amdhsa_system_sgpr_workgroup_id_x 1
		.amdhsa_system_sgpr_workgroup_id_y 0
		.amdhsa_system_sgpr_workgroup_id_z 1
		.amdhsa_system_sgpr_workgroup_info 0
		.amdhsa_system_vgpr_workitem_id 1
		.amdhsa_next_free_vgpr 230
		.amdhsa_next_free_sgpr 42
		.amdhsa_accum_offset 232
		.amdhsa_reserve_vcc 1
		.amdhsa_reserve_flat_scratch 0
		.amdhsa_float_round_mode_32 0
		.amdhsa_float_round_mode_16_64 0
		.amdhsa_float_denorm_mode_32 3
		.amdhsa_float_denorm_mode_16_64 3
		.amdhsa_dx10_clamp 1
		.amdhsa_ieee_mode 1
		.amdhsa_fp16_overflow 0
		.amdhsa_tg_split 0
		.amdhsa_exception_fp_ieee_invalid_op 0
		.amdhsa_exception_fp_denorm_src 0
		.amdhsa_exception_fp_ieee_div_zero 0
		.amdhsa_exception_fp_ieee_overflow 0
		.amdhsa_exception_fp_ieee_underflow 0
		.amdhsa_exception_fp_ieee_inexact 0
		.amdhsa_exception_int_div_zero 0
	.end_amdhsa_kernel
	.section	.text._ZL26rocblas_hemvn_kernel_upperILb1ELi64ELi4ELi33ELi32ELi16El19rocblas_complex_numIdEPKPKS1_PS1_EviT6_lT7_lT5_lS8_lS9_lS7_lT8_i,"axG",@progbits,_ZL26rocblas_hemvn_kernel_upperILb1ELi64ELi4ELi33ELi32ELi16El19rocblas_complex_numIdEPKPKS1_PS1_EviT6_lT7_lT5_lS8_lS9_lS7_lT8_i,comdat
.Lfunc_end52:
	.size	_ZL26rocblas_hemvn_kernel_upperILb1ELi64ELi4ELi33ELi32ELi16El19rocblas_complex_numIdEPKPKS1_PS1_EviT6_lT7_lT5_lS8_lS9_lS7_lT8_i, .Lfunc_end52-_ZL26rocblas_hemvn_kernel_upperILb1ELi64ELi4ELi33ELi32ELi16El19rocblas_complex_numIdEPKPKS1_PS1_EviT6_lT7_lT5_lS8_lS9_lS7_lT8_i
                                        ; -- End function
	.section	.AMDGPU.csdata,"",@progbits
; Kernel info:
; codeLenInByte = 11220
; NumSgprs: 46
; NumVgprs: 230
; NumAgprs: 0
; TotalNumVgprs: 230
; ScratchSize: 0
; MemoryBound: 1
; FloatMode: 240
; IeeeMode: 1
; LDSByteSize: 19200 bytes/workgroup (compile time only)
; SGPRBlocks: 5
; VGPRBlocks: 28
; NumSGPRsForWavesPerEU: 46
; NumVGPRsForWavesPerEU: 230
; AccumOffset: 232
; Occupancy: 2
; WaveLimiterHint : 0
; COMPUTE_PGM_RSRC2:SCRATCH_EN: 0
; COMPUTE_PGM_RSRC2:USER_SGPR: 6
; COMPUTE_PGM_RSRC2:TRAP_HANDLER: 0
; COMPUTE_PGM_RSRC2:TGID_X_EN: 1
; COMPUTE_PGM_RSRC2:TGID_Y_EN: 0
; COMPUTE_PGM_RSRC2:TGID_Z_EN: 1
; COMPUTE_PGM_RSRC2:TIDIG_COMP_CNT: 1
; COMPUTE_PGM_RSRC3_GFX90A:ACCUM_OFFSET: 57
; COMPUTE_PGM_RSRC3_GFX90A:TG_SPLIT: 0
	.section	.text._ZL36rocblas_hemvn_kernel_upper_block_sumILi64El19rocblas_complex_numIdEPKPS1_S1_EviT1_lS5_lT2_lT0_lPT3_i,"axG",@progbits,_ZL36rocblas_hemvn_kernel_upper_block_sumILi64El19rocblas_complex_numIdEPKPS1_S1_EviT1_lS5_lT2_lT0_lPT3_i,comdat
	.globl	_ZL36rocblas_hemvn_kernel_upper_block_sumILi64El19rocblas_complex_numIdEPKPS1_S1_EviT1_lS5_lT2_lT0_lPT3_i ; -- Begin function _ZL36rocblas_hemvn_kernel_upper_block_sumILi64El19rocblas_complex_numIdEPKPS1_S1_EviT1_lS5_lT2_lT0_lPT3_i
	.p2align	8
	.type	_ZL36rocblas_hemvn_kernel_upper_block_sumILi64El19rocblas_complex_numIdEPKPS1_S1_EviT1_lS5_lT2_lT0_lPT3_i,@function
_ZL36rocblas_hemvn_kernel_upper_block_sumILi64El19rocblas_complex_numIdEPKPS1_S1_EviT1_lS5_lT2_lT0_lPT3_i: ; @_ZL36rocblas_hemvn_kernel_upper_block_sumILi64El19rocblas_complex_numIdEPKPS1_S1_EviT1_lS5_lT2_lT0_lPT3_i
; %bb.0:
	s_load_dwordx4 s[12:15], s[4:5], 0x8
	s_load_dwordx4 s[8:11], s[4:5], 0x20
	s_mov_b32 s18, s7
	s_waitcnt lgkmcnt(0)
	v_cmp_neq_f64_e64 s[0:1], s[12:13], 0
	v_cmp_neq_f64_e64 s[2:3], s[14:15], 0
	s_or_b64 s[16:17], s[0:1], s[2:3]
	s_mov_b64 s[0:1], -1
	s_and_b64 vcc, exec, s[16:17]
	s_cbranch_vccnz .LBB53_2
; %bb.1:
	v_cmp_neq_f64_e64 s[0:1], s[8:9], 1.0
	v_cmp_neq_f64_e64 s[2:3], s[10:11], 0
	s_or_b64 s[0:1], s[0:1], s[2:3]
.LBB53_2:
	s_andn2_b64 vcc, exec, s[0:1]
	s_cbranch_vccnz .LBB53_22
; %bb.3:
	s_load_dwordx2 s[22:23], s[4:5], 0x38
	s_load_dword s20, s[4:5], 0x0
	s_load_dwordx4 s[0:3], s[4:5], 0x40
	s_mov_b32 s19, 0
	s_lshl_b64 s[24:25], s[18:19], 3
	s_xor_b64 s[16:17], s[16:17], -1
	s_waitcnt lgkmcnt(0)
	s_add_u32 s22, s22, s24
	s_addc_u32 s23, s23, s25
	s_load_dwordx2 s[22:23], s[22:23], 0x0
	s_lshl_b64 s[0:1], s[0:1], 4
	v_lshl_or_b32 v4, s6, 6, v0
	s_waitcnt lgkmcnt(0)
	s_add_u32 s7, s22, s0
	s_addc_u32 s19, s23, s1
	s_andn2_b64 vcc, exec, s[16:17]
	v_cmp_gt_i32_e64 s[0:1], s20, v4
	s_cbranch_vccnz .LBB53_8
; %bb.4:
	s_mov_b64 s[22:23], 0
	s_mov_b64 s[16:17], 0
                                        ; implicit-def: $vgpr2_vgpr3
                                        ; implicit-def: $vgpr6_vgpr7
	s_and_saveexec_b64 s[24:25], s[0:1]
	s_cbranch_execz .LBB53_9
; %bb.5:
	v_cmp_neq_f64_e64 s[0:1], s[8:9], 0
	v_cmp_neq_f64_e64 s[16:17], s[10:11], 0
	v_ashrrev_i32_e32 v0, 31, v4
	v_pk_mov_b32 v[2:3], 0, 0
	v_mul_lo_u32 v1, v4, s3
	v_mul_lo_u32 v0, v0, s2
	v_mad_u64_u32 v[6:7], s[26:27], v4, s2, 0
	s_or_b64 s[0:1], s[0:1], s[16:17]
	v_add3_u32 v7, v7, v1, v0
	s_andn2_b64 vcc, exec, s[0:1]
	v_pk_mov_b32 v[0:1], v[2:3], v[2:3] op_sel:[0,1]
	s_cbranch_vccnz .LBB53_7
; %bb.6:
	v_lshlrev_b64 v[0:1], 4, v[6:7]
	v_mov_b32_e32 v2, s19
	v_add_co_u32_e32 v0, vcc, s7, v0
	v_addc_co_u32_e32 v1, vcc, v2, v1, vcc
	global_load_dwordx4 v[8:11], v[0:1], off
	s_waitcnt vmcnt(0)
	v_mul_f64 v[0:1], s[10:11], v[10:11]
	v_mul_f64 v[2:3], s[8:9], v[10:11]
	v_fma_f64 v[0:1], s[8:9], v[8:9], -v[0:1]
	v_fmac_f64_e32 v[2:3], s[10:11], v[8:9]
.LBB53_7:
	s_mov_b64 s[16:17], exec
	s_or_b64 exec, exec, s[24:25]
	s_and_b64 vcc, exec, s[22:23]
	s_cbranch_vccnz .LBB53_10
	s_branch .LBB53_20
.LBB53_8:
	s_mov_b64 s[16:17], 0
                                        ; implicit-def: $vgpr2_vgpr3
                                        ; implicit-def: $vgpr6_vgpr7
	s_cbranch_execnz .LBB53_10
	s_branch .LBB53_20
.LBB53_9:
	s_or_b64 exec, exec, s[24:25]
	s_and_b64 vcc, exec, s[22:23]
	s_cbranch_vccz .LBB53_20
.LBB53_10:
	v_cmp_gt_i32_e32 vcc, s20, v4
                                        ; implicit-def: $vgpr2_vgpr3
                                        ; implicit-def: $vgpr6_vgpr7
	s_and_saveexec_b64 s[0:1], vcc
	s_cbranch_execz .LBB53_19
; %bb.11:
	v_pk_mov_b32 v[0:1], 0, 0
	v_ashrrev_i32_e32 v5, 31, v4
	s_cmp_lt_i32 s6, 0
	v_pk_mov_b32 v[6:7], v[0:1], v[0:1] op_sel:[0,1]
	s_cbranch_scc1 .LBB53_14
; %bb.12:
	s_load_dwordx2 s[22:23], s[4:5], 0x58
	s_load_dword s24, s[4:5], 0x68
	s_ashr_i32 s21, s20, 31
	s_mul_hi_u32 s4, s20, s18
	s_mul_i32 s5, s21, s18
	s_add_i32 s4, s4, s5
	s_mul_i32 s18, s20, s18
	s_waitcnt lgkmcnt(0)
	s_mul_i32 s4, s4, s24
	s_mul_hi_u32 s5, s18, s24
	s_add_i32 s5, s5, s4
	s_mul_i32 s4, s18, s24
	s_add_i32 s6, s6, 1
	s_lshl_b64 s[4:5], s[4:5], 4
	s_add_u32 s4, s22, s4
	v_lshlrev_b64 v[0:1], 4, v[4:5]
	s_addc_u32 s5, s23, s5
	v_mov_b32_e32 v2, s5
	v_add_co_u32_e32 v0, vcc, s4, v0
	v_addc_co_u32_e32 v1, vcc, v2, v1, vcc
	v_add_co_u32_e32 v2, vcc, 8, v0
	v_addc_co_u32_e32 v3, vcc, 0, v1, vcc
	s_lshl_b64 s[4:5], s[20:21], 4
	v_pk_mov_b32 v[0:1], 0, 0
	v_mov_b32_e32 v8, s5
	v_pk_mov_b32 v[6:7], v[0:1], v[0:1] op_sel:[0,1]
.LBB53_13:                              ; =>This Inner Loop Header: Depth=1
	global_load_dwordx4 v[10:13], v[2:3], off offset:-8
	s_add_i32 s6, s6, -1
	v_add_co_u32_e32 v2, vcc, s4, v2
	v_addc_co_u32_e32 v3, vcc, v3, v8, vcc
	s_cmp_eq_u32 s6, 0
	s_waitcnt vmcnt(0)
	v_add_f64 v[6:7], v[6:7], v[10:11]
	v_add_f64 v[0:1], v[0:1], v[12:13]
	s_cbranch_scc0 .LBB53_13
.LBB53_14:
	v_cmp_neq_f64_e64 s[20:21], s[8:9], 0
	v_cmp_neq_f64_e64 s[22:23], s[10:11], 0
	s_or_b64 s[20:21], s[20:21], s[22:23]
	v_mul_f64 v[8:9], s[14:15], v[0:1]
	v_mul_f64 v[2:3], s[12:13], v[0:1]
	s_mov_b64 s[4:5], 0
	s_andn2_b64 vcc, exec, s[20:21]
	v_fma_f64 v[0:1], s[12:13], v[6:7], -v[8:9]
	v_fmac_f64_e32 v[2:3], s[14:15], v[6:7]
	v_mul_lo_u32 v5, v5, s2
	v_mul_lo_u32 v8, v4, s3
	s_cbranch_vccz .LBB53_16
; %bb.15:
	v_mad_u64_u32 v[6:7], s[12:13], v4, s2, 0
	v_add3_u32 v7, v7, v8, v5
	s_andn2_b64 vcc, exec, s[4:5]
	s_cbranch_vccz .LBB53_17
	s_branch .LBB53_18
.LBB53_16:
                                        ; implicit-def: $vgpr6_vgpr7
.LBB53_17:
	v_mad_u64_u32 v[6:7], s[2:3], v4, s2, 0
	v_add3_u32 v7, v7, v8, v5
	v_lshlrev_b64 v[4:5], 4, v[6:7]
	v_mov_b32_e32 v8, s19
	v_add_co_u32_e32 v4, vcc, s7, v4
	v_addc_co_u32_e32 v5, vcc, v8, v5, vcc
	global_load_dwordx4 v[8:11], v[4:5], off
	s_waitcnt vmcnt(0)
	v_mul_f64 v[4:5], s[10:11], v[10:11]
	v_mul_f64 v[10:11], s[8:9], v[10:11]
	v_fma_f64 v[4:5], s[8:9], v[8:9], -v[4:5]
	v_fmac_f64_e32 v[10:11], s[10:11], v[8:9]
	v_add_f64 v[0:1], v[0:1], v[4:5]
	v_add_f64 v[2:3], v[2:3], v[10:11]
.LBB53_18:
	s_or_b64 s[16:17], s[16:17], exec
.LBB53_19:
	s_or_b64 exec, exec, s[0:1]
.LBB53_20:
	s_and_saveexec_b64 s[0:1], s[16:17]
	s_cbranch_execz .LBB53_22
; %bb.21:
	v_lshlrev_b64 v[4:5], 4, v[6:7]
	v_mov_b32_e32 v6, s19
	v_add_co_u32_e32 v4, vcc, s7, v4
	v_addc_co_u32_e32 v5, vcc, v6, v5, vcc
	global_store_dwordx4 v[4:5], v[0:3], off
.LBB53_22:
	s_endpgm
	.section	.rodata,"a",@progbits
	.p2align	6, 0x0
	.amdhsa_kernel _ZL36rocblas_hemvn_kernel_upper_block_sumILi64El19rocblas_complex_numIdEPKPS1_S1_EviT1_lS5_lT2_lT0_lPT3_i
		.amdhsa_group_segment_fixed_size 0
		.amdhsa_private_segment_fixed_size 0
		.amdhsa_kernarg_size 360
		.amdhsa_user_sgpr_count 6
		.amdhsa_user_sgpr_private_segment_buffer 1
		.amdhsa_user_sgpr_dispatch_ptr 0
		.amdhsa_user_sgpr_queue_ptr 0
		.amdhsa_user_sgpr_kernarg_segment_ptr 1
		.amdhsa_user_sgpr_dispatch_id 0
		.amdhsa_user_sgpr_flat_scratch_init 0
		.amdhsa_user_sgpr_kernarg_preload_length 0
		.amdhsa_user_sgpr_kernarg_preload_offset 0
		.amdhsa_user_sgpr_private_segment_size 0
		.amdhsa_uses_dynamic_stack 0
		.amdhsa_system_sgpr_private_segment_wavefront_offset 0
		.amdhsa_system_sgpr_workgroup_id_x 1
		.amdhsa_system_sgpr_workgroup_id_y 0
		.amdhsa_system_sgpr_workgroup_id_z 1
		.amdhsa_system_sgpr_workgroup_info 0
		.amdhsa_system_vgpr_workitem_id 0
		.amdhsa_next_free_vgpr 14
		.amdhsa_next_free_sgpr 28
		.amdhsa_accum_offset 16
		.amdhsa_reserve_vcc 1
		.amdhsa_reserve_flat_scratch 0
		.amdhsa_float_round_mode_32 0
		.amdhsa_float_round_mode_16_64 0
		.amdhsa_float_denorm_mode_32 3
		.amdhsa_float_denorm_mode_16_64 3
		.amdhsa_dx10_clamp 1
		.amdhsa_ieee_mode 1
		.amdhsa_fp16_overflow 0
		.amdhsa_tg_split 0
		.amdhsa_exception_fp_ieee_invalid_op 0
		.amdhsa_exception_fp_denorm_src 0
		.amdhsa_exception_fp_ieee_div_zero 0
		.amdhsa_exception_fp_ieee_overflow 0
		.amdhsa_exception_fp_ieee_underflow 0
		.amdhsa_exception_fp_ieee_inexact 0
		.amdhsa_exception_int_div_zero 0
	.end_amdhsa_kernel
	.section	.text._ZL36rocblas_hemvn_kernel_upper_block_sumILi64El19rocblas_complex_numIdEPKPS1_S1_EviT1_lS5_lT2_lT0_lPT3_i,"axG",@progbits,_ZL36rocblas_hemvn_kernel_upper_block_sumILi64El19rocblas_complex_numIdEPKPS1_S1_EviT1_lS5_lT2_lT0_lPT3_i,comdat
.Lfunc_end53:
	.size	_ZL36rocblas_hemvn_kernel_upper_block_sumILi64El19rocblas_complex_numIdEPKPS1_S1_EviT1_lS5_lT2_lT0_lPT3_i, .Lfunc_end53-_ZL36rocblas_hemvn_kernel_upper_block_sumILi64El19rocblas_complex_numIdEPKPS1_S1_EviT1_lS5_lT2_lT0_lPT3_i
                                        ; -- End function
	.section	.AMDGPU.csdata,"",@progbits
; Kernel info:
; codeLenInByte = 836
; NumSgprs: 32
; NumVgprs: 14
; NumAgprs: 0
; TotalNumVgprs: 14
; ScratchSize: 0
; MemoryBound: 0
; FloatMode: 240
; IeeeMode: 1
; LDSByteSize: 0 bytes/workgroup (compile time only)
; SGPRBlocks: 3
; VGPRBlocks: 1
; NumSGPRsForWavesPerEU: 32
; NumVGPRsForWavesPerEU: 14
; AccumOffset: 16
; Occupancy: 8
; WaveLimiterHint : 1
; COMPUTE_PGM_RSRC2:SCRATCH_EN: 0
; COMPUTE_PGM_RSRC2:USER_SGPR: 6
; COMPUTE_PGM_RSRC2:TRAP_HANDLER: 0
; COMPUTE_PGM_RSRC2:TGID_X_EN: 1
; COMPUTE_PGM_RSRC2:TGID_Y_EN: 0
; COMPUTE_PGM_RSRC2:TGID_Z_EN: 1
; COMPUTE_PGM_RSRC2:TIDIG_COMP_CNT: 0
; COMPUTE_PGM_RSRC3_GFX90A:ACCUM_OFFSET: 3
; COMPUTE_PGM_RSRC3_GFX90A:TG_SPLIT: 0
	.section	.text._ZL26rocblas_hemvn_kernel_upperILb1ELi64ELi4ELi33ELi32ELi16Ei19rocblas_complex_numIdEPKPKS1_PS1_EviT6_lT7_lT5_lS8_lS9_lS7_lT8_i,"axG",@progbits,_ZL26rocblas_hemvn_kernel_upperILb1ELi64ELi4ELi33ELi32ELi16Ei19rocblas_complex_numIdEPKPKS1_PS1_EviT6_lT7_lT5_lS8_lS9_lS7_lT8_i,comdat
	.globl	_ZL26rocblas_hemvn_kernel_upperILb1ELi64ELi4ELi33ELi32ELi16Ei19rocblas_complex_numIdEPKPKS1_PS1_EviT6_lT7_lT5_lS8_lS9_lS7_lT8_i ; -- Begin function _ZL26rocblas_hemvn_kernel_upperILb1ELi64ELi4ELi33ELi32ELi16Ei19rocblas_complex_numIdEPKPKS1_PS1_EviT6_lT7_lT5_lS8_lS9_lS7_lT8_i
	.p2align	8
	.type	_ZL26rocblas_hemvn_kernel_upperILb1ELi64ELi4ELi33ELi32ELi16Ei19rocblas_complex_numIdEPKPKS1_PS1_EviT6_lT7_lT5_lS8_lS9_lS7_lT8_i,@function
_ZL26rocblas_hemvn_kernel_upperILb1ELi64ELi4ELi33ELi32ELi16Ei19rocblas_complex_numIdEPKPKS1_PS1_EviT6_lT7_lT5_lS8_lS9_lS7_lT8_i: ; @_ZL26rocblas_hemvn_kernel_upperILb1ELi64ELi4ELi33ELi32ELi16Ei19rocblas_complex_numIdEPKPKS1_PS1_EviT6_lT7_lT5_lS8_lS9_lS7_lT8_i
; %bb.0:
	s_load_dwordx2 s[0:1], s[4:5], 0x94
	s_add_u32 s8, s4, 0x88
	s_addc_u32 s9, s5, 0
	s_waitcnt lgkmcnt(0)
	s_lshr_b32 s2, s0, 16
	s_and_b32 s0, s0, 0xffff
	s_and_b32 s1, s1, 0xffff
	s_mul_i32 s0, s2, s0
	s_mul_i32 s0, s0, s1
	s_cmpk_lg_i32 s0, 0x100
	s_cbranch_scc1 .LBB54_190
; %bb.1:
	s_load_dwordx4 s[12:15], s[4:5], 0x8
	s_mov_b32 s22, s7
	s_mov_b64 s[0:1], 0
	s_waitcnt lgkmcnt(0)
	v_cmp_neq_f64_e64 s[2:3], s[12:13], 0
	v_cmp_neq_f64_e64 s[10:11], s[14:15], 0
	s_or_b64 s[10:11], s[2:3], s[10:11]
	s_and_b64 vcc, exec, s[10:11]
	s_cbranch_vccnz .LBB54_3
; %bb.2:
	s_load_dwordx4 s[12:15], s[4:5], 0x60
	s_mov_b64 s[2:3], 0
	s_waitcnt lgkmcnt(0)
	v_cmp_neq_f64_e64 s[0:1], s[12:13], 1.0
	v_cmp_neq_f64_e64 s[12:13], s[14:15], 0
	s_or_b64 s[0:1], s[0:1], s[12:13]
	s_cbranch_execz .LBB54_4
	s_branch .LBB54_5
.LBB54_3:
	s_mov_b64 s[2:3], -1
.LBB54_4:
	s_load_dwordx4 s[0:3], s[4:5], 0x20
	s_mov_b32 s23, 0
	s_lshl_b64 s[12:13], s[22:23], 3
	s_waitcnt lgkmcnt(0)
	s_add_u32 s0, s0, s12
	s_addc_u32 s1, s1, s13
	s_load_dwordx2 s[0:1], s[0:1], 0x0
	s_lshl_b64 s[2:3], s[2:3], 4
	s_waitcnt lgkmcnt(0)
	s_add_u32 s2, s0, s2
	s_addc_u32 s3, s1, s3
	s_mov_b64 s[0:1], -1
.LBB54_5:
	s_andn2_b64 vcc, exec, s[0:1]
	s_cbranch_vccnz .LBB54_190
; %bb.6:
	v_cndmask_b32_e64 v1, 0, 1, s[10:11]
	v_cmp_ne_u32_e64 s[0:1], 1, v1
	s_andn2_b64 vcc, exec, s[10:11]
	s_mov_b64 s[10:11], 0
	s_cbranch_vccnz .LBB54_8
; %bb.7:
	s_load_dwordx4 s[12:15], s[4:5], 0x40
	s_mov_b32 s23, 0
	s_lshl_b64 s[10:11], s[22:23], 3
	s_waitcnt lgkmcnt(0)
	s_add_u32 s10, s12, s10
	s_addc_u32 s11, s13, s11
	s_load_dwordx2 s[10:11], s[10:11], 0x0
	s_lshl_b64 s[12:13], s[14:15], 4
	s_waitcnt lgkmcnt(0)
	s_add_u32 s10, s10, s12
	s_addc_u32 s11, s11, s13
.LBB54_8:
	s_and_b64 vcc, exec, s[0:1]
	s_cbranch_vccnz .LBB54_190
; %bb.9:
	s_load_dword s7, s[8:9], 0x0
	s_load_dword s40, s[4:5], 0x0
	;; [unrolled: 1-line block ×3, first 2 shown]
	v_and_b32_e32 v168, 0x3ff, v0
	s_lshl_b32 s24, s6, 6
	v_add_u32_e32 v166, s24, v168
	s_waitcnt lgkmcnt(0)
	s_ashr_i32 s41, s40, 31
	s_lshr_b32 s1, s41, 26
	v_bfe_u32 v209, v0, 10, 10
	s_add_i32 s1, s40, s1
	v_mul_lo_u32 v0, v166, s23
	s_andn2_b32 s1, s1, 63
	v_ashrrev_i32_e32 v1, 31, v0
	s_add_i32 s0, s7, -1
	s_sub_i32 s33, s40, s1
	v_lshlrev_b64 v[0:1], 4, v[0:1]
	s_cmp_eq_u32 s6, s0
	v_mov_b32_e32 v2, s11
	v_add_co_u32_e32 v36, vcc, s10, v0
	s_cselect_b32 s18, s33, 0
	v_addc_co_u32_e32 v37, vcc, v2, v1, vcc
	v_cmp_eq_u32_e64 s[0:1], 0, v209
	s_and_saveexec_b64 s[8:9], s[0:1]
	s_cbranch_execz .LBB54_14
; %bb.10:
	s_cmp_lg_u32 s18, 0
	s_cselect_b64 s[10:11], -1, 0
	v_cmp_le_i32_e32 vcc, s18, v168
	v_mov_b32_e32 v0, 0x4700
	s_and_b64 s[10:11], s[10:11], vcc
	v_lshl_add_u32 v0, v168, 4, v0
	s_and_saveexec_b64 s[12:13], s[10:11]
	s_xor_b64 s[10:11], exec, s[12:13]
	s_cbranch_execz .LBB54_12
; %bb.11:
	v_mov_b32_e32 v2, 0
	v_mov_b32_e32 v3, v2
	;; [unrolled: 1-line block ×4, first 2 shown]
	ds_write_b128 v0, v[2:5]
                                        ; implicit-def: $vgpr0
.LBB54_12:
	s_andn2_saveexec_b64 s[10:11], s[10:11]
	s_cbranch_execz .LBB54_14
; %bb.13:
	flat_load_dwordx4 v[2:5], v[36:37]
	s_waitcnt vmcnt(0) lgkmcnt(0)
	ds_write2_b64 v0, v[2:3], v[4:5] offset1:1
.LBB54_14:
	s_or_b64 exec, exec, s[8:9]
	s_load_dword s26, s[4:5], 0x30
	s_ashr_i32 s25, s24, 31
	v_lshl_add_u32 v42, v209, 6, v168
	s_lshl_b64 s[8:9], s[24:25], 4
	v_and_b32_e32 v4, 31, v168
	v_lshrrev_b32_e32 v5, 5, v42
	s_add_u32 s8, s2, s8
	s_addc_u32 s9, s3, s9
	s_waitcnt lgkmcnt(0)
	v_mad_u64_u32 v[0:1], s[2:3], v5, s26, v[4:5]
	s_mul_i32 s2, s24, s26
	s_ashr_i32 s3, s2, 31
	s_lshl_b64 s[2:3], s[2:3], 4
	s_add_u32 s2, s2, s8
	v_ashrrev_i32_e32 v1, 31, v0
	s_addc_u32 s3, s3, s9
	v_lshlrev_b64 v[38:39], 4, v[0:1]
	s_cmp_eq_u32 s18, 0
	v_mov_b32_e32 v1, s3
	v_add_co_u32_e32 v0, vcc, s2, v38
	s_cselect_b64 s[20:21], -1, 0
	s_cmp_lg_u32 s18, 0
	v_addc_co_u32_e32 v1, vcc, v1, v39, vcc
	s_cselect_b64 s[34:35], -1, 0
	s_and_b64 vcc, exec, s[34:35]
	v_cmp_gt_i32_e64 s[2:3], s18, v4
	v_lshlrev_b32_e32 v11, 4, v4
	v_mul_u32_u24_e32 v10, 33, v5
	s_cbranch_vccz .LBB54_32
; %bb.15:
	v_sub_co_u32_e32 v2, vcc, v0, v11
	s_ashr_i32 s19, s18, 31
	v_subbrev_co_u32_e32 v3, vcc, 0, v1, vcc
	s_lshl_b64 s[8:9], s[18:19], 4
	v_mov_b32_e32 v6, s9
	v_add_co_u32_e32 v2, vcc, s8, v2
	v_addc_co_u32_e32 v3, vcc, v3, v6, vcc
	v_add_co_u32_e32 v2, vcc, -16, v2
	v_addc_co_u32_e32 v3, vcc, -1, v3, vcc
	v_cndmask_b32_e64 v3, v3, v1, s[2:3]
	v_cndmask_b32_e64 v2, v2, v0, s[2:3]
	v_cmp_le_i32_e32 vcc, s18, v5
	v_add_lshl_u32 v6, v10, v4, 4
	s_and_saveexec_b64 s[10:11], vcc
	s_xor_b64 s[10:11], exec, s[10:11]
	s_cbranch_execz .LBB54_17
; %bb.16:
	v_mov_b32_e32 v12, 0
	v_mov_b32_e32 v13, v12
	;; [unrolled: 1-line block ×4, first 2 shown]
	ds_write_b128 v6, v[12:15]
.LBB54_17:
	s_andn2_saveexec_b64 s[10:11], s[10:11]
	s_cbranch_execz .LBB54_19
; %bb.18:
	flat_load_dwordx4 v[12:15], v[2:3]
	s_waitcnt vmcnt(0) lgkmcnt(0)
	ds_write2_b64 v6, v[12:13], v[14:15] offset1:1
.LBB54_19:
	s_or_b64 exec, exec, s[10:11]
	v_add_u32_e32 v7, 8, v5
	v_cmp_le_i32_e32 vcc, s18, v7
	s_and_saveexec_b64 s[10:11], vcc
	s_xor_b64 s[10:11], exec, s[10:11]
	s_cbranch_execz .LBB54_21
; %bb.20:
	v_mul_u32_u24_e32 v7, 33, v7
	v_mov_b32_e32 v12, 0
	v_add_lshl_u32 v7, v7, v4, 4
	v_mov_b32_e32 v13, v12
	v_mov_b32_e32 v14, v12
	;; [unrolled: 1-line block ×3, first 2 shown]
	ds_write_b128 v7, v[12:15]
.LBB54_21:
	s_andn2_saveexec_b64 s[10:11], s[10:11]
	s_cbranch_execz .LBB54_23
; %bb.22:
	s_lshl_b32 s12, s26, 3
	s_ashr_i32 s13, s12, 31
	s_lshl_b64 s[12:13], s[12:13], 4
	v_mov_b32_e32 v7, s13
	v_add_co_u32_e32 v8, vcc, s12, v2
	v_addc_co_u32_e32 v9, vcc, v3, v7, vcc
	flat_load_dwordx4 v[12:15], v[8:9]
	v_add_u32_e32 v7, 0x1080, v6
	s_waitcnt vmcnt(0) lgkmcnt(0)
	ds_write2_b64 v7, v[12:13], v[14:15] offset1:1
.LBB54_23:
	s_or_b64 exec, exec, s[10:11]
	v_add_u32_e32 v7, 16, v5
	v_cmp_le_i32_e32 vcc, s18, v7
	s_and_saveexec_b64 s[10:11], vcc
	s_xor_b64 s[10:11], exec, s[10:11]
	s_cbranch_execz .LBB54_25
; %bb.24:
	v_mul_u32_u24_e32 v7, 33, v7
	v_mov_b32_e32 v12, 0
	v_add_lshl_u32 v7, v7, v4, 4
	v_mov_b32_e32 v13, v12
	v_mov_b32_e32 v14, v12
	v_mov_b32_e32 v15, v12
	ds_write_b128 v7, v[12:15]
.LBB54_25:
	s_andn2_saveexec_b64 s[10:11], s[10:11]
	s_cbranch_execz .LBB54_27
; %bb.26:
	s_lshl_b32 s12, s26, 4
	s_ashr_i32 s13, s12, 31
	s_lshl_b64 s[12:13], s[12:13], 4
	v_mov_b32_e32 v7, s13
	v_add_co_u32_e32 v8, vcc, s12, v2
	v_addc_co_u32_e32 v9, vcc, v3, v7, vcc
	flat_load_dwordx4 v[12:15], v[8:9]
	v_add_u32_e32 v7, 0x2100, v6
	s_waitcnt vmcnt(0) lgkmcnt(0)
	ds_write2_b64 v7, v[12:13], v[14:15] offset1:1
.LBB54_27:
	s_or_b64 exec, exec, s[10:11]
	v_add_u32_e32 v7, 24, v5
	v_cmp_le_i32_e32 vcc, s18, v7
	s_and_saveexec_b64 s[10:11], vcc
	s_xor_b64 s[10:11], exec, s[10:11]
	s_cbranch_execz .LBB54_29
; %bb.28:
	v_mov_b32_e32 v12, 0
	v_mov_b32_e32 v13, v12
	;; [unrolled: 1-line block ×4, first 2 shown]
	ds_write_b128 v6, v[12:15] offset:12672
                                        ; implicit-def: $vgpr6
.LBB54_29:
	s_andn2_saveexec_b64 s[10:11], s[10:11]
	s_cbranch_execz .LBB54_31
; %bb.30:
	s_mul_i32 s12, s26, 24
	s_ashr_i32 s13, s12, 31
	s_lshl_b64 s[12:13], s[12:13], 4
	v_mov_b32_e32 v7, s13
	v_add_co_u32_e32 v8, vcc, s12, v2
	v_addc_co_u32_e32 v9, vcc, v3, v7, vcc
	flat_load_dwordx4 v[12:15], v[8:9]
	v_add_u32_e32 v6, 0x3180, v6
	s_waitcnt vmcnt(0) lgkmcnt(0)
	ds_write2_b64 v6, v[12:13], v[14:15] offset1:1
.LBB54_31:
	s_or_b64 exec, exec, s[10:11]
	v_add_co_u32_e32 v2, vcc, v2, v11
	v_addc_co_u32_e32 v3, vcc, 0, v3, vcc
	v_mov_b32_e32 v6, s9
	v_subrev_co_u32_e32 v2, vcc, s8, v2
	v_subb_co_u32_e32 v3, vcc, v3, v6, vcc
	v_add_co_u32_e32 v2, vcc, 16, v2
	v_addc_co_u32_e32 v3, vcc, 0, v3, vcc
	v_cndmask_b32_e64 v7, v3, v1, s[2:3]
	v_cndmask_b32_e64 v6, v2, v0, s[2:3]
	s_branch .LBB54_34
.LBB54_32:
                                        ; implicit-def: $vgpr6_vgpr7
	s_cbranch_execz .LBB54_34
; %bb.33:
	flat_load_dwordx4 v[6:9], v[0:1]
	s_lshl_b32 s2, s26, 3
	s_ashr_i32 s3, s2, 31
	s_lshl_b64 s[2:3], s[2:3], 4
	v_add_lshl_u32 v12, v10, v4, 4
	v_mov_b32_e32 v3, s3
	v_add_co_u32_e32 v2, vcc, s2, v0
	v_addc_co_u32_e32 v3, vcc, v1, v3, vcc
	s_ashr_i32 s27, s26, 31
	s_lshl_b64 s[2:3], s[26:27], 7
	v_add_u32_e32 v13, 0x1080, v12
	v_mov_b32_e32 v14, s3
	s_waitcnt vmcnt(0) lgkmcnt(0)
	ds_write2_b64 v12, v[6:7], v[8:9] offset1:1
	flat_load_dwordx4 v[6:9], v[2:3]
	v_add_co_u32_e32 v2, vcc, s2, v2
	v_addc_co_u32_e32 v3, vcc, v3, v14, vcc
	s_waitcnt vmcnt(0) lgkmcnt(0)
	ds_write2_b64 v13, v[6:7], v[8:9] offset1:1
	flat_load_dwordx4 v[6:9], v[2:3]
	v_add_u32_e32 v13, 0x2100, v12
	v_add_co_u32_e32 v2, vcc, s2, v2
	v_addc_co_u32_e32 v3, vcc, v3, v14, vcc
	s_waitcnt vmcnt(0) lgkmcnt(0)
	ds_write2_b64 v13, v[6:7], v[8:9] offset1:1
	flat_load_dwordx4 v[6:9], v[2:3]
	v_add_u32_e32 v2, 0x3180, v12
	s_waitcnt vmcnt(0) lgkmcnt(0)
	ds_write2_b64 v2, v[6:7], v[8:9] offset1:1
	v_pk_mov_b32 v[6:7], v[0:1], v[0:1] op_sel:[0,1]
.LBB54_34:
	v_lshlrev_b32_e32 v15, 2, v5
	v_cmp_le_u32_e64 s[16:17], v15, v4
	s_waitcnt lgkmcnt(0)
	s_barrier
	s_and_saveexec_b64 s[2:3], s[16:17]
	s_xor_b64 s[2:3], exec, s[2:3]
	s_cbranch_execz .LBB54_38
; %bb.35:
	v_cmp_eq_u32_e32 vcc, v15, v4
	s_and_saveexec_b64 s[8:9], vcc
	s_cbranch_execz .LBB54_37
; %bb.36:
	v_mul_u32_u24_e32 v0, 34, v4
	v_lshlrev_b32_e32 v2, 4, v0
	v_mov_b32_e32 v0, 0
	v_mov_b32_e32 v1, v0
	ds_write_b64 v2, v[0:1] offset:8
.LBB54_37:
	s_or_b64 exec, exec, s[8:9]
.LBB54_38:
	s_or_saveexec_b64 s[2:3], s[2:3]
	v_mul_u32_u24_e32 v12, 33, v4
	v_add_lshl_u32 v13, v15, v12, 4
	s_xor_b64 exec, exec, s[2:3]
	s_cbranch_execz .LBB54_40
; %bb.39:
	v_mul_u32_u24_e32 v0, 0x84, v5
	v_add_lshl_u32 v0, v0, v4, 4
	ds_read_b128 v[0:3], v0
	s_waitcnt lgkmcnt(0)
	v_xor_b32_e32 v3, 0x80000000, v3
	ds_write_b128 v13, v[0:3]
.LBB54_40:
	s_or_b64 exec, exec, s[2:3]
	v_or_b32_e32 v14, 1, v15
	v_cmp_ge_u32_e64 s[8:9], v15, v4
	v_mul_u32_u24_e32 v0, 33, v14
	s_and_saveexec_b64 s[2:3], s[8:9]
	s_xor_b64 s[2:3], exec, s[2:3]
	s_cbranch_execz .LBB54_42
; %bb.41:
	v_add_lshl_u32 v1, v0, v4, 4
	ds_read_b128 v[16:19], v1
	s_waitcnt lgkmcnt(0)
	v_xor_b32_e32 v19, 0x80000000, v19
	ds_write_b128 v13, v[16:19] offset:16
.LBB54_42:
	s_andn2_saveexec_b64 s[2:3], s[2:3]
	s_cbranch_execz .LBB54_46
; %bb.43:
	v_cmp_eq_u32_e32 vcc, v14, v4
	s_and_saveexec_b64 s[10:11], vcc
	s_cbranch_execz .LBB54_45
; %bb.44:
	v_mul_u32_u24_e32 v1, 34, v4
	v_mov_b32_e32 v2, 0
	v_lshlrev_b32_e32 v1, 4, v1
	v_mov_b32_e32 v3, v2
	ds_write_b64 v1, v[2:3] offset:8
.LBB54_45:
	s_or_b64 exec, exec, s[10:11]
.LBB54_46:
	s_or_b64 exec, exec, s[2:3]
	v_or_b32_e32 v17, 2, v15
	v_cmp_le_u32_e64 s[10:11], v17, v4
	s_and_saveexec_b64 s[2:3], s[10:11]
	s_xor_b64 s[2:3], exec, s[2:3]
	s_cbranch_execz .LBB54_50
; %bb.47:
	v_cmp_eq_u32_e32 vcc, v17, v4
	s_and_saveexec_b64 s[12:13], vcc
	s_cbranch_execz .LBB54_49
; %bb.48:
	v_mul_u32_u24_e32 v1, 34, v4
	v_mov_b32_e32 v2, 0
	v_lshlrev_b32_e32 v1, 4, v1
	v_mov_b32_e32 v3, v2
	ds_write_b64 v1, v[2:3] offset:8
.LBB54_49:
	s_or_b64 exec, exec, s[12:13]
.LBB54_50:
	s_andn2_saveexec_b64 s[2:3], s[2:3]
	s_cbranch_execz .LBB54_52
; %bb.51:
	v_mul_u32_u24_e32 v1, 33, v17
	v_add_lshl_u32 v1, v1, v4, 4
	ds_read_b128 v[18:21], v1
	s_waitcnt lgkmcnt(0)
	v_xor_b32_e32 v21, 0x80000000, v21
	ds_write_b128 v13, v[18:21] offset:32
.LBB54_52:
	s_or_b64 exec, exec, s[2:3]
	v_or_b32_e32 v18, 3, v15
	v_cmp_le_u32_e64 s[12:13], v18, v4
	s_and_saveexec_b64 s[2:3], s[12:13]
	s_xor_b64 s[2:3], exec, s[2:3]
	s_cbranch_execz .LBB54_56
; %bb.53:
	v_cmp_eq_u32_e32 vcc, v18, v4
	s_and_saveexec_b64 s[14:15], vcc
	s_cbranch_execz .LBB54_55
; %bb.54:
	v_mul_u32_u24_e32 v1, 34, v4
	v_mov_b32_e32 v2, 0
	v_lshlrev_b32_e32 v1, 4, v1
	v_mov_b32_e32 v3, v2
	ds_write_b64 v1, v[2:3] offset:8
.LBB54_55:
	s_or_b64 exec, exec, s[14:15]
.LBB54_56:
	s_andn2_saveexec_b64 s[2:3], s[2:3]
	s_cbranch_execz .LBB54_58
; %bb.57:
	v_mul_u32_u24_e32 v1, 33, v18
	v_add_lshl_u32 v1, v1, v4, 4
	ds_read_b128 v[20:23], v1
	s_waitcnt lgkmcnt(0)
	v_xor_b32_e32 v23, 0x80000000, v23
	ds_write_b128 v13, v[20:23] offset:48
.LBB54_58:
	s_or_b64 exec, exec, s[2:3]
	v_mul_u32_u24_e32 v1, 0x84, v5
	v_lshlrev_b32_e32 v19, 4, v15
	s_waitcnt lgkmcnt(0)
	s_barrier
	v_add_lshl_u32 v16, v1, v4, 4
	ds_read_b128 v[20:23], v19 offset:18176
	ds_read_b128 v[24:27], v19 offset:18192
	ds_read_b128 v[28:31], v16
	ds_read_b128 v[32:35], v19 offset:18208
	ds_read_b128 v[46:49], v19 offset:18224
	v_add_lshl_u32 v45, v0, v4, 4
	ds_read_b128 v[0:3], v45
	s_waitcnt lgkmcnt(3)
	v_mul_f64 v[8:9], v[22:23], v[30:31]
	v_fma_f64 v[8:9], v[20:21], v[28:29], -v[8:9]
	v_mul_f64 v[20:21], v[20:21], v[30:31]
	v_fmac_f64_e32 v[20:21], v[22:23], v[28:29]
	v_add_f64 v[28:29], v[20:21], 0
	s_waitcnt lgkmcnt(0)
	v_mul_f64 v[20:21], v[26:27], v[2:3]
	v_fma_f64 v[30:31], v[24:25], v[0:1], -v[20:21]
	v_mul_f64 v[2:3], v[24:25], v[2:3]
	ds_read_b128 v[20:23], v45 offset:528
	v_fmac_f64_e32 v[2:3], v[26:27], v[0:1]
	v_add_f64 v[24:25], v[28:29], v[2:3]
	ds_read_b128 v[0:3], v45 offset:1056
	v_add_f64 v[8:9], v[8:9], 0
	s_waitcnt lgkmcnt(1)
	v_mul_f64 v[26:27], v[34:35], v[22:23]
	v_mul_f64 v[22:23], v[32:33], v[22:23]
	v_fmac_f64_e32 v[22:23], v[34:35], v[20:21]
	v_add_f64 v[8:9], v[8:9], v[30:31]
	v_fma_f64 v[26:27], v[32:33], v[20:21], -v[26:27]
	v_add_f64 v[20:21], v[24:25], v[22:23]
	s_waitcnt lgkmcnt(0)
	v_mul_f64 v[22:23], v[48:49], v[2:3]
	v_mul_f64 v[2:3], v[46:47], v[2:3]
	v_add_f64 v[8:9], v[8:9], v[26:27]
	v_fma_f64 v[22:23], v[46:47], v[0:1], -v[22:23]
	v_fmac_f64_e32 v[2:3], v[48:49], v[0:1]
	v_add_f64 v[0:1], v[8:9], v[22:23]
	v_add_f64 v[2:3], v[20:21], v[2:3]
	v_add_lshl_u32 v44, v5, v12, 4
	s_barrier
	ds_write_b128 v44, v[0:3]
	v_pk_mov_b32 v[0:1], 0, 0
	v_cmp_gt_u32_e64 s[2:3], 32, v42
	v_lshlrev_b32_e32 v43, 4, v12
	v_pk_mov_b32 v[2:3], v[0:1], v[0:1] op_sel:[0,1]
	s_waitcnt lgkmcnt(0)
	s_barrier
	s_and_saveexec_b64 s[14:15], s[2:3]
	s_cbranch_execz .LBB54_60
; %bb.59:
	ds_read_b128 v[0:3], v43
	ds_read_b128 v[20:23], v43 offset:16
	ds_read_b128 v[24:27], v43 offset:32
	;; [unrolled: 1-line block ×3, first 2 shown]
	s_waitcnt lgkmcnt(2)
	v_add_f64 v[0:1], v[20:21], v[0:1]
	v_add_f64 v[8:9], v[22:23], v[2:3]
	s_waitcnt lgkmcnt(1)
	v_add_f64 v[20:21], v[0:1], v[24:25]
	ds_read_b128 v[0:3], v43 offset:64
	v_add_f64 v[8:9], v[8:9], v[26:27]
	s_waitcnt lgkmcnt(1)
	v_add_f64 v[24:25], v[20:21], v[28:29]
	ds_read_b128 v[20:23], v43 offset:80
	;; [unrolled: 4-line block ×3, first 2 shown]
	v_add_f64 v[8:9], v[8:9], v[2:3]
	ds_read_b128 v[0:3], v43 offset:112
	s_waitcnt lgkmcnt(2)
	v_add_f64 v[20:21], v[28:29], v[20:21]
	v_add_f64 v[8:9], v[8:9], v[22:23]
	s_waitcnt lgkmcnt(1)
	v_add_f64 v[20:21], v[20:21], v[24:25]
	v_add_f64 v[8:9], v[8:9], v[26:27]
	;; [unrolled: 3-line block ×3, first 2 shown]
.LBB54_60:
	s_or_b64 exec, exec, s[14:15]
	s_lshl_b32 s30, s26, 5
	s_ashr_i32 s31, s30, 31
	s_lshl_b64 s[28:29], s[30:31], 4
	v_mov_b32_e32 v8, s29
	v_add_co_u32_e32 v20, vcc, s28, v6
	v_addc_co_u32_e32 v21, vcc, v7, v8, vcc
	v_add_co_u32_e32 v8, vcc, 0x200, v20
	v_addc_co_u32_e32 v9, vcc, 0, v21, vcc
	s_and_b64 vcc, exec, s[34:35]
	s_barrier
	s_cbranch_vccz .LBB54_78
; %bb.61:
	v_or_b32_e32 v6, 32, v4
	v_lshlrev_b32_e32 v7, 4, v6
	v_sub_co_u32_e32 v7, vcc, v8, v7
	s_ashr_i32 s19, s18, 31
	v_subbrev_co_u32_e32 v22, vcc, 0, v9, vcc
	s_lshl_b64 s[36:37], s[18:19], 4
	v_mov_b32_e32 v23, s37
	v_add_co_u32_e32 v7, vcc, s36, v7
	v_addc_co_u32_e32 v22, vcc, v22, v23, vcc
	v_add_co_u32_e32 v23, vcc, -16, v7
	v_addc_co_u32_e32 v7, vcc, -1, v22, vcc
	v_cmp_gt_i32_e64 s[14:15], s18, v6
	s_sub_i32 s19, s18, 32
	v_cndmask_b32_e64 v7, v7, v9, s[14:15]
	v_cndmask_b32_e64 v6, v23, v8, s[14:15]
	v_cmp_le_i32_e32 vcc, s19, v5
	v_add_lshl_u32 v22, v10, v4, 4
	s_and_saveexec_b64 s[38:39], vcc
	s_xor_b64 s[38:39], exec, s[38:39]
	s_cbranch_execz .LBB54_63
; %bb.62:
	v_mov_b32_e32 v24, 0
	v_mov_b32_e32 v25, v24
	;; [unrolled: 1-line block ×4, first 2 shown]
	ds_write_b128 v22, v[24:27]
.LBB54_63:
	s_andn2_saveexec_b64 s[38:39], s[38:39]
	s_cbranch_execz .LBB54_65
; %bb.64:
	flat_load_dwordx4 v[24:27], v[6:7]
	s_waitcnt vmcnt(0) lgkmcnt(0)
	ds_write2_b64 v22, v[24:25], v[26:27] offset1:1
.LBB54_65:
	s_or_b64 exec, exec, s[38:39]
	v_add_u32_e32 v23, 8, v5
	v_cmp_le_i32_e32 vcc, s19, v23
	s_and_saveexec_b64 s[38:39], vcc
	s_xor_b64 s[38:39], exec, s[38:39]
	s_cbranch_execz .LBB54_67
; %bb.66:
	v_mul_u32_u24_e32 v23, 33, v23
	v_mov_b32_e32 v24, 0
	v_add_lshl_u32 v23, v23, v4, 4
	v_mov_b32_e32 v25, v24
	v_mov_b32_e32 v26, v24
	;; [unrolled: 1-line block ×3, first 2 shown]
	ds_write_b128 v23, v[24:27]
.LBB54_67:
	s_andn2_saveexec_b64 s[38:39], s[38:39]
	s_cbranch_execz .LBB54_69
; %bb.68:
	s_lshl_b32 s42, s26, 3
	s_ashr_i32 s43, s42, 31
	s_lshl_b64 s[42:43], s[42:43], 4
	v_mov_b32_e32 v23, s43
	v_add_co_u32_e32 v24, vcc, s42, v6
	v_addc_co_u32_e32 v25, vcc, v7, v23, vcc
	flat_load_dwordx4 v[24:27], v[24:25]
	v_add_u32_e32 v23, 0x1080, v22
	s_waitcnt vmcnt(0) lgkmcnt(0)
	ds_write2_b64 v23, v[24:25], v[26:27] offset1:1
.LBB54_69:
	s_or_b64 exec, exec, s[38:39]
	v_add_u32_e32 v23, 16, v5
	v_cmp_le_i32_e32 vcc, s19, v23
	s_and_saveexec_b64 s[38:39], vcc
	s_xor_b64 s[38:39], exec, s[38:39]
	s_cbranch_execz .LBB54_71
; %bb.70:
	v_mul_u32_u24_e32 v23, 33, v23
	v_mov_b32_e32 v24, 0
	v_add_lshl_u32 v23, v23, v4, 4
	v_mov_b32_e32 v25, v24
	v_mov_b32_e32 v26, v24
	;; [unrolled: 1-line block ×3, first 2 shown]
	ds_write_b128 v23, v[24:27]
.LBB54_71:
	s_andn2_saveexec_b64 s[38:39], s[38:39]
	s_cbranch_execz .LBB54_73
; %bb.72:
	s_lshl_b32 s42, s26, 4
	s_ashr_i32 s43, s42, 31
	s_lshl_b64 s[42:43], s[42:43], 4
	v_mov_b32_e32 v23, s43
	v_add_co_u32_e32 v24, vcc, s42, v6
	v_addc_co_u32_e32 v25, vcc, v7, v23, vcc
	flat_load_dwordx4 v[24:27], v[24:25]
	v_add_u32_e32 v23, 0x2100, v22
	s_waitcnt vmcnt(0) lgkmcnt(0)
	ds_write2_b64 v23, v[24:25], v[26:27] offset1:1
.LBB54_73:
	s_or_b64 exec, exec, s[38:39]
	v_add_u32_e32 v23, 24, v5
	v_cmp_le_i32_e32 vcc, s19, v23
	s_and_saveexec_b64 s[38:39], vcc
	s_xor_b64 s[38:39], exec, s[38:39]
	s_cbranch_execz .LBB54_75
; %bb.74:
	v_mov_b32_e32 v24, 0
	v_mov_b32_e32 v25, v24
	;; [unrolled: 1-line block ×4, first 2 shown]
	ds_write_b128 v22, v[24:27] offset:12672
                                        ; implicit-def: $vgpr22
.LBB54_75:
	s_andn2_saveexec_b64 s[38:39], s[38:39]
	s_cbranch_execz .LBB54_77
; %bb.76:
	s_mul_i32 s42, s26, 24
	s_ashr_i32 s43, s42, 31
	s_lshl_b64 s[42:43], s[42:43], 4
	v_mov_b32_e32 v23, s43
	v_add_co_u32_e32 v24, vcc, s42, v6
	v_addc_co_u32_e32 v25, vcc, v7, v23, vcc
	flat_load_dwordx4 v[24:27], v[24:25]
	v_add_u32_e32 v22, 0x3180, v22
	s_waitcnt vmcnt(0) lgkmcnt(0)
	ds_write2_b64 v22, v[24:25], v[26:27] offset1:1
.LBB54_77:
	s_or_b64 exec, exec, s[38:39]
	v_add_co_u32_e32 v6, vcc, v6, v11
	v_addc_co_u32_e32 v7, vcc, 0, v7, vcc
	v_mov_b32_e32 v22, s37
	v_subrev_co_u32_e32 v6, vcc, s36, v6
	v_subb_co_u32_e32 v7, vcc, v7, v22, vcc
	v_add_co_u32_e32 v6, vcc, 0x210, v6
	v_addc_co_u32_e32 v7, vcc, 0, v7, vcc
	v_cndmask_b32_e64 v7, v7, v9, s[14:15]
	v_cndmask_b32_e64 v6, v6, v8, s[14:15]
	s_branch .LBB54_80
.LBB54_78:
                                        ; implicit-def: $vgpr6_vgpr7
	s_cbranch_execz .LBB54_80
; %bb.79:
	flat_load_dwordx4 v[22:25], v[8:9]
	s_lshl_b32 s14, s26, 3
	s_ashr_i32 s15, s14, 31
	s_lshl_b64 s[14:15], s[14:15], 4
	v_add_lshl_u32 v26, v10, v4, 4
	v_mov_b32_e32 v7, s15
	v_add_co_u32_e32 v6, vcc, s14, v20
	v_addc_co_u32_e32 v7, vcc, v21, v7, vcc
	s_ashr_i32 s27, s26, 31
	s_lshl_b64 s[14:15], s[26:27], 7
	s_waitcnt vmcnt(0) lgkmcnt(0)
	ds_write2_b64 v26, v[22:23], v[24:25] offset1:1
	flat_load_dwordx4 v[20:23], v[6:7] offset:512
	v_add_u32_e32 v24, 0x1080, v26
	v_mov_b32_e32 v25, s15
	v_add_co_u32_e32 v6, vcc, s14, v6
	v_addc_co_u32_e32 v7, vcc, v7, v25, vcc
	s_waitcnt vmcnt(0) lgkmcnt(0)
	ds_write2_b64 v24, v[20:21], v[22:23] offset1:1
	flat_load_dwordx4 v[20:23], v[6:7] offset:512
	v_add_u32_e32 v24, 0x2100, v26
	v_add_co_u32_e32 v6, vcc, s14, v6
	v_addc_co_u32_e32 v7, vcc, v7, v25, vcc
	s_waitcnt vmcnt(0) lgkmcnt(0)
	ds_write2_b64 v24, v[20:21], v[22:23] offset1:1
	flat_load_dwordx4 v[20:23], v[6:7] offset:512
	v_add_u32_e32 v6, 0x3180, v26
	s_waitcnt vmcnt(0) lgkmcnt(0)
	ds_write2_b64 v6, v[20:21], v[22:23] offset1:1
	v_pk_mov_b32 v[6:7], v[8:9], v[8:9] op_sel:[0,1]
.LBB54_80:
	s_waitcnt lgkmcnt(0)
	s_barrier
	s_and_saveexec_b64 s[14:15], s[16:17]
	s_xor_b64 s[14:15], exec, s[14:15]
	s_cbranch_execnz .LBB54_109
; %bb.81:
	s_andn2_saveexec_b64 s[14:15], s[14:15]
	s_cbranch_execnz .LBB54_112
.LBB54_82:
	s_or_b64 exec, exec, s[14:15]
	s_and_saveexec_b64 s[14:15], s[8:9]
	s_xor_b64 s[8:9], exec, s[14:15]
	s_cbranch_execnz .LBB54_113
.LBB54_83:
	s_andn2_saveexec_b64 s[8:9], s[8:9]
	s_cbranch_execnz .LBB54_114
.LBB54_84:
	s_or_b64 exec, exec, s[8:9]
	s_and_saveexec_b64 s[8:9], s[10:11]
	s_xor_b64 s[8:9], exec, s[8:9]
	s_cbranch_execnz .LBB54_117
.LBB54_85:
	s_andn2_saveexec_b64 s[8:9], s[8:9]
	s_cbranch_execnz .LBB54_120
.LBB54_86:
	s_or_b64 exec, exec, s[8:9]
	s_and_saveexec_b64 s[8:9], s[12:13]
	s_xor_b64 s[8:9], exec, s[8:9]
	s_cbranch_execnz .LBB54_121
.LBB54_87:
	s_or_saveexec_b64 s[8:9], s[8:9]
	v_add_u32_e32 v17, 0x4700, v19
	s_xor_b64 exec, exec, s[8:9]
	s_cbranch_execz .LBB54_89
.LBB54_88:
	ds_read_b128 v[18:21], v45 offset:1056
	s_waitcnt lgkmcnt(0)
	v_xor_b32_e32 v21, 0x80000000, v21
	ds_write_b128 v13, v[18:21] offset:48
.LBB54_89:
	s_or_b64 exec, exec, s[8:9]
	s_waitcnt lgkmcnt(0)
	s_barrier
	ds_read_b128 v[18:21], v17 offset:512
	ds_read_b128 v[22:25], v16
	ds_read_b128 v[26:29], v17 offset:528
	ds_read_b128 v[30:33], v17 offset:544
	;; [unrolled: 1-line block ×3, first 2 shown]
	ds_read_b128 v[50:53], v45
	v_cmp_eq_u32_e64 s[8:9], 1, v5
	s_waitcnt lgkmcnt(4)
	v_mul_f64 v[8:9], v[20:21], v[24:25]
	v_fma_f64 v[8:9], v[18:19], v[22:23], -v[8:9]
	v_mul_f64 v[14:15], v[18:19], v[24:25]
	s_waitcnt lgkmcnt(0)
	v_mul_f64 v[18:19], v[28:29], v[52:53]
	v_fmac_f64_e32 v[14:15], v[20:21], v[22:23]
	v_fma_f64 v[22:23], v[26:27], v[50:51], -v[18:19]
	v_mul_f64 v[24:25], v[26:27], v[52:53]
	ds_read_b128 v[18:21], v45 offset:528
	v_add_f64 v[8:9], v[8:9], 0
	v_add_f64 v[14:15], v[14:15], 0
	v_fmac_f64_e32 v[24:25], v[28:29], v[50:51]
	v_add_f64 v[8:9], v[8:9], v[22:23]
	v_add_f64 v[14:15], v[14:15], v[24:25]
	ds_read_b128 v[22:25], v45 offset:1056
	s_waitcnt lgkmcnt(1)
	v_mul_f64 v[26:27], v[32:33], v[20:21]
	v_mul_f64 v[20:21], v[30:31], v[20:21]
	v_fmac_f64_e32 v[20:21], v[32:33], v[18:19]
	v_fma_f64 v[26:27], v[30:31], v[18:19], -v[26:27]
	v_add_f64 v[14:15], v[14:15], v[20:21]
	s_waitcnt lgkmcnt(0)
	v_mul_f64 v[18:19], v[48:49], v[24:25]
	v_mul_f64 v[20:21], v[46:47], v[24:25]
	v_add_f64 v[8:9], v[8:9], v[26:27]
	v_fma_f64 v[18:19], v[46:47], v[22:23], -v[18:19]
	v_fmac_f64_e32 v[20:21], v[48:49], v[22:23]
	v_add_f64 v[18:19], v[8:9], v[18:19]
	v_add_f64 v[20:21], v[14:15], v[20:21]
	s_barrier
	ds_write_b128 v44, v[18:21]
	s_waitcnt lgkmcnt(0)
	s_barrier
	s_and_saveexec_b64 s[10:11], s[8:9]
	s_cbranch_execz .LBB54_91
; %bb.90:
	ds_read_b128 v[0:3], v43
	ds_read_b128 v[18:21], v43 offset:16
	ds_read_b128 v[22:25], v43 offset:32
	;; [unrolled: 1-line block ×3, first 2 shown]
	s_waitcnt lgkmcnt(2)
	v_add_f64 v[0:1], v[18:19], v[0:1]
	v_add_f64 v[8:9], v[20:21], v[2:3]
	s_waitcnt lgkmcnt(1)
	v_add_f64 v[14:15], v[0:1], v[22:23]
	ds_read_b128 v[0:3], v43 offset:64
	ds_read_b128 v[18:21], v43 offset:80
	v_add_f64 v[8:9], v[8:9], v[24:25]
	s_waitcnt lgkmcnt(2)
	v_add_f64 v[14:15], v[14:15], v[26:27]
	v_add_f64 v[8:9], v[8:9], v[28:29]
	ds_read_b128 v[22:25], v43 offset:96
	s_waitcnt lgkmcnt(2)
	v_add_f64 v[14:15], v[14:15], v[0:1]
	v_add_f64 v[8:9], v[8:9], v[2:3]
	ds_read_b128 v[0:3], v43 offset:112
	s_waitcnt lgkmcnt(2)
	v_add_f64 v[14:15], v[14:15], v[18:19]
	v_add_f64 v[8:9], v[8:9], v[20:21]
	s_waitcnt lgkmcnt(1)
	v_add_f64 v[14:15], v[14:15], v[22:23]
	v_add_f64 v[8:9], v[8:9], v[24:25]
	;; [unrolled: 3-line block ×3, first 2 shown]
.LBB54_91:
	s_or_b64 exec, exec, s[10:11]
	v_add_co_u32_e32 v6, vcc, 0xfffffe00, v6
	v_addc_co_u32_e32 v7, vcc, -1, v7, vcc
	s_and_b64 vcc, exec, s[34:35]
	s_barrier
	s_cbranch_vccz .LBB54_124
; %bb.92:
	v_sub_co_u32_e32 v8, vcc, v6, v11
	s_ashr_i32 s19, s18, 31
	v_subbrev_co_u32_e32 v9, vcc, 0, v7, vcc
	s_lshl_b64 s[12:13], s[18:19], 4
	v_mov_b32_e32 v13, s13
	v_add_co_u32_e32 v8, vcc, s12, v8
	v_addc_co_u32_e32 v9, vcc, v9, v13, vcc
	v_add_co_u32_e32 v8, vcc, -16, v8
	v_addc_co_u32_e32 v9, vcc, -1, v9, vcc
	v_cmp_gt_i32_e32 vcc, s18, v4
	s_sub_i32 s16, s18, 32
	v_cndmask_b32_e32 v9, v9, v7, vcc
	v_cndmask_b32_e32 v8, v8, v6, vcc
	v_cmp_le_i32_e64 s[10:11], s16, v5
	v_add_lshl_u32 v18, v10, v4, 4
	s_and_saveexec_b64 s[14:15], s[10:11]
	s_xor_b64 s[10:11], exec, s[14:15]
	s_cbranch_execz .LBB54_94
; %bb.93:
	v_mov_b32_e32 v20, 0
	v_mov_b32_e32 v21, v20
	;; [unrolled: 1-line block ×4, first 2 shown]
	ds_write_b128 v18, v[20:23]
.LBB54_94:
	s_andn2_saveexec_b64 s[10:11], s[10:11]
	s_cbranch_execz .LBB54_96
; %bb.95:
	flat_load_dwordx4 v[20:23], v[8:9]
	s_waitcnt vmcnt(0) lgkmcnt(0)
	ds_write2_b64 v18, v[20:21], v[22:23] offset1:1
.LBB54_96:
	s_or_b64 exec, exec, s[10:11]
	v_add_u32_e32 v13, 8, v5
	v_cmp_le_i32_e64 s[10:11], s16, v13
	s_and_saveexec_b64 s[14:15], s[10:11]
	s_xor_b64 s[10:11], exec, s[14:15]
	s_cbranch_execz .LBB54_98
; %bb.97:
	v_mul_u32_u24_e32 v14, 33, v13
	v_mov_b32_e32 v20, 0
	v_add_lshl_u32 v14, v14, v4, 4
	v_mov_b32_e32 v21, v20
	v_mov_b32_e32 v22, v20
	;; [unrolled: 1-line block ×3, first 2 shown]
	ds_write_b128 v14, v[20:23]
.LBB54_98:
	s_andn2_saveexec_b64 s[14:15], s[10:11]
	s_cbranch_execz .LBB54_100
; %bb.99:
	s_lshl_b32 s10, s26, 3
	s_ashr_i32 s11, s10, 31
	s_lshl_b64 s[10:11], s[10:11], 4
	v_mov_b32_e32 v15, s11
	v_add_co_u32_e64 v14, s[10:11], s10, v8
	v_addc_co_u32_e64 v15, s[10:11], v9, v15, s[10:11]
	flat_load_dwordx4 v[20:23], v[14:15]
	v_add_u32_e32 v14, 0x1080, v18
	s_waitcnt vmcnt(0) lgkmcnt(0)
	ds_write2_b64 v14, v[20:21], v[22:23] offset1:1
.LBB54_100:
	s_or_b64 exec, exec, s[14:15]
	v_add_u32_e32 v14, 16, v5
	v_cmp_le_i32_e64 s[10:11], s16, v14
	s_and_saveexec_b64 s[14:15], s[10:11]
	s_xor_b64 s[10:11], exec, s[14:15]
	s_cbranch_execz .LBB54_102
; %bb.101:
	v_mul_u32_u24_e32 v15, 33, v14
	v_mov_b32_e32 v20, 0
	v_add_lshl_u32 v15, v15, v4, 4
	v_mov_b32_e32 v21, v20
	v_mov_b32_e32 v22, v20
	;; [unrolled: 1-line block ×3, first 2 shown]
	ds_write_b128 v15, v[20:23]
.LBB54_102:
	s_andn2_saveexec_b64 s[14:15], s[10:11]
	s_cbranch_execz .LBB54_104
; %bb.103:
	s_lshl_b32 s10, s26, 4
	s_ashr_i32 s11, s10, 31
	s_lshl_b64 s[10:11], s[10:11], 4
	v_mov_b32_e32 v15, s11
	v_add_co_u32_e64 v20, s[10:11], s10, v8
	v_addc_co_u32_e64 v21, s[10:11], v9, v15, s[10:11]
	flat_load_dwordx4 v[20:23], v[20:21]
	v_add_u32_e32 v15, 0x2100, v18
	s_waitcnt vmcnt(0) lgkmcnt(0)
	ds_write2_b64 v15, v[20:21], v[22:23] offset1:1
.LBB54_104:
	s_or_b64 exec, exec, s[14:15]
	v_add_u32_e32 v15, 24, v5
	v_cmp_le_i32_e64 s[10:11], s16, v15
	s_and_saveexec_b64 s[14:15], s[10:11]
	s_xor_b64 s[10:11], exec, s[14:15]
	s_cbranch_execz .LBB54_106
; %bb.105:
	v_mov_b32_e32 v20, 0
	v_mov_b32_e32 v21, v20
	;; [unrolled: 1-line block ×4, first 2 shown]
	ds_write_b128 v18, v[20:23] offset:12672
                                        ; implicit-def: $vgpr18
.LBB54_106:
	s_andn2_saveexec_b64 s[14:15], s[10:11]
	s_cbranch_execz .LBB54_108
; %bb.107:
	s_mul_i32 s10, s26, 24
	s_ashr_i32 s11, s10, 31
	s_lshl_b64 s[10:11], s[10:11], 4
	v_mov_b32_e32 v19, s11
	v_add_co_u32_e64 v20, s[10:11], s10, v8
	v_addc_co_u32_e64 v21, s[10:11], v9, v19, s[10:11]
	flat_load_dwordx4 v[20:23], v[20:21]
	v_add_u32_e32 v18, 0x3180, v18
	s_waitcnt vmcnt(0) lgkmcnt(0)
	ds_write2_b64 v18, v[20:21], v[22:23] offset1:1
.LBB54_108:
	s_or_b64 exec, exec, s[14:15]
	v_add_co_u32_e64 v8, s[10:11], v8, v11
	v_addc_co_u32_e64 v9, s[10:11], 0, v9, s[10:11]
	v_mov_b32_e32 v11, s13
	v_subrev_co_u32_e64 v8, s[10:11], s12, v8
	v_subb_co_u32_e64 v9, s[10:11], v9, v11, s[10:11]
	v_add_co_u32_e64 v8, s[10:11], 16, v8
	v_addc_co_u32_e64 v9, s[10:11], 0, v9, s[10:11]
	v_cndmask_b32_e32 v41, v9, v7, vcc
	v_cndmask_b32_e32 v40, v8, v6, vcc
	s_branch .LBB54_126
.LBB54_109:
	v_cmp_eq_u32_e32 vcc, v15, v4
	s_and_saveexec_b64 s[16:17], vcc
	s_cbranch_execz .LBB54_111
; %bb.110:
	v_mul_u32_u24_e32 v8, 34, v4
	v_lshlrev_b32_e32 v15, 4, v8
	v_mov_b32_e32 v8, 0
	v_mov_b32_e32 v9, v8
	ds_write_b64 v15, v[8:9] offset:8
.LBB54_111:
	s_or_b64 exec, exec, s[16:17]
	s_andn2_saveexec_b64 s[14:15], s[14:15]
	s_cbranch_execz .LBB54_82
.LBB54_112:
	ds_read_b128 v[20:23], v16
	s_waitcnt lgkmcnt(0)
	v_xor_b32_e32 v23, 0x80000000, v23
	ds_write_b128 v13, v[20:23]
	s_or_b64 exec, exec, s[14:15]
	s_and_saveexec_b64 s[14:15], s[8:9]
	s_xor_b64 s[8:9], exec, s[14:15]
	s_cbranch_execz .LBB54_83
.LBB54_113:
	ds_read_b128 v[20:23], v45
                                        ; implicit-def: $vgpr14
	s_waitcnt lgkmcnt(0)
	v_xor_b32_e32 v23, 0x80000000, v23
	ds_write_b128 v13, v[20:23] offset:16
	s_andn2_saveexec_b64 s[8:9], s[8:9]
	s_cbranch_execz .LBB54_84
.LBB54_114:
	v_cmp_eq_u32_e32 vcc, v14, v4
	s_and_saveexec_b64 s[14:15], vcc
	s_cbranch_execz .LBB54_116
; %bb.115:
	v_mul_u32_u24_e32 v8, 34, v4
	v_lshlrev_b32_e32 v14, 4, v8
	v_mov_b32_e32 v8, 0
	v_mov_b32_e32 v9, v8
	ds_write_b64 v14, v[8:9] offset:8
.LBB54_116:
	s_or_b64 exec, exec, s[14:15]
	s_or_b64 exec, exec, s[8:9]
	s_and_saveexec_b64 s[8:9], s[10:11]
	s_xor_b64 s[8:9], exec, s[8:9]
	s_cbranch_execz .LBB54_85
.LBB54_117:
	v_cmp_eq_u32_e32 vcc, v17, v4
	s_and_saveexec_b64 s[10:11], vcc
	s_cbranch_execz .LBB54_119
; %bb.118:
	v_mul_u32_u24_e32 v8, 34, v4
	v_lshlrev_b32_e32 v14, 4, v8
	v_mov_b32_e32 v8, 0
	v_mov_b32_e32 v9, v8
	ds_write_b64 v14, v[8:9] offset:8
.LBB54_119:
	s_or_b64 exec, exec, s[10:11]
	s_andn2_saveexec_b64 s[8:9], s[8:9]
	s_cbranch_execz .LBB54_86
.LBB54_120:
	ds_read_b128 v[20:23], v45 offset:528
	s_waitcnt lgkmcnt(0)
	v_xor_b32_e32 v23, 0x80000000, v23
	ds_write_b128 v13, v[20:23] offset:32
	s_or_b64 exec, exec, s[8:9]
	s_and_saveexec_b64 s[8:9], s[12:13]
	s_xor_b64 s[8:9], exec, s[8:9]
	s_cbranch_execz .LBB54_87
.LBB54_121:
	v_cmp_eq_u32_e32 vcc, v18, v4
	s_and_saveexec_b64 s[10:11], vcc
	s_cbranch_execz .LBB54_123
; %bb.122:
	v_mul_u32_u24_e32 v8, 34, v4
	v_lshlrev_b32_e32 v13, 4, v8
	v_mov_b32_e32 v8, 0
	v_mov_b32_e32 v9, v8
	ds_write_b64 v13, v[8:9] offset:8
.LBB54_123:
	s_or_b64 exec, exec, s[10:11]
                                        ; implicit-def: $vgpr13
	s_or_saveexec_b64 s[8:9], s[8:9]
	v_add_u32_e32 v17, 0x4700, v19
	s_xor_b64 exec, exec, s[8:9]
	s_cbranch_execnz .LBB54_88
	s_branch .LBB54_89
.LBB54_124:
                                        ; implicit-def: $vgpr40_vgpr41
                                        ; implicit-def: $vgpr13
                                        ; implicit-def: $vgpr14
                                        ; implicit-def: $vgpr15
	s_cbranch_execz .LBB54_126
; %bb.125:
	flat_load_dwordx4 v[18:21], v[6:7]
	s_lshl_b32 s10, s26, 3
	s_ashr_i32 s11, s10, 31
	s_lshl_b64 s[10:11], s[10:11], 4
	v_add_lshl_u32 v4, v10, v4, 4
	v_mov_b32_e32 v8, s11
	v_add_co_u32_e32 v14, vcc, s10, v6
	v_addc_co_u32_e32 v15, vcc, v7, v8, vcc
	s_ashr_i32 s27, s26, 31
	s_lshl_b64 s[10:11], s[26:27], 7
	v_add_u32_e32 v13, 0x1080, v4
	v_pk_mov_b32 v[40:41], v[6:7], v[6:7] op_sel:[0,1]
	s_waitcnt vmcnt(0) lgkmcnt(0)
	ds_write2_b64 v4, v[18:19], v[20:21] offset1:1
	flat_load_dwordx4 v[8:11], v[14:15]
	v_mov_b32_e32 v18, s11
	v_add_co_u32_e32 v14, vcc, s10, v14
	v_addc_co_u32_e32 v15, vcc, v15, v18, vcc
	s_waitcnt vmcnt(0) lgkmcnt(0)
	ds_write2_b64 v13, v[8:9], v[10:11] offset1:1
	flat_load_dwordx4 v[8:11], v[14:15]
	v_add_u32_e32 v13, 0x2100, v4
	v_add_co_u32_e32 v14, vcc, s10, v14
	v_addc_co_u32_e32 v15, vcc, v15, v18, vcc
	v_add_u32_e32 v4, 0x3180, v4
	s_waitcnt vmcnt(0) lgkmcnt(0)
	ds_write2_b64 v13, v[8:9], v[10:11] offset1:1
	flat_load_dwordx4 v[8:11], v[14:15]
	v_add_u32_e32 v13, 8, v5
	v_add_u32_e32 v14, 16, v5
	v_add_u32_e32 v15, 24, v5
	s_waitcnt vmcnt(0) lgkmcnt(0)
	ds_write2_b64 v4, v[8:9], v[10:11] offset1:1
.LBB54_126:
	v_lshlrev_b32_e32 v4, 4, v5
	s_waitcnt lgkmcnt(0)
	s_barrier
	ds_read_b128 v[46:49], v44
	ds_read_b128 v[50:53], v4 offset:18176
	v_add_lshl_u32 v4, v13, v12, 4
	v_lshlrev_b32_e32 v5, 4, v13
	ds_read_b128 v[54:57], v4
	ds_read_b128 v[58:61], v5 offset:18176
	s_waitcnt lgkmcnt(2)
	v_mul_f64 v[4:5], v[48:49], v[52:53]
	v_fmac_f64_e32 v[4:5], v[46:47], v[50:51]
	v_add_f64 v[4:5], v[4:5], 0
	s_waitcnt lgkmcnt(0)
	v_mul_f64 v[6:7], v[56:57], v[60:61]
	v_fmac_f64_e32 v[6:7], v[54:55], v[58:59]
	v_add_f64 v[4:5], v[4:5], v[6:7]
	v_add_lshl_u32 v6, v14, v12, 4
	v_mul_f64 v[70:71], v[48:49], v[50:51]
	v_mul_f64 v[72:73], v[56:57], v[58:59]
	v_lshlrev_b32_e32 v7, 4, v14
	ds_read_b128 v[48:51], v6
	ds_read_b128 v[56:59], v7 offset:18176
	v_add_lshl_u32 v6, v15, v12, 4
	v_lshlrev_b32_e32 v7, 4, v15
	ds_read_b128 v[62:65], v6
	ds_read_b128 v[66:69], v7 offset:18176
	v_fma_f64 v[46:47], v[46:47], v[52:53], -v[70:71]
	s_waitcnt lgkmcnt(2)
	v_mul_f64 v[6:7], v[50:51], v[58:59]
	v_fmac_f64_e32 v[6:7], v[48:49], v[56:57]
	v_add_f64 v[4:5], v[4:5], v[6:7]
	s_waitcnt lgkmcnt(0)
	v_mul_f64 v[6:7], v[64:65], v[68:69]
	v_fmac_f64_e32 v[6:7], v[62:63], v[66:67]
	v_mul_f64 v[56:57], v[50:51], v[56:57]
	v_add_f64 v[50:51], v[4:5], v[6:7]
	ds_read_b128 v[20:23], v17 offset:528
	ds_read_b128 v[12:15], v17 offset:544
	ds_read_b128 v[28:31], v17 offset:512
	ds_read_b128 v[32:35], v16
	ds_read_b128 v[4:7], v17 offset:560
	ds_read_b128 v[24:27], v45
	ds_read_b128 v[16:19], v45 offset:528
	ds_read_b128 v[8:11], v45 offset:1056
	v_add_f64 v[46:47], v[46:47], 0
	v_fma_f64 v[52:53], v[54:55], v[60:61], -v[72:73]
	v_mul_f64 v[64:65], v[64:65], v[66:67]
	v_add_f64 v[46:47], v[46:47], v[52:53]
	v_fma_f64 v[48:49], v[48:49], v[58:59], -v[56:57]
	v_add_f64 v[46:47], v[46:47], v[48:49]
	v_fma_f64 v[48:49], v[62:63], v[68:69], -v[64:65]
	v_add_f64 v[52:53], v[46:47], v[48:49]
	s_waitcnt lgkmcnt(0)
	s_barrier
	ds_write_b128 v44, v[50:53]
	s_waitcnt lgkmcnt(0)
	s_barrier
	s_and_saveexec_b64 s[10:11], s[8:9]
	s_cbranch_execz .LBB54_128
; %bb.127:
	ds_read_b128 v[46:49], v43
	ds_read_b128 v[50:53], v43 offset:16
	ds_read_b128 v[54:57], v43 offset:32
	;; [unrolled: 1-line block ×3, first 2 shown]
	s_waitcnt lgkmcnt(3)
	v_add_f64 v[0:1], v[0:1], v[46:47]
	v_add_f64 v[2:3], v[2:3], v[48:49]
	s_waitcnt lgkmcnt(2)
	v_add_f64 v[0:1], v[0:1], v[50:51]
	v_add_f64 v[46:47], v[2:3], v[52:53]
	s_waitcnt lgkmcnt(1)
	v_add_f64 v[48:49], v[0:1], v[54:55]
	ds_read_b128 v[0:3], v43 offset:64
	v_add_f64 v[46:47], v[46:47], v[56:57]
	s_waitcnt lgkmcnt(1)
	v_add_f64 v[50:51], v[48:49], v[58:59]
	v_add_f64 v[54:55], v[46:47], v[60:61]
	ds_read_b128 v[46:49], v43 offset:80
	s_waitcnt lgkmcnt(1)
	v_add_f64 v[56:57], v[50:51], v[0:1]
	ds_read_b128 v[50:53], v43 offset:96
	v_add_f64 v[54:55], v[54:55], v[2:3]
	ds_read_b128 v[0:3], v43 offset:112
	s_waitcnt lgkmcnt(2)
	v_add_f64 v[46:47], v[56:57], v[46:47]
	v_add_f64 v[48:49], v[54:55], v[48:49]
	s_waitcnt lgkmcnt(1)
	v_add_f64 v[46:47], v[46:47], v[50:51]
	v_add_f64 v[48:49], v[48:49], v[52:53]
	;; [unrolled: 3-line block ×3, first 2 shown]
.LBB54_128:
	s_or_b64 exec, exec, s[10:11]
	v_mul_f64 v[46:47], v[30:31], v[34:35]
	v_fma_f64 v[46:47], v[28:29], v[32:33], -v[46:47]
	v_mul_f64 v[28:29], v[28:29], v[34:35]
	v_fmac_f64_e32 v[28:29], v[30:31], v[32:33]
	v_mul_f64 v[32:33], v[22:23], v[26:27]
	v_fma_f64 v[32:33], v[20:21], v[24:25], -v[32:33]
	v_mul_f64 v[20:21], v[20:21], v[26:27]
	v_fmac_f64_e32 v[20:21], v[22:23], v[24:25]
	v_mul_f64 v[24:25], v[14:15], v[18:19]
	v_add_f64 v[30:31], v[46:47], 0
	v_add_f64 v[28:29], v[28:29], 0
	v_fma_f64 v[24:25], v[12:13], v[16:17], -v[24:25]
	v_mul_f64 v[12:13], v[12:13], v[18:19]
	v_add_f64 v[22:23], v[30:31], v[32:33]
	v_add_f64 v[20:21], v[28:29], v[20:21]
	v_fmac_f64_e32 v[12:13], v[14:15], v[16:17]
	v_mul_f64 v[16:17], v[6:7], v[10:11]
	v_mul_f64 v[10:11], v[4:5], v[10:11]
	v_add_f64 v[14:15], v[22:23], v[24:25]
	v_add_f64 v[12:13], v[20:21], v[12:13]
	v_fma_f64 v[16:17], v[4:5], v[8:9], -v[16:17]
	v_fmac_f64_e32 v[10:11], v[6:7], v[8:9]
	v_add_f64 v[4:5], v[14:15], v[16:17]
	v_add_f64 v[6:7], v[12:13], v[10:11]
	s_barrier
	ds_write_b128 v44, v[4:7]
	s_waitcnt lgkmcnt(0)
	s_barrier
	s_and_saveexec_b64 s[8:9], s[2:3]
	s_cbranch_execz .LBB54_130
; %bb.129:
	ds_read_b128 v[4:7], v43
	ds_read_b128 v[8:11], v43 offset:16
	ds_read_b128 v[12:15], v43 offset:32
	;; [unrolled: 1-line block ×3, first 2 shown]
	s_waitcnt lgkmcnt(3)
	v_add_f64 v[0:1], v[0:1], v[4:5]
	v_add_f64 v[2:3], v[2:3], v[6:7]
	s_waitcnt lgkmcnt(2)
	v_add_f64 v[0:1], v[0:1], v[8:9]
	v_add_f64 v[4:5], v[2:3], v[10:11]
	s_waitcnt lgkmcnt(1)
	v_add_f64 v[6:7], v[0:1], v[12:13]
	ds_read_b128 v[0:3], v43 offset:64
	v_add_f64 v[4:5], v[4:5], v[14:15]
	s_waitcnt lgkmcnt(1)
	v_add_f64 v[8:9], v[6:7], v[16:17]
	v_add_f64 v[12:13], v[4:5], v[18:19]
	ds_read_b128 v[4:7], v43 offset:80
	s_waitcnt lgkmcnt(1)
	v_add_f64 v[14:15], v[8:9], v[0:1]
	ds_read_b128 v[8:11], v43 offset:96
	v_add_f64 v[12:13], v[12:13], v[2:3]
	ds_read_b128 v[0:3], v43 offset:112
	s_waitcnt lgkmcnt(2)
	v_add_f64 v[4:5], v[14:15], v[4:5]
	v_add_f64 v[6:7], v[12:13], v[6:7]
	s_waitcnt lgkmcnt(1)
	v_add_f64 v[4:5], v[4:5], v[8:9]
	v_add_f64 v[6:7], v[6:7], v[10:11]
	;; [unrolled: 3-line block ×3, first 2 shown]
.LBB54_130:
	s_or_b64 exec, exec, s[8:9]
	s_load_dwordx2 s[2:3], s[4:5], 0x78
	s_mul_hi_u32 s4, s40, s22
	s_mul_i32 s41, s41, s22
	s_add_i32 s4, s4, s41
	s_mul_i32 s8, s40, s22
	s_mul_i32 s4, s4, s7
	s_mul_hi_u32 s5, s8, s7
	s_add_i32 s5, s5, s4
	s_mul_i32 s4, s8, s7
	s_lshl_b64 s[4:5], s[4:5], 4
	s_waitcnt lgkmcnt(0)
	s_add_u32 s4, s2, s4
	s_addc_u32 s5, s3, s5
	s_mul_hi_i32 s3, s40, s6
	s_mul_i32 s2, s40, s6
	s_lshl_b64 s[2:3], s[2:3], 4
	s_add_u32 s19, s4, s2
	s_addc_u32 s25, s5, s3
	s_add_i32 s10, s6, 1
	s_cmp_ge_u32 s10, s7
	v_lshlrev_b32_e32 v211, 4, v168
	s_barrier
	s_cbranch_scc1 .LBB54_188
; %bb.131:
	v_and_b32_e32 v8, 48, v168
	s_mul_i32 s2, s24, s23
	v_and_b32_e32 v6, 15, v168
	v_lshlrev_b32_e32 v9, 4, v8
	s_movk_i32 s4, 0x430
	s_ashr_i32 s3, s2, 31
	v_lshrrev_b32_e32 v7, 4, v42
	v_mad_u32_u24 v217, v6, s4, v9
	v_or_b32_e32 v9, 0xf0, v211
	s_lshl_b64 s[2:3], s[2:3], 4
	v_mad_u32_u24 v218, v6, s4, v9
	v_lshlrev_b32_e32 v9, 6, v7
	v_lshlrev_b32_e32 v212, 2, v209
	v_mov_b32_e32 v4, s3
	v_subrev_co_u32_e32 v213, vcc, s2, v36
	s_lshl_b32 s35, s23, 6
	s_lshl_b32 s8, s26, 4
	v_mad_u32_u24 v219, v6, s4, v9
	s_ashr_i32 s27, s26, 31
	s_lshl_b32 s16, s26, 1
	s_movk_i32 s4, 0x10c0
	s_mul_i32 s14, s26, 3
	s_mul_i32 s23, s23, s10
	v_subb_co_u32_e32 v214, vcc, v37, v4, vcc
	v_mad_u64_u32 v[4:5], s[2:3], v212, s26, v[168:169]
	s_add_i32 s34, s7, -2
	s_ashr_i32 s9, s8, 31
	s_ashr_i32 s17, s16, 31
	v_mad_u32_u24 v224, v209, s4, v211
	s_ashr_i32 s15, s14, 31
	s_lshl_b64 s[4:5], s[26:27], 4
	s_lshl_b32 s10, s23, 6
	s_lshl_b64 s[22:23], s[26:27], 5
	v_ashrrev_i32_e32 v5, 31, v4
	v_mul_i32_i24_e32 v10, 0xffffffd0, v7
	v_add_u32_e32 v7, s24, v8
	v_sub_co_u32_e32 v237, vcc, 0, v38
	s_add_u32 s11, s22, s28
	v_mov_b32_e32 v9, 0x4300
	v_add3_u32 v170, v7, v6, 64
	v_subb_co_u32_e32 v238, vcc, 0, v39, vcc
	s_addc_u32 s24, s23, s29
	v_lshlrev_b64 v[6:7], 4, v[4:5]
	v_lshl_add_u32 v223, v209, 6, v9
	v_mov_b32_e32 v8, s24
	v_add_co_u32_e32 v9, vcc, s11, v6
	v_addc_co_u32_e32 v8, vcc, v8, v7, vcc
	v_add_co_u32_e32 v172, vcc, v40, v9
	v_addc_co_u32_e32 v167, vcc, v41, v8, vcc
	v_mov_b32_e32 v8, s31
	v_add_co_u32_e32 v4, vcc, s30, v4
	v_addc_co_u32_e32 v5, vcc, v8, v5, vcc
	v_lshlrev_b64 v[4:5], 4, v[4:5]
	s_mul_i32 s36, s26, 0x300
	v_mad_i64_i32 v[8:9], s[26:27], s8, 48, v[4:5]
	s_lshl_b64 s[14:15], s[14:15], 4
	v_mov_b32_e32 v11, s15
	v_add_co_u32_e32 v12, vcc, s14, v8
	s_lshl_b64 s[12:13], s[8:9], 6
	v_addc_co_u32_e32 v11, vcc, v9, v11, vcc
	v_add_co_u32_e32 v174, vcc, v40, v12
	s_add_u32 s30, s4, s28
	v_addc_co_u32_e32 v169, vcc, v41, v11, vcc
	s_addc_u32 s31, s5, s29
	v_mov_b32_e32 v11, s31
	v_add_co_u32_e32 v12, vcc, s30, v6
	v_addc_co_u32_e32 v11, vcc, v11, v7, vcc
	v_add_co_u32_e32 v176, vcc, v40, v12
	v_addc_co_u32_e32 v173, vcc, v41, v11, vcc
	s_lshl_b64 s[16:17], s[16:17], 4
	v_mov_b32_e32 v11, s17
	v_add_co_u32_e32 v12, vcc, s16, v8
	v_addc_co_u32_e32 v11, vcc, v9, v11, vcc
	v_add_co_u32_e32 v178, vcc, v40, v12
	v_addc_co_u32_e32 v175, vcc, v41, v11, vcc
	v_mov_b32_e32 v11, s29
	v_add_co_u32_e32 v12, vcc, s28, v6
	v_addc_co_u32_e32 v11, vcc, v11, v7, vcc
	v_add_co_u32_e32 v180, vcc, v40, v12
	v_addc_co_u32_e32 v177, vcc, v41, v11, vcc
	v_add_co_u32_e32 v182, vcc, v40, v8
	s_add_u32 s26, s28, s16
	v_addc_co_u32_e32 v179, vcc, v41, v9, vcc
	s_addc_u32 s27, s29, s17
	v_mov_b32_e32 v11, s27
	v_add_co_u32_e32 v12, vcc, s26, v6
	v_addc_co_u32_e32 v11, vcc, v11, v7, vcc
	v_add_co_u32_e32 v184, vcc, v40, v12
	v_addc_co_u32_e32 v181, vcc, v41, v11, vcc
	v_mov_b32_e32 v11, s5
	v_add_co_u32_e32 v8, vcc, s4, v8
	v_addc_co_u32_e32 v9, vcc, v9, v11, vcc
	v_add_co_u32_e32 v186, vcc, v40, v8
	s_add_u32 s26, s28, s14
	v_addc_co_u32_e32 v183, vcc, v41, v9, vcc
	s_addc_u32 s27, s29, s15
	v_mov_b32_e32 v8, s27
	v_add_co_u32_e32 v9, vcc, s26, v6
	v_addc_co_u32_e32 v8, vcc, v8, v7, vcc
	s_lshl_b64 s[26:27], s[8:9], 4
	v_add_co_u32_e32 v188, vcc, v40, v9
	s_add_u32 s38, s11, s26
	v_addc_co_u32_e32 v185, vcc, v41, v8, vcc
	s_addc_u32 s39, s24, s27
	v_mov_b32_e32 v8, s39
	v_add_co_u32_e32 v9, vcc, s38, v6
	v_addc_co_u32_e32 v8, vcc, v8, v7, vcc
	s_mul_hi_i32 s37, s8, 48
	v_add_co_u32_e32 v190, vcc, v40, v9
	s_add_u32 s22, s36, s22
	v_addc_co_u32_e32 v187, vcc, v41, v8, vcc
	s_addc_u32 s23, s37, s23
	s_lshl_b64 s[8:9], s[8:9], 5
	v_mov_b32_e32 v8, s23
	v_add_co_u32_e32 v4, vcc, s22, v4
	s_add_u32 s22, s8, s28
	v_addc_co_u32_e32 v5, vcc, v8, v5, vcc
	s_addc_u32 s23, s9, s29
	v_add_co_u32_e32 v192, vcc, v40, v4
	s_add_u32 s36, s22, s14
	v_addc_co_u32_e32 v189, vcc, v41, v5, vcc
	s_addc_u32 s37, s23, s15
	v_mov_b32_e32 v4, s37
	v_add_co_u32_e32 v5, vcc, s36, v6
	v_addc_co_u32_e32 v4, vcc, v4, v7, vcc
	v_add_co_u32_e32 v194, vcc, v40, v5
	s_add_u32 s30, s30, s26
	v_addc_co_u32_e32 v191, vcc, v41, v4, vcc
	s_addc_u32 s31, s31, s27
	v_mov_b32_e32 v4, s31
	v_add_co_u32_e32 v5, vcc, s30, v6
	v_addc_co_u32_e32 v4, vcc, v4, v7, vcc
	;; [unrolled: 7-line block ×4, first 2 shown]
	v_add_co_u32_e32 v200, vcc, v40, v5
	v_addc_co_u32_e32 v197, vcc, v41, v4, vcc
	v_mov_b32_e32 v4, s23
	v_add_co_u32_e32 v5, vcc, s22, v6
	v_addc_co_u32_e32 v4, vcc, v4, v7, vcc
	v_add_co_u32_e32 v202, vcc, v40, v5
	s_add_u32 s16, s26, s16
	v_addc_co_u32_e32 v199, vcc, v41, v4, vcc
	s_addc_u32 s17, s27, s17
	v_mov_b32_e32 v4, s17
	v_add_co_u32_e32 v5, vcc, s16, v6
	v_addc_co_u32_e32 v4, vcc, v4, v7, vcc
	v_add_co_u32_e32 v204, vcc, v40, v5
	s_add_u32 s4, s22, s4
	v_addc_co_u32_e32 v201, vcc, v41, v4, vcc
	s_addc_u32 s5, s23, s5
	;; [unrolled: 7-line block ×4, first 2 shown]
	v_mov_b32_e32 v4, s5
	v_add_co_u32_e32 v5, vcc, s4, v6
	v_addc_co_u32_e32 v4, vcc, v4, v7, vcc
	v_add_co_u32_e32 v210, vcc, v40, v5
	v_add_u32_e32 v215, 0x4300, v211
	v_add_u32_e32 v216, 0x4700, v211
	v_cmp_gt_u32_e64 s[2:3], 64, v42
	v_or_b32_e32 v220, 1, v212
	v_or_b32_e32 v221, 2, v212
	;; [unrolled: 1-line block ×3, first 2 shown]
	v_add_u32_e32 v225, 16, v212
	v_add_u32_e32 v226, 17, v212
	;; [unrolled: 1-line block ×12, first 2 shown]
	v_addc_co_u32_e32 v207, vcc, v41, v4, vcc
	v_add_u32_e32 v239, v219, v10
	v_mov_b32_e32 v4, 0
	s_cmp_eq_u32 s34, s6
	s_cselect_b32 s24, s33, 0
	s_and_saveexec_b64 s[4:5], s[0:1]
	s_cbranch_execz .LBB54_136
.LBB54_132:
	s_cmp_lg_u32 s24, 0
	s_cselect_b64 s[8:9], -1, 0
	v_cmp_le_i32_e32 vcc, s24, v168
	s_and_b64 s[8:9], s[8:9], vcc
	s_and_saveexec_b64 s[14:15], s[8:9]
	s_xor_b64 s[8:9], exec, s[14:15]
	s_cbranch_execz .LBB54_134
; %bb.133:
	v_mov_b32_e32 v5, v4
	v_mov_b32_e32 v6, v4
	;; [unrolled: 1-line block ×3, first 2 shown]
	ds_write_b128 v215, v[4:7]
.LBB54_134:
	s_andn2_saveexec_b64 s[8:9], s[8:9]
	s_cbranch_execz .LBB54_136
; %bb.135:
	s_ashr_i32 s11, s10, 31
	s_lshl_b64 s[8:9], s[10:11], 4
	v_mov_b32_e32 v5, s9
	v_add_co_u32_e32 v6, vcc, s8, v213
	v_addc_co_u32_e32 v7, vcc, v214, v5, vcc
	flat_load_dwordx4 v[6:9], v[6:7]
	s_waitcnt vmcnt(0) lgkmcnt(0)
	ds_write2_b64 v215, v[6:7], v[8:9] offset1:1
.LBB54_136:                             ; =>This Inner Loop Header: Depth=1
	s_or_b64 exec, exec, s[4:5]
	s_cmp_eq_u32 s24, 0
	v_add_co_u32_e32 v18, vcc, v180, v237
	s_cselect_b64 s[14:15], -1, 0
	s_cmp_lg_u32 s24, 0
	v_addc_co_u32_e32 v19, vcc, v177, v238, vcc
	s_cselect_b64 s[8:9], -1, 0
	s_and_b64 vcc, exec, s[8:9]
	s_waitcnt lgkmcnt(0)
	s_barrier
	s_cbranch_vccz .LBB54_144
; %bb.137:                              ;   in Loop: Header=BB54_136 Depth=1
	v_pk_mov_b32 v[10:11], 0, 0
	v_cmp_gt_i32_e32 vcc, s24, v212
	v_pk_mov_b32 v[6:7], v[10:11], v[10:11] op_sel:[0,1]
	v_pk_mov_b32 v[8:9], v[10:11], v[10:11] op_sel:[0,1]
	s_and_saveexec_b64 s[4:5], vcc
	s_cbranch_execz .LBB54_139
; %bb.138:                              ;   in Loop: Header=BB54_136 Depth=1
	flat_load_dwordx4 v[6:9], v[18:19]
.LBB54_139:                             ;   in Loop: Header=BB54_136 Depth=1
	s_or_b64 exec, exec, s[4:5]
	v_cmp_gt_i32_e32 vcc, s24, v220
	v_pk_mov_b32 v[12:13], v[10:11], v[10:11] op_sel:[0,1]
	s_and_saveexec_b64 s[4:5], vcc
	s_cbranch_execz .LBB54_141
; %bb.140:                              ;   in Loop: Header=BB54_136 Depth=1
	v_add_co_u32_e32 v10, vcc, v176, v237
	v_addc_co_u32_e32 v11, vcc, v173, v238, vcc
	flat_load_dwordx4 v[10:13], v[10:11]
.LBB54_141:                             ;   in Loop: Header=BB54_136 Depth=1
	s_or_b64 exec, exec, s[4:5]
	v_pk_mov_b32 v[14:15], 0, 0
	v_cmp_gt_i32_e32 vcc, s24, v221
	s_mov_b64 s[22:23], 0
	v_pk_mov_b32 v[16:17], v[14:15], v[14:15] op_sel:[0,1]
	s_and_saveexec_b64 s[4:5], vcc
	s_cbranch_execz .LBB54_143
; %bb.142:                              ;   in Loop: Header=BB54_136 Depth=1
	v_add_co_u32_e32 v14, vcc, v184, v237
	v_addc_co_u32_e32 v15, vcc, v181, v238, vcc
	flat_load_dwordx4 v[14:17], v[14:15]
.LBB54_143:                             ;   in Loop: Header=BB54_136 Depth=1
	s_or_b64 exec, exec, s[4:5]
	v_cmp_gt_i32_e64 s[4:5], s24, v222
	s_mov_b64 s[16:17], 0
	s_and_b64 vcc, exec, s[22:23]
	s_cbranch_vccnz .LBB54_145
	s_branch .LBB54_146
.LBB54_144:                             ;   in Loop: Header=BB54_136 Depth=1
	s_mov_b64 s[4:5], 0
                                        ; implicit-def: $sgpr16_sgpr17
                                        ; implicit-def: $vgpr16_vgpr17
                                        ; implicit-def: $vgpr12_vgpr13
                                        ; implicit-def: $vgpr8_vgpr9
	s_cbranch_execz .LBB54_146
.LBB54_145:                             ;   in Loop: Header=BB54_136 Depth=1
	s_waitcnt vmcnt(0) lgkmcnt(0)
	v_add_co_u32_e32 v10, vcc, v176, v237
	v_addc_co_u32_e32 v11, vcc, v173, v238, vcc
	v_add_co_u32_e32 v14, vcc, v172, v237
	v_addc_co_u32_e32 v15, vcc, v167, v238, vcc
	flat_load_dwordx4 v[6:9], v[18:19]
	s_or_b64 s[4:5], s[4:5], exec
	flat_load_dwordx4 v[10:13], v[10:11]
                                        ; implicit-def: $sgpr16_sgpr17
	s_nop 0
	flat_load_dwordx4 v[14:17], v[14:15]
.LBB54_146:                             ;   in Loop: Header=BB54_136 Depth=1
	v_pk_mov_b32 v[18:19], s[16:17], s[16:17] op_sel:[0,1]
	v_pk_mov_b32 v[20:21], s[16:17], s[16:17] op_sel:[0,1]
	s_and_saveexec_b64 s[16:17], s[4:5]
	s_cbranch_execz .LBB54_148
; %bb.147:                              ;   in Loop: Header=BB54_136 Depth=1
	v_add_co_u32_e32 v18, vcc, v188, v237
	v_addc_co_u32_e32 v19, vcc, v185, v238, vcc
	flat_load_dwordx4 v[18:21], v[18:19]
.LBB54_148:                             ;   in Loop: Header=BB54_136 Depth=1
	s_or_b64 exec, exec, s[16:17]
	ds_read_b128 v[34:37], v216
	ds_read_b128 v[22:25], v223
	v_cndmask_b32_e64 v5, 0, 1, s[8:9]
	s_andn2_b64 vcc, exec, s[8:9]
	v_add_co_u32_e64 v50, s[8:9], v200, v237
	s_waitcnt vmcnt(0) lgkmcnt(0)
	v_mul_f64 v[26:27], v[8:9], v[36:37]
	v_mul_f64 v[28:29], v[8:9], v[34:35]
	;; [unrolled: 1-line block ×3, first 2 shown]
	v_fmac_f64_e32 v[26:27], v[6:7], v[34:35]
	v_fma_f64 v[28:29], v[6:7], v[36:37], -v[28:29]
	v_mul_f64 v[32:33], v[12:13], v[34:35]
	ds_write_b128 v224, v[26:29]
	v_fmac_f64_e32 v[30:31], v[10:11], v[34:35]
	v_fma_f64 v[32:33], v[10:11], v[36:37], -v[32:33]
	v_mul_f64 v[38:39], v[16:17], v[36:37]
	v_mul_f64 v[40:41], v[16:17], v[34:35]
	;; [unrolled: 1-line block ×3, first 2 shown]
	ds_read_b128 v[26:29], v223 offset:16
	ds_write_b128 v224, v[30:33] offset:1072
	v_fmac_f64_e32 v[38:39], v[14:15], v[34:35]
	v_fma_f64 v[40:41], v[14:15], v[36:37], -v[40:41]
	v_fmac_f64_e32 v[42:43], v[18:19], v[34:35]
	v_mul_f64 v[34:35], v[20:21], v[34:35]
	ds_read_b128 v[30:33], v223 offset:32
	ds_write_b128 v224, v[38:41] offset:2144
	v_fma_f64 v[44:45], v[18:19], v[36:37], -v[34:35]
	ds_read_b128 v[38:41], v223 offset:48
	ds_write_b128 v224, v[42:45] offset:3216
	s_waitcnt lgkmcnt(0)
	s_barrier
	ds_read_b128 v[94:97], v219
	ds_read_b128 v[90:93], v219 offset:16
	ds_read_b128 v[86:89], v219 offset:32
	;; [unrolled: 1-line block ×3, first 2 shown]
	v_cmp_ne_u32_e64 s[4:5], 1, v5
	v_addc_co_u32_e64 v51, s[8:9], v197, v238, s[8:9]
	s_waitcnt lgkmcnt(0)
	s_barrier
	s_cbranch_vccnz .LBB54_156
; %bb.149:                              ;   in Loop: Header=BB54_136 Depth=1
	v_pk_mov_b32 v[42:43], 0, 0
	v_cmp_gt_i32_e32 vcc, s24, v225
	v_pk_mov_b32 v[34:35], v[42:43], v[42:43] op_sel:[0,1]
	v_pk_mov_b32 v[36:37], v[42:43], v[42:43] op_sel:[0,1]
	s_and_saveexec_b64 s[8:9], vcc
	s_cbranch_execz .LBB54_151
; %bb.150:                              ;   in Loop: Header=BB54_136 Depth=1
	flat_load_dwordx4 v[34:37], v[50:51]
.LBB54_151:                             ;   in Loop: Header=BB54_136 Depth=1
	s_or_b64 exec, exec, s[8:9]
	v_cmp_gt_i32_e32 vcc, s24, v226
	v_pk_mov_b32 v[44:45], v[42:43], v[42:43] op_sel:[0,1]
	s_and_saveexec_b64 s[8:9], vcc
	s_cbranch_execz .LBB54_153
; %bb.152:                              ;   in Loop: Header=BB54_136 Depth=1
	v_add_co_u32_e32 v42, vcc, v196, v237
	v_addc_co_u32_e32 v43, vcc, v193, v238, vcc
	flat_load_dwordx4 v[42:45], v[42:43]
.LBB54_153:                             ;   in Loop: Header=BB54_136 Depth=1
	s_or_b64 exec, exec, s[8:9]
	v_pk_mov_b32 v[46:47], 0, 0
	v_cmp_gt_i32_e32 vcc, s24, v227
	s_mov_b64 s[22:23], 0
	v_pk_mov_b32 v[48:49], v[46:47], v[46:47] op_sel:[0,1]
	s_and_saveexec_b64 s[8:9], vcc
	s_cbranch_execz .LBB54_155
; %bb.154:                              ;   in Loop: Header=BB54_136 Depth=1
	v_add_co_u32_e32 v46, vcc, v204, v237
	v_addc_co_u32_e32 v47, vcc, v201, v238, vcc
	flat_load_dwordx4 v[46:49], v[46:47]
.LBB54_155:                             ;   in Loop: Header=BB54_136 Depth=1
	s_or_b64 exec, exec, s[8:9]
	v_cmp_gt_i32_e64 s[8:9], s24, v228
	s_mov_b64 s[16:17], 0
	s_and_b64 vcc, exec, s[22:23]
	s_cbranch_vccnz .LBB54_157
	s_branch .LBB54_158
.LBB54_156:                             ;   in Loop: Header=BB54_136 Depth=1
	s_mov_b64 s[8:9], 0
                                        ; implicit-def: $sgpr16_sgpr17
                                        ; implicit-def: $vgpr48_vgpr49
                                        ; implicit-def: $vgpr44_vgpr45
                                        ; implicit-def: $vgpr36_vgpr37
	s_cbranch_execz .LBB54_158
.LBB54_157:                             ;   in Loop: Header=BB54_136 Depth=1
	s_waitcnt vmcnt(0) lgkmcnt(0)
	v_add_co_u32_e32 v42, vcc, v196, v237
	v_addc_co_u32_e32 v43, vcc, v193, v238, vcc
	v_add_co_u32_e32 v46, vcc, v190, v237
	v_addc_co_u32_e32 v47, vcc, v187, v238, vcc
	flat_load_dwordx4 v[34:37], v[50:51]
	s_or_b64 s[8:9], s[8:9], exec
	flat_load_dwordx4 v[42:45], v[42:43]
                                        ; implicit-def: $sgpr16_sgpr17
	s_nop 0
	flat_load_dwordx4 v[46:49], v[46:47]
.LBB54_158:                             ;   in Loop: Header=BB54_136 Depth=1
	v_pk_mov_b32 v[50:51], s[16:17], s[16:17] op_sel:[0,1]
	v_pk_mov_b32 v[52:53], s[16:17], s[16:17] op_sel:[0,1]
	s_and_saveexec_b64 s[16:17], s[8:9]
	s_cbranch_execz .LBB54_160
; %bb.159:                              ;   in Loop: Header=BB54_136 Depth=1
	v_add_co_u32_e32 v50, vcc, v208, v237
	v_addc_co_u32_e32 v51, vcc, v205, v238, vcc
	flat_load_dwordx4 v[50:53], v[50:51]
.LBB54_160:                             ;   in Loop: Header=BB54_136 Depth=1
	s_or_b64 exec, exec, s[16:17]
	ds_read_b128 v[66:69], v216
	ds_read_b128 v[54:57], v223 offset:256
	v_add_co_u32_e64 v98, s[8:9], v202, v237
	s_and_b64 vcc, exec, s[4:5]
	s_waitcnt vmcnt(0) lgkmcnt(0)
	v_mul_f64 v[58:59], v[36:37], v[68:69]
	v_mul_f64 v[60:61], v[36:37], v[66:67]
	;; [unrolled: 1-line block ×3, first 2 shown]
	v_fmac_f64_e32 v[58:59], v[34:35], v[66:67]
	v_fma_f64 v[60:61], v[34:35], v[68:69], -v[60:61]
	v_mul_f64 v[64:65], v[44:45], v[66:67]
	ds_write_b128 v224, v[58:61]
	v_fmac_f64_e32 v[62:63], v[42:43], v[66:67]
	v_fma_f64 v[64:65], v[42:43], v[68:69], -v[64:65]
	v_mul_f64 v[70:71], v[48:49], v[68:69]
	v_mul_f64 v[72:73], v[48:49], v[66:67]
	;; [unrolled: 1-line block ×3, first 2 shown]
	ds_read_b128 v[58:61], v223 offset:272
	ds_write_b128 v224, v[62:65] offset:1072
	v_fmac_f64_e32 v[70:71], v[46:47], v[66:67]
	v_fma_f64 v[72:73], v[46:47], v[68:69], -v[72:73]
	v_fmac_f64_e32 v[74:75], v[50:51], v[66:67]
	v_mul_f64 v[66:67], v[52:53], v[66:67]
	ds_read_b128 v[62:65], v223 offset:288
	ds_write_b128 v224, v[70:73] offset:2144
	v_fma_f64 v[76:77], v[50:51], v[68:69], -v[66:67]
	ds_read_b128 v[70:73], v223 offset:304
	ds_write_b128 v224, v[74:77] offset:3216
	s_waitcnt lgkmcnt(0)
	s_barrier
	ds_read_b128 v[146:149], v219
	ds_read_b128 v[142:145], v219 offset:16
	ds_read_b128 v[138:141], v219 offset:32
	;; [unrolled: 1-line block ×3, first 2 shown]
	v_addc_co_u32_e64 v99, s[8:9], v199, v238, s[8:9]
	s_waitcnt lgkmcnt(0)
	s_barrier
	s_cbranch_vccnz .LBB54_168
; %bb.161:                              ;   in Loop: Header=BB54_136 Depth=1
	v_pk_mov_b32 v[74:75], 0, 0
	v_cmp_gt_i32_e32 vcc, s24, v229
	v_pk_mov_b32 v[66:67], v[74:75], v[74:75] op_sel:[0,1]
	v_pk_mov_b32 v[68:69], v[74:75], v[74:75] op_sel:[0,1]
	s_and_saveexec_b64 s[8:9], vcc
	s_cbranch_execz .LBB54_163
; %bb.162:                              ;   in Loop: Header=BB54_136 Depth=1
	flat_load_dwordx4 v[66:69], v[98:99]
.LBB54_163:                             ;   in Loop: Header=BB54_136 Depth=1
	s_or_b64 exec, exec, s[8:9]
	v_cmp_gt_i32_e32 vcc, s24, v230
	v_pk_mov_b32 v[76:77], v[74:75], v[74:75] op_sel:[0,1]
	s_and_saveexec_b64 s[8:9], vcc
	s_cbranch_execz .LBB54_165
; %bb.164:                              ;   in Loop: Header=BB54_136 Depth=1
	v_add_co_u32_e32 v74, vcc, v206, v237
	v_addc_co_u32_e32 v75, vcc, v203, v238, vcc
	flat_load_dwordx4 v[74:77], v[74:75]
.LBB54_165:                             ;   in Loop: Header=BB54_136 Depth=1
	s_or_b64 exec, exec, s[8:9]
	v_pk_mov_b32 v[78:79], 0, 0
	v_cmp_gt_i32_e32 vcc, s24, v231
	s_mov_b64 s[22:23], 0
	v_pk_mov_b32 v[80:81], v[78:79], v[78:79] op_sel:[0,1]
	s_and_saveexec_b64 s[8:9], vcc
	s_cbranch_execz .LBB54_167
; %bb.166:                              ;   in Loop: Header=BB54_136 Depth=1
	v_add_co_u32_e32 v78, vcc, v198, v237
	v_addc_co_u32_e32 v79, vcc, v195, v238, vcc
	flat_load_dwordx4 v[78:81], v[78:79]
.LBB54_167:                             ;   in Loop: Header=BB54_136 Depth=1
	s_or_b64 exec, exec, s[8:9]
	v_cmp_gt_i32_e64 s[8:9], s24, v232
	s_mov_b64 s[16:17], 0
	s_and_b64 vcc, exec, s[22:23]
	s_cbranch_vccnz .LBB54_169
	s_branch .LBB54_170
.LBB54_168:                             ;   in Loop: Header=BB54_136 Depth=1
	s_mov_b64 s[8:9], 0
                                        ; implicit-def: $sgpr16_sgpr17
                                        ; implicit-def: $vgpr80_vgpr81
                                        ; implicit-def: $vgpr76_vgpr77
                                        ; implicit-def: $vgpr68_vgpr69
	s_cbranch_execz .LBB54_170
.LBB54_169:                             ;   in Loop: Header=BB54_136 Depth=1
	s_waitcnt vmcnt(0) lgkmcnt(0)
	v_add_co_u32_e32 v74, vcc, v206, v237
	v_addc_co_u32_e32 v75, vcc, v203, v238, vcc
	v_add_co_u32_e32 v78, vcc, v210, v237
	v_addc_co_u32_e32 v79, vcc, v207, v238, vcc
	flat_load_dwordx4 v[66:69], v[98:99]
	s_or_b64 s[8:9], s[8:9], exec
	flat_load_dwordx4 v[74:77], v[74:75]
                                        ; implicit-def: $sgpr16_sgpr17
	s_nop 0
	flat_load_dwordx4 v[78:81], v[78:79]
.LBB54_170:                             ;   in Loop: Header=BB54_136 Depth=1
	v_pk_mov_b32 v[98:99], s[16:17], s[16:17] op_sel:[0,1]
	v_pk_mov_b32 v[100:101], s[16:17], s[16:17] op_sel:[0,1]
	s_and_saveexec_b64 s[16:17], s[8:9]
	s_cbranch_execz .LBB54_172
; %bb.171:                              ;   in Loop: Header=BB54_136 Depth=1
	v_add_co_u32_e32 v98, vcc, v194, v237
	v_addc_co_u32_e32 v99, vcc, v191, v238, vcc
	flat_load_dwordx4 v[98:101], v[98:99]
.LBB54_172:                             ;   in Loop: Header=BB54_136 Depth=1
	s_or_b64 exec, exec, s[16:17]
	ds_read_b128 v[114:117], v216
	ds_read_b128 v[102:105], v223 offset:512
	s_and_b64 vcc, exec, s[4:5]
	v_add_co_u32_e64 v130, s[4:5], v182, v237
	s_waitcnt vmcnt(0) lgkmcnt(0)
	v_mul_f64 v[106:107], v[68:69], v[116:117]
	v_mul_f64 v[108:109], v[68:69], v[114:115]
	;; [unrolled: 1-line block ×3, first 2 shown]
	v_fmac_f64_e32 v[106:107], v[66:67], v[114:115]
	v_fma_f64 v[108:109], v[66:67], v[116:117], -v[108:109]
	v_mul_f64 v[112:113], v[76:77], v[114:115]
	ds_write_b128 v224, v[106:109]
	v_fmac_f64_e32 v[110:111], v[74:75], v[114:115]
	v_fma_f64 v[112:113], v[74:75], v[116:117], -v[112:113]
	v_mul_f64 v[118:119], v[80:81], v[116:117]
	v_mul_f64 v[120:121], v[80:81], v[114:115]
	;; [unrolled: 1-line block ×3, first 2 shown]
	ds_read_b128 v[106:109], v223 offset:528
	ds_write_b128 v224, v[110:113] offset:1072
	v_fmac_f64_e32 v[118:119], v[78:79], v[114:115]
	v_fma_f64 v[120:121], v[78:79], v[116:117], -v[120:121]
	v_fmac_f64_e32 v[122:123], v[98:99], v[114:115]
	v_mul_f64 v[114:115], v[100:101], v[114:115]
	ds_read_b128 v[110:113], v223 offset:544
	ds_write_b128 v224, v[118:121] offset:2144
	v_fma_f64 v[124:125], v[98:99], v[116:117], -v[114:115]
	ds_read_b128 v[118:121], v223 offset:560
	ds_write_b128 v224, v[122:125] offset:3216
	s_waitcnt lgkmcnt(0)
	s_barrier
	ds_read_b128 v[162:165], v219
	ds_read_b128 v[158:161], v219 offset:16
	ds_read_b128 v[154:157], v219 offset:32
	;; [unrolled: 1-line block ×3, first 2 shown]
	v_addc_co_u32_e64 v131, s[4:5], v179, v238, s[4:5]
	s_waitcnt lgkmcnt(0)
	s_barrier
	s_cbranch_vccnz .LBB54_180
; %bb.173:                              ;   in Loop: Header=BB54_136 Depth=1
	v_pk_mov_b32 v[122:123], 0, 0
	v_cmp_gt_i32_e32 vcc, s24, v233
	v_pk_mov_b32 v[114:115], v[122:123], v[122:123] op_sel:[0,1]
	v_pk_mov_b32 v[116:117], v[122:123], v[122:123] op_sel:[0,1]
	s_and_saveexec_b64 s[4:5], vcc
	s_cbranch_execz .LBB54_175
; %bb.174:                              ;   in Loop: Header=BB54_136 Depth=1
	flat_load_dwordx4 v[114:117], v[130:131]
.LBB54_175:                             ;   in Loop: Header=BB54_136 Depth=1
	s_or_b64 exec, exec, s[4:5]
	v_cmp_gt_i32_e32 vcc, s24, v234
	v_pk_mov_b32 v[124:125], v[122:123], v[122:123] op_sel:[0,1]
	s_and_saveexec_b64 s[4:5], vcc
	s_cbranch_execz .LBB54_177
; %bb.176:                              ;   in Loop: Header=BB54_136 Depth=1
	v_add_co_u32_e32 v122, vcc, v186, v237
	v_addc_co_u32_e32 v123, vcc, v183, v238, vcc
	flat_load_dwordx4 v[122:125], v[122:123]
.LBB54_177:                             ;   in Loop: Header=BB54_136 Depth=1
	s_or_b64 exec, exec, s[4:5]
	v_pk_mov_b32 v[126:127], 0, 0
	v_cmp_gt_i32_e32 vcc, s24, v235
	s_mov_b64 s[16:17], 0
	v_pk_mov_b32 v[128:129], v[126:127], v[126:127] op_sel:[0,1]
	s_and_saveexec_b64 s[4:5], vcc
	s_cbranch_execz .LBB54_179
; %bb.178:                              ;   in Loop: Header=BB54_136 Depth=1
	v_add_co_u32_e32 v126, vcc, v178, v237
	v_addc_co_u32_e32 v127, vcc, v175, v238, vcc
	flat_load_dwordx4 v[126:129], v[126:127]
.LBB54_179:                             ;   in Loop: Header=BB54_136 Depth=1
	s_or_b64 exec, exec, s[4:5]
	v_cmp_gt_i32_e64 s[4:5], s24, v236
	s_mov_b64 s[8:9], 0
	s_and_b64 vcc, exec, s[16:17]
	s_cbranch_vccnz .LBB54_181
	s_branch .LBB54_182
.LBB54_180:                             ;   in Loop: Header=BB54_136 Depth=1
	s_mov_b64 s[4:5], 0
                                        ; implicit-def: $sgpr8_sgpr9
                                        ; implicit-def: $vgpr128_vgpr129
                                        ; implicit-def: $vgpr124_vgpr125
                                        ; implicit-def: $vgpr116_vgpr117
	s_cbranch_execz .LBB54_182
.LBB54_181:                             ;   in Loop: Header=BB54_136 Depth=1
	s_waitcnt vmcnt(0) lgkmcnt(0)
	v_add_co_u32_e32 v122, vcc, v186, v237
	v_addc_co_u32_e32 v123, vcc, v183, v238, vcc
	v_add_co_u32_e32 v126, vcc, v192, v237
	v_addc_co_u32_e32 v127, vcc, v189, v238, vcc
	flat_load_dwordx4 v[114:117], v[130:131]
	s_or_b64 s[4:5], s[4:5], exec
	flat_load_dwordx4 v[122:125], v[122:123]
                                        ; implicit-def: $sgpr8_sgpr9
	s_nop 0
	flat_load_dwordx4 v[126:129], v[126:127]
.LBB54_182:                             ;   in Loop: Header=BB54_136 Depth=1
	v_pk_mov_b32 v[130:131], s[8:9], s[8:9] op_sel:[0,1]
	v_pk_mov_b32 v[132:133], s[8:9], s[8:9] op_sel:[0,1]
	s_and_saveexec_b64 s[8:9], s[4:5]
	s_cbranch_execz .LBB54_184
; %bb.183:                              ;   in Loop: Header=BB54_136 Depth=1
	v_add_co_u32_e32 v130, vcc, v174, v237
	v_addc_co_u32_e32 v131, vcc, v169, v238, vcc
	flat_load_dwordx4 v[130:133], v[130:131]
.LBB54_184:                             ;   in Loop: Header=BB54_136 Depth=1
	s_or_b64 exec, exec, s[8:9]
	v_add_f64 v[146:147], v[146:147], 0
	v_add_f64 v[148:149], v[148:149], 0
	;; [unrolled: 1-line block ×6, first 2 shown]
	ds_read_b128 v[142:145], v216
	v_add_f64 v[162:163], v[162:163], 0
	v_add_f64 v[94:95], v[94:95], 0
	;; [unrolled: 1-line block ×11, first 2 shown]
	ds_read_b128 v[86:89], v223 offset:768
	s_waitcnt vmcnt(0) lgkmcnt(0)
	v_mul_f64 v[90:91], v[116:117], v[144:145]
	v_mul_f64 v[92:93], v[116:117], v[142:143]
	v_fmac_f64_e32 v[90:91], v[114:115], v[142:143]
	v_fma_f64 v[92:93], v[114:115], v[144:145], -v[92:93]
	v_mul_f64 v[94:95], v[124:125], v[144:145]
	v_mul_f64 v[96:97], v[124:125], v[142:143]
	v_add_f64 v[138:139], v[138:139], v[134:135]
	v_add_f64 v[140:141], v[140:141], v[136:137]
	ds_write_b128 v224, v[90:93]
	v_fmac_f64_e32 v[94:95], v[122:123], v[142:143]
	v_fma_f64 v[96:97], v[122:123], v[144:145], -v[96:97]
	v_mul_f64 v[134:135], v[128:129], v[144:145]
	v_mul_f64 v[136:137], v[128:129], v[142:143]
	;; [unrolled: 1-line block ×3, first 2 shown]
	ds_read_b128 v[90:93], v223 offset:784
	ds_write_b128 v224, v[94:97] offset:1072
	v_fmac_f64_e32 v[134:135], v[126:127], v[142:143]
	v_fma_f64 v[136:137], v[126:127], v[144:145], -v[136:137]
	v_fmac_f64_e32 v[146:147], v[130:131], v[142:143]
	v_mul_f64 v[142:143], v[132:133], v[142:143]
	ds_read_b128 v[94:97], v223 offset:800
	ds_write_b128 v224, v[134:137] offset:2144
	v_fma_f64 v[148:149], v[130:131], v[144:145], -v[142:143]
	v_add_f64 v[164:165], v[164:165], 0
	ds_read_b128 v[134:137], v223 offset:816
	ds_write_b128 v224, v[146:149] offset:3216
	s_waitcnt lgkmcnt(0)
	s_barrier
	ds_read_b128 v[142:145], v219
	v_add_f64 v[160:161], v[164:165], v[160:161]
	v_add_f64 v[156:157], v[160:161], v[156:157]
	;; [unrolled: 1-line block ×4, first 2 shown]
	ds_read_b128 v[146:149], v219 offset:16
	ds_read_b128 v[154:157], v219 offset:32
	;; [unrolled: 1-line block ×3, first 2 shown]
	s_waitcnt lgkmcnt(3)
	v_add_f64 v[142:143], v[142:143], 0
	v_add_f64 v[144:145], v[144:145], 0
	v_cmp_gt_i32_e32 vcc, s24, v168
	s_waitcnt lgkmcnt(2)
	v_add_f64 v[142:143], v[142:143], v[146:147]
	v_add_f64 v[144:145], v[144:145], v[148:149]
	s_or_b64 s[4:5], s[14:15], vcc
	s_waitcnt lgkmcnt(1)
	v_add_f64 v[142:143], v[142:143], v[154:155]
	v_add_f64 v[144:145], v[144:145], v[156:157]
	s_and_b64 s[8:9], s[2:3], s[4:5]
	s_waitcnt lgkmcnt(0)
	v_add_f64 v[142:143], v[142:143], v[158:159]
	v_add_f64 v[144:145], v[144:145], v[160:161]
	s_barrier
	ds_write_b128 v239, v[82:85]
	ds_write_b128 v239, v[138:141] offset:256
	ds_write_b128 v239, v[150:153] offset:512
	;; [unrolled: 1-line block ×3, first 2 shown]
	s_waitcnt lgkmcnt(0)
	s_barrier
	s_and_saveexec_b64 s[4:5], s[8:9]
	s_cbranch_execz .LBB54_186
; %bb.185:                              ;   in Loop: Header=BB54_136 Depth=1
	ds_read_b128 v[82:85], v217
	ds_read_b128 v[138:141], v217 offset:16
	ds_read_b128 v[142:145], v217 offset:32
	ds_read_b128 v[146:149], v217 offset:48
	v_ashrrev_i32_e32 v171, 31, v170
	v_mov_b32_e32 v5, s25
	s_waitcnt lgkmcnt(2)
	v_add_f64 v[82:83], v[138:139], v[82:83]
	v_add_f64 v[138:139], v[140:141], v[84:85]
	s_waitcnt lgkmcnt(1)
	v_add_f64 v[140:141], v[82:83], v[142:143]
	ds_read_b128 v[82:85], v217 offset:64
	v_add_f64 v[142:143], v[138:139], v[144:145]
	s_waitcnt lgkmcnt(1)
	v_add_f64 v[144:145], v[140:141], v[146:147]
	ds_read_b128 v[138:141], v217 offset:80
	;; [unrolled: 4-line block ×9, first 2 shown]
	v_add_f64 v[84:85], v[146:147], v[84:85]
	s_waitcnt lgkmcnt(1)
	v_add_f64 v[138:139], v[82:83], v[138:139]
	v_add_f64 v[146:147], v[84:85], v[140:141]
	ds_read_b128 v[82:85], v217 offset:208
	s_waitcnt lgkmcnt(1)
	v_add_f64 v[148:149], v[138:139], v[142:143]
	ds_read_b128 v[138:141], v217 offset:224
	v_add_f64 v[146:147], v[146:147], v[144:145]
	ds_read_b128 v[142:145], v218
	s_waitcnt lgkmcnt(2)
	v_add_f64 v[82:83], v[148:149], v[82:83]
	v_add_f64 v[84:85], v[146:147], v[84:85]
	s_waitcnt lgkmcnt(1)
	v_add_f64 v[82:83], v[82:83], v[138:139]
	v_lshlrev_b64 v[138:139], 4, v[170:171]
	v_add_f64 v[84:85], v[84:85], v[140:141]
	v_add_co_u32_e32 v138, vcc, s19, v138
	s_waitcnt lgkmcnt(0)
	v_add_f64 v[82:83], v[82:83], v[142:143]
	v_add_f64 v[84:85], v[84:85], v[144:145]
	v_addc_co_u32_e32 v139, vcc, v5, v139, vcc
	global_store_dwordx4 v[138:139], v[82:85], off
.LBB54_186:                             ;   in Loop: Header=BB54_136 Depth=1
	s_or_b64 exec, exec, s[4:5]
	v_mov_b32_e32 v5, s13
	v_add_co_u32_e32 v172, vcc, s12, v172
	v_addc_co_u32_e32 v167, vcc, v167, v5, vcc
	v_add_co_u32_e32 v174, vcc, s12, v174
	v_addc_co_u32_e32 v169, vcc, v169, v5, vcc
	;; [unrolled: 2-line block ×4, first 2 shown]
	v_add_co_u32_e32 v180, vcc, s12, v180
	v_mul_f64 v[82:83], v[8:9], v[24:25]
	v_addc_co_u32_e32 v177, vcc, v177, v5, vcc
	v_fma_f64 v[82:83], v[6:7], v[22:23], -v[82:83]
	v_mul_f64 v[6:7], v[6:7], v[24:25]
	v_mul_f64 v[24:25], v[12:13], v[28:29]
	v_add_co_u32_e32 v182, vcc, s12, v182
	v_add_f64 v[0:1], v[0:1], v[82:83]
	v_fma_f64 v[24:25], v[10:11], v[26:27], -v[24:25]
	v_addc_co_u32_e32 v179, vcc, v179, v5, vcc
	v_add_f64 v[0:1], v[0:1], v[24:25]
	v_mul_f64 v[24:25], v[16:17], v[32:33]
	v_add_co_u32_e32 v184, vcc, s12, v184
	v_fma_f64 v[24:25], v[14:15], v[30:31], -v[24:25]
	v_addc_co_u32_e32 v181, vcc, v181, v5, vcc
	v_add_f64 v[0:1], v[0:1], v[24:25]
	v_mul_f64 v[24:25], v[20:21], v[40:41]
	v_fmac_f64_e32 v[6:7], v[8:9], v[22:23]
	v_add_co_u32_e32 v186, vcc, s12, v186
	v_fma_f64 v[24:25], v[18:19], v[38:39], -v[24:25]
	v_add_f64 v[2:3], v[2:3], v[6:7]
	v_mul_f64 v[6:7], v[36:37], v[56:57]
	v_addc_co_u32_e32 v183, vcc, v183, v5, vcc
	v_add_f64 v[0:1], v[0:1], v[24:25]
	v_fma_f64 v[6:7], v[34:35], v[54:55], -v[6:7]
	v_add_co_u32_e32 v188, vcc, s12, v188
	v_add_f64 v[0:1], v[0:1], v[6:7]
	v_mul_f64 v[6:7], v[44:45], v[60:61]
	v_addc_co_u32_e32 v185, vcc, v185, v5, vcc
	v_fma_f64 v[6:7], v[42:43], v[58:59], -v[6:7]
	v_add_co_u32_e32 v190, vcc, s12, v190
	v_add_f64 v[0:1], v[0:1], v[6:7]
	v_mul_f64 v[6:7], v[48:49], v[64:65]
	v_addc_co_u32_e32 v187, vcc, v187, v5, vcc
	v_fma_f64 v[6:7], v[46:47], v[62:63], -v[6:7]
	v_add_co_u32_e32 v192, vcc, s12, v192
	v_add_f64 v[0:1], v[0:1], v[6:7]
	v_mul_f64 v[6:7], v[52:53], v[72:73]
	v_addc_co_u32_e32 v189, vcc, v189, v5, vcc
	v_fma_f64 v[6:7], v[50:51], v[70:71], -v[6:7]
	v_add_co_u32_e32 v194, vcc, s12, v194
	v_mul_f64 v[10:11], v[10:11], v[28:29]
	v_add_f64 v[0:1], v[0:1], v[6:7]
	v_mul_f64 v[6:7], v[68:69], v[104:105]
	v_addc_co_u32_e32 v191, vcc, v191, v5, vcc
	v_mul_f64 v[14:15], v[14:15], v[32:33]
	v_fmac_f64_e32 v[10:11], v[12:13], v[26:27]
	v_fma_f64 v[6:7], v[66:67], v[102:103], -v[6:7]
	v_add_co_u32_e32 v196, vcc, s12, v196
	v_mul_f64 v[18:19], v[18:19], v[40:41]
	v_add_f64 v[2:3], v[2:3], v[10:11]
	v_fmac_f64_e32 v[14:15], v[16:17], v[30:31]
	v_add_f64 v[0:1], v[0:1], v[6:7]
	v_mul_f64 v[6:7], v[76:77], v[108:109]
	v_addc_co_u32_e32 v193, vcc, v193, v5, vcc
	v_add_f64 v[2:3], v[2:3], v[14:15]
	v_fmac_f64_e32 v[18:19], v[20:21], v[38:39]
	v_mul_f64 v[8:9], v[34:35], v[56:57]
	v_fma_f64 v[6:7], v[74:75], v[106:107], -v[6:7]
	v_add_co_u32_e32 v198, vcc, s12, v198
	v_add_f64 v[2:3], v[2:3], v[18:19]
	v_mul_f64 v[10:11], v[42:43], v[60:61]
	v_fmac_f64_e32 v[8:9], v[36:37], v[54:55]
	v_add_f64 v[0:1], v[0:1], v[6:7]
	v_mul_f64 v[6:7], v[80:81], v[112:113]
	v_addc_co_u32_e32 v195, vcc, v195, v5, vcc
	v_mul_f64 v[12:13], v[46:47], v[64:65]
	v_add_f64 v[2:3], v[2:3], v[8:9]
	v_fmac_f64_e32 v[10:11], v[44:45], v[58:59]
	v_fma_f64 v[6:7], v[78:79], v[110:111], -v[6:7]
	v_add_co_u32_e32 v200, vcc, s12, v200
	v_mul_f64 v[14:15], v[50:51], v[72:73]
	v_add_f64 v[2:3], v[2:3], v[10:11]
	v_fmac_f64_e32 v[12:13], v[48:49], v[62:63]
	v_add_f64 v[0:1], v[0:1], v[6:7]
	v_mul_f64 v[6:7], v[100:101], v[120:121]
	v_addc_co_u32_e32 v197, vcc, v197, v5, vcc
	v_add_f64 v[2:3], v[2:3], v[12:13]
	v_fmac_f64_e32 v[14:15], v[52:53], v[70:71]
	v_mul_f64 v[8:9], v[66:67], v[104:105]
	v_fma_f64 v[6:7], v[98:99], v[118:119], -v[6:7]
	v_add_co_u32_e32 v202, vcc, s12, v202
	v_add_f64 v[2:3], v[2:3], v[14:15]
	v_mul_f64 v[10:11], v[74:75], v[108:109]
	v_add_f64 v[0:1], v[0:1], v[6:7]
	v_fmac_f64_e32 v[8:9], v[68:69], v[102:103]
	v_mul_f64 v[6:7], v[116:117], v[88:89]
	v_addc_co_u32_e32 v199, vcc, v199, v5, vcc
	v_mul_f64 v[12:13], v[78:79], v[112:113]
	v_add_f64 v[2:3], v[2:3], v[8:9]
	v_fmac_f64_e32 v[10:11], v[76:77], v[106:107]
	v_fma_f64 v[6:7], v[114:115], v[86:87], -v[6:7]
	v_add_co_u32_e32 v204, vcc, s12, v204
	v_mul_f64 v[14:15], v[98:99], v[120:121]
	v_add_f64 v[2:3], v[2:3], v[10:11]
	v_fmac_f64_e32 v[12:13], v[80:81], v[110:111]
	v_add_f64 v[0:1], v[0:1], v[6:7]
	v_mul_f64 v[6:7], v[124:125], v[92:93]
	v_addc_co_u32_e32 v201, vcc, v201, v5, vcc
	v_add_f64 v[2:3], v[2:3], v[12:13]
	v_fmac_f64_e32 v[14:15], v[100:101], v[118:119]
	v_mul_f64 v[8:9], v[114:115], v[88:89]
	v_fma_f64 v[6:7], v[122:123], v[90:91], -v[6:7]
	v_add_co_u32_e32 v206, vcc, s12, v206
	v_add_f64 v[2:3], v[2:3], v[14:15]
	v_mul_f64 v[10:11], v[122:123], v[92:93]
	v_add_f64 v[0:1], v[0:1], v[6:7]
	v_mul_f64 v[6:7], v[128:129], v[96:97]
	v_fmac_f64_e32 v[8:9], v[116:117], v[86:87]
	v_addc_co_u32_e32 v203, vcc, v203, v5, vcc
	v_fma_f64 v[6:7], v[126:127], v[94:95], -v[6:7]
	v_mul_f64 v[12:13], v[126:127], v[96:97]
	v_fmac_f64_e32 v[10:11], v[124:125], v[90:91]
	v_add_f64 v[2:3], v[2:3], v[8:9]
	v_add_co_u32_e32 v208, vcc, s12, v208
	v_add_f64 v[0:1], v[0:1], v[6:7]
	v_mul_f64 v[6:7], v[132:133], v[136:137]
	v_mul_f64 v[14:15], v[130:131], v[136:137]
	v_fmac_f64_e32 v[12:13], v[128:129], v[94:95]
	v_add_f64 v[2:3], v[2:3], v[10:11]
	v_addc_co_u32_e32 v205, vcc, v205, v5, vcc
	v_fma_f64 v[6:7], v[130:131], v[134:135], -v[6:7]
	v_fmac_f64_e32 v[14:15], v[132:133], v[134:135]
	v_add_f64 v[2:3], v[2:3], v[12:13]
	s_add_i32 s4, s6, 1
	s_add_i32 s10, s10, s35
	;; [unrolled: 1-line block ×3, first 2 shown]
	v_add_co_u32_e32 v210, vcc, s12, v210
	v_add_f64 v[0:1], v[0:1], v[6:7]
	v_add_f64 v[2:3], v[2:3], v[14:15]
	v_add_u32_e32 v170, 64, v170
	s_cmp_ge_u32 s5, s7
	v_addc_co_u32_e32 v207, vcc, v207, v5, vcc
	s_barrier
	s_cbranch_scc1 .LBB54_188
; %bb.187:                              ;   in Loop: Header=BB54_136 Depth=1
	s_mov_b32 s6, s4
	s_cmp_eq_u32 s34, s6
	s_cselect_b32 s24, s33, 0
	s_and_saveexec_b64 s[4:5], s[0:1]
	s_cbranch_execnz .LBB54_132
	s_branch .LBB54_136
.LBB54_188:
	s_movk_i32 s2, 0x430
	v_cmp_gt_i32_e32 vcc, s18, v168
	v_mad_u32_u24 v4, v209, s2, v211
	s_or_b64 s[2:3], s[20:21], vcc
	s_and_b64 s[0:1], s[0:1], s[2:3]
	ds_write_b128 v4, v[0:3]
	s_waitcnt lgkmcnt(0)
	s_barrier
	s_and_saveexec_b64 s[2:3], s[0:1]
	s_cbranch_execz .LBB54_190
; %bb.189:
	ds_read_b128 v[0:3], v211 offset:1072
	ds_read_b128 v[4:7], v211
	ds_read_b128 v[8:11], v211 offset:2144
	ds_read_b128 v[12:15], v211 offset:3216
	v_ashrrev_i32_e32 v167, 31, v166
	s_waitcnt lgkmcnt(2)
	v_add_f64 v[0:1], v[0:1], v[4:5]
	v_add_f64 v[2:3], v[2:3], v[6:7]
	v_lshlrev_b64 v[4:5], 4, v[166:167]
	s_waitcnt lgkmcnt(1)
	v_add_f64 v[0:1], v[0:1], v[8:9]
	v_add_f64 v[2:3], v[2:3], v[10:11]
	v_mov_b32_e32 v6, s25
	v_add_co_u32_e32 v4, vcc, s19, v4
	s_waitcnt lgkmcnt(0)
	v_add_f64 v[0:1], v[0:1], v[12:13]
	v_add_f64 v[2:3], v[2:3], v[14:15]
	v_addc_co_u32_e32 v5, vcc, v6, v5, vcc
	global_store_dwordx4 v[4:5], v[0:3], off
.LBB54_190:
	s_endpgm
	.section	.rodata,"a",@progbits
	.p2align	6, 0x0
	.amdhsa_kernel _ZL26rocblas_hemvn_kernel_upperILb1ELi64ELi4ELi33ELi32ELi16Ei19rocblas_complex_numIdEPKPKS1_PS1_EviT6_lT7_lT5_lS8_lS9_lS7_lT8_i
		.amdhsa_group_segment_fixed_size 19200
		.amdhsa_private_segment_fixed_size 0
		.amdhsa_kernarg_size 392
		.amdhsa_user_sgpr_count 6
		.amdhsa_user_sgpr_private_segment_buffer 1
		.amdhsa_user_sgpr_dispatch_ptr 0
		.amdhsa_user_sgpr_queue_ptr 0
		.amdhsa_user_sgpr_kernarg_segment_ptr 1
		.amdhsa_user_sgpr_dispatch_id 0
		.amdhsa_user_sgpr_flat_scratch_init 0
		.amdhsa_user_sgpr_kernarg_preload_length 0
		.amdhsa_user_sgpr_kernarg_preload_offset 0
		.amdhsa_user_sgpr_private_segment_size 0
		.amdhsa_uses_dynamic_stack 0
		.amdhsa_system_sgpr_private_segment_wavefront_offset 0
		.amdhsa_system_sgpr_workgroup_id_x 1
		.amdhsa_system_sgpr_workgroup_id_y 0
		.amdhsa_system_sgpr_workgroup_id_z 1
		.amdhsa_system_sgpr_workgroup_info 0
		.amdhsa_system_vgpr_workitem_id 1
		.amdhsa_next_free_vgpr 240
		.amdhsa_next_free_sgpr 44
		.amdhsa_accum_offset 240
		.amdhsa_reserve_vcc 1
		.amdhsa_reserve_flat_scratch 0
		.amdhsa_float_round_mode_32 0
		.amdhsa_float_round_mode_16_64 0
		.amdhsa_float_denorm_mode_32 3
		.amdhsa_float_denorm_mode_16_64 3
		.amdhsa_dx10_clamp 1
		.amdhsa_ieee_mode 1
		.amdhsa_fp16_overflow 0
		.amdhsa_tg_split 0
		.amdhsa_exception_fp_ieee_invalid_op 0
		.amdhsa_exception_fp_denorm_src 0
		.amdhsa_exception_fp_ieee_div_zero 0
		.amdhsa_exception_fp_ieee_overflow 0
		.amdhsa_exception_fp_ieee_underflow 0
		.amdhsa_exception_fp_ieee_inexact 0
		.amdhsa_exception_int_div_zero 0
	.end_amdhsa_kernel
	.section	.text._ZL26rocblas_hemvn_kernel_upperILb1ELi64ELi4ELi33ELi32ELi16Ei19rocblas_complex_numIdEPKPKS1_PS1_EviT6_lT7_lT5_lS8_lS9_lS7_lT8_i,"axG",@progbits,_ZL26rocblas_hemvn_kernel_upperILb1ELi64ELi4ELi33ELi32ELi16Ei19rocblas_complex_numIdEPKPKS1_PS1_EviT6_lT7_lT5_lS8_lS9_lS7_lT8_i,comdat
.Lfunc_end54:
	.size	_ZL26rocblas_hemvn_kernel_upperILb1ELi64ELi4ELi33ELi32ELi16Ei19rocblas_complex_numIdEPKPKS1_PS1_EviT6_lT7_lT5_lS8_lS9_lS7_lT8_i, .Lfunc_end54-_ZL26rocblas_hemvn_kernel_upperILb1ELi64ELi4ELi33ELi32ELi16Ei19rocblas_complex_numIdEPKPKS1_PS1_EviT6_lT7_lT5_lS8_lS9_lS7_lT8_i
                                        ; -- End function
	.section	.AMDGPU.csdata,"",@progbits
; Kernel info:
; codeLenInByte = 11176
; NumSgprs: 48
; NumVgprs: 240
; NumAgprs: 0
; TotalNumVgprs: 240
; ScratchSize: 0
; MemoryBound: 1
; FloatMode: 240
; IeeeMode: 1
; LDSByteSize: 19200 bytes/workgroup (compile time only)
; SGPRBlocks: 5
; VGPRBlocks: 29
; NumSGPRsForWavesPerEU: 48
; NumVGPRsForWavesPerEU: 240
; AccumOffset: 240
; Occupancy: 2
; WaveLimiterHint : 1
; COMPUTE_PGM_RSRC2:SCRATCH_EN: 0
; COMPUTE_PGM_RSRC2:USER_SGPR: 6
; COMPUTE_PGM_RSRC2:TRAP_HANDLER: 0
; COMPUTE_PGM_RSRC2:TGID_X_EN: 1
; COMPUTE_PGM_RSRC2:TGID_Y_EN: 0
; COMPUTE_PGM_RSRC2:TGID_Z_EN: 1
; COMPUTE_PGM_RSRC2:TIDIG_COMP_CNT: 1
; COMPUTE_PGM_RSRC3_GFX90A:ACCUM_OFFSET: 59
; COMPUTE_PGM_RSRC3_GFX90A:TG_SPLIT: 0
	.section	.text._ZL36rocblas_hemvn_kernel_upper_block_sumILi64Ei19rocblas_complex_numIdEPKPS1_S1_EviT1_lS5_lT2_lT0_lPT3_i,"axG",@progbits,_ZL36rocblas_hemvn_kernel_upper_block_sumILi64Ei19rocblas_complex_numIdEPKPS1_S1_EviT1_lS5_lT2_lT0_lPT3_i,comdat
	.globl	_ZL36rocblas_hemvn_kernel_upper_block_sumILi64Ei19rocblas_complex_numIdEPKPS1_S1_EviT1_lS5_lT2_lT0_lPT3_i ; -- Begin function _ZL36rocblas_hemvn_kernel_upper_block_sumILi64Ei19rocblas_complex_numIdEPKPS1_S1_EviT1_lS5_lT2_lT0_lPT3_i
	.p2align	8
	.type	_ZL36rocblas_hemvn_kernel_upper_block_sumILi64Ei19rocblas_complex_numIdEPKPS1_S1_EviT1_lS5_lT2_lT0_lPT3_i,@function
_ZL36rocblas_hemvn_kernel_upper_block_sumILi64Ei19rocblas_complex_numIdEPKPS1_S1_EviT1_lS5_lT2_lT0_lPT3_i: ; @_ZL36rocblas_hemvn_kernel_upper_block_sumILi64Ei19rocblas_complex_numIdEPKPS1_S1_EviT1_lS5_lT2_lT0_lPT3_i
; %bb.0:
	s_load_dwordx4 s[12:15], s[4:5], 0x8
	s_load_dwordx4 s[8:11], s[4:5], 0x20
	s_mov_b32 s16, s7
	s_waitcnt lgkmcnt(0)
	v_cmp_neq_f64_e64 s[0:1], s[12:13], 0
	v_cmp_neq_f64_e64 s[2:3], s[14:15], 0
	s_or_b64 s[0:1], s[0:1], s[2:3]
	s_mov_b64 s[2:3], -1
	s_and_b64 vcc, exec, s[0:1]
	s_cbranch_vccnz .LBB55_2
; %bb.1:
	v_cmp_neq_f64_e64 s[2:3], s[8:9], 1.0
	v_cmp_neq_f64_e64 s[18:19], s[10:11], 0
	s_or_b64 s[2:3], s[2:3], s[18:19]
.LBB55_2:
	s_andn2_b64 vcc, exec, s[2:3]
	s_cbranch_vccnz .LBB55_22
; %bb.3:
	s_load_dword s24, s[4:5], 0x48
	s_load_dwordx4 s[20:23], s[4:5], 0x38
	s_load_dword s18, s[4:5], 0x0
	s_mov_b32 s17, 0
	s_lshl_b64 s[2:3], s[16:17], 3
	s_xor_b64 s[0:1], s[0:1], -1
	s_waitcnt lgkmcnt(0)
	s_add_u32 s2, s20, s2
	s_addc_u32 s3, s21, s3
	s_load_dwordx2 s[2:3], s[2:3], 0x0
	s_lshl_b64 s[20:21], s[22:23], 4
	v_lshl_or_b32 v4, s6, 6, v0
	s_waitcnt lgkmcnt(0)
	s_add_u32 s7, s2, s20
	s_addc_u32 s17, s3, s21
	s_andn2_b64 vcc, exec, s[0:1]
	v_cmp_gt_i32_e64 s[0:1], s18, v4
	s_cbranch_vccnz .LBB55_8
; %bb.4:
	s_mov_b64 s[20:21], 0
	s_mov_b64 s[2:3], 0
                                        ; implicit-def: $vgpr2_vgpr3
                                        ; implicit-def: $vgpr6_vgpr7
	s_and_saveexec_b64 s[22:23], s[0:1]
	s_cbranch_execz .LBB55_9
; %bb.5:
	v_cmp_neq_f64_e64 s[0:1], s[8:9], 0
	v_cmp_neq_f64_e64 s[2:3], s[10:11], 0
	v_pk_mov_b32 v[2:3], 0, 0
	v_mul_lo_u32 v6, v4, s24
	s_or_b64 s[0:1], s[0:1], s[2:3]
	v_ashrrev_i32_e32 v7, 31, v6
	s_andn2_b64 vcc, exec, s[0:1]
	v_pk_mov_b32 v[0:1], v[2:3], v[2:3] op_sel:[0,1]
	s_cbranch_vccnz .LBB55_7
; %bb.6:
	v_lshlrev_b64 v[0:1], 4, v[6:7]
	v_mov_b32_e32 v2, s17
	v_add_co_u32_e32 v0, vcc, s7, v0
	v_addc_co_u32_e32 v1, vcc, v2, v1, vcc
	global_load_dwordx4 v[8:11], v[0:1], off
	s_waitcnt vmcnt(0)
	v_mul_f64 v[0:1], s[10:11], v[10:11]
	v_mul_f64 v[2:3], s[8:9], v[10:11]
	v_fma_f64 v[0:1], s[8:9], v[8:9], -v[0:1]
	v_fmac_f64_e32 v[2:3], s[10:11], v[8:9]
.LBB55_7:
	s_mov_b64 s[2:3], exec
	s_or_b64 exec, exec, s[22:23]
	s_and_b64 vcc, exec, s[20:21]
	s_cbranch_vccnz .LBB55_10
	s_branch .LBB55_20
.LBB55_8:
	s_mov_b64 s[2:3], 0
                                        ; implicit-def: $vgpr2_vgpr3
                                        ; implicit-def: $vgpr6_vgpr7
	s_cbranch_execnz .LBB55_10
	s_branch .LBB55_20
.LBB55_9:
	s_or_b64 exec, exec, s[22:23]
	s_and_b64 vcc, exec, s[20:21]
	s_cbranch_vccz .LBB55_20
.LBB55_10:
	v_cmp_gt_i32_e32 vcc, s18, v4
                                        ; implicit-def: $vgpr2_vgpr3
                                        ; implicit-def: $vgpr6_vgpr7
	s_and_saveexec_b64 s[0:1], vcc
	s_cbranch_execz .LBB55_19
; %bb.11:
	v_pk_mov_b32 v[0:1], 0, 0
	s_cmp_lt_i32 s6, 0
	v_pk_mov_b32 v[8:9], v[0:1], v[0:1] op_sel:[0,1]
	s_cbranch_scc1 .LBB55_14
; %bb.12:
	s_load_dwordx2 s[20:21], s[4:5], 0x58
	s_load_dword s22, s[4:5], 0x68
	s_ashr_i32 s19, s18, 31
	s_mul_hi_u32 s4, s18, s16
	s_mul_i32 s5, s19, s16
	s_add_i32 s4, s4, s5
	s_mul_i32 s16, s18, s16
	s_waitcnt lgkmcnt(0)
	s_mul_i32 s4, s4, s22
	s_mul_hi_u32 s5, s16, s22
	s_add_i32 s5, s5, s4
	s_mul_i32 s4, s16, s22
	s_add_i32 s6, s6, 1
	s_lshl_b64 s[4:5], s[4:5], 4
	v_mov_b32_e32 v5, 0
	s_add_u32 s4, s20, s4
	v_lshlrev_b64 v[0:1], 4, v[4:5]
	s_addc_u32 s5, s21, s5
	v_mov_b32_e32 v2, s5
	v_add_co_u32_e32 v0, vcc, s4, v0
	v_addc_co_u32_e32 v1, vcc, v2, v1, vcc
	v_add_co_u32_e32 v2, vcc, 8, v0
	v_addc_co_u32_e32 v3, vcc, 0, v1, vcc
	s_lshl_b64 s[4:5], s[18:19], 4
	v_pk_mov_b32 v[0:1], 0, 0
	v_mov_b32_e32 v5, s5
	v_pk_mov_b32 v[8:9], v[0:1], v[0:1] op_sel:[0,1]
.LBB55_13:                              ; =>This Inner Loop Header: Depth=1
	global_load_dwordx4 v[10:13], v[2:3], off offset:-8
	s_add_i32 s6, s6, -1
	v_add_co_u32_e32 v2, vcc, s4, v2
	v_addc_co_u32_e32 v3, vcc, v3, v5, vcc
	s_cmp_eq_u32 s6, 0
	s_waitcnt vmcnt(0)
	v_add_f64 v[8:9], v[8:9], v[10:11]
	v_add_f64 v[0:1], v[0:1], v[12:13]
	s_cbranch_scc0 .LBB55_13
.LBB55_14:
	v_cmp_neq_f64_e64 s[18:19], s[8:9], 0
	v_cmp_neq_f64_e64 s[20:21], s[10:11], 0
	s_or_b64 s[18:19], s[18:19], s[20:21]
	v_mul_f64 v[10:11], s[14:15], v[0:1]
	v_mul_f64 v[2:3], s[12:13], v[0:1]
	v_mul_lo_u32 v6, v4, s24
	s_mov_b64 s[4:5], 0
	s_andn2_b64 vcc, exec, s[18:19]
	v_fma_f64 v[0:1], s[12:13], v[8:9], -v[10:11]
	v_fmac_f64_e32 v[2:3], s[14:15], v[8:9]
	v_ashrrev_i32_e32 v7, 31, v6
	s_cbranch_vccnz .LBB55_16
; %bb.15:
	s_mov_b64 s[4:5], -1
.LBB55_16:
	s_andn2_b64 vcc, exec, s[4:5]
	s_cbranch_vccnz .LBB55_18
; %bb.17:
	v_lshlrev_b64 v[4:5], 4, v[6:7]
	v_mov_b32_e32 v8, s17
	v_add_co_u32_e32 v4, vcc, s7, v4
	v_addc_co_u32_e32 v5, vcc, v8, v5, vcc
	global_load_dwordx4 v[8:11], v[4:5], off
	s_waitcnt vmcnt(0)
	v_mul_f64 v[4:5], s[10:11], v[10:11]
	v_mul_f64 v[10:11], s[8:9], v[10:11]
	v_fma_f64 v[4:5], s[8:9], v[8:9], -v[4:5]
	v_fmac_f64_e32 v[10:11], s[10:11], v[8:9]
	v_add_f64 v[0:1], v[0:1], v[4:5]
	v_add_f64 v[2:3], v[2:3], v[10:11]
.LBB55_18:
	s_or_b64 s[2:3], s[2:3], exec
.LBB55_19:
	s_or_b64 exec, exec, s[0:1]
.LBB55_20:
	s_and_saveexec_b64 s[0:1], s[2:3]
	s_cbranch_execz .LBB55_22
; %bb.21:
	v_lshlrev_b64 v[4:5], 4, v[6:7]
	v_mov_b32_e32 v6, s17
	v_add_co_u32_e32 v4, vcc, s7, v4
	v_addc_co_u32_e32 v5, vcc, v6, v5, vcc
	global_store_dwordx4 v[4:5], v[0:3], off
.LBB55_22:
	s_endpgm
	.section	.rodata,"a",@progbits
	.p2align	6, 0x0
	.amdhsa_kernel _ZL36rocblas_hemvn_kernel_upper_block_sumILi64Ei19rocblas_complex_numIdEPKPS1_S1_EviT1_lS5_lT2_lT0_lPT3_i
		.amdhsa_group_segment_fixed_size 0
		.amdhsa_private_segment_fixed_size 0
		.amdhsa_kernarg_size 360
		.amdhsa_user_sgpr_count 6
		.amdhsa_user_sgpr_private_segment_buffer 1
		.amdhsa_user_sgpr_dispatch_ptr 0
		.amdhsa_user_sgpr_queue_ptr 0
		.amdhsa_user_sgpr_kernarg_segment_ptr 1
		.amdhsa_user_sgpr_dispatch_id 0
		.amdhsa_user_sgpr_flat_scratch_init 0
		.amdhsa_user_sgpr_kernarg_preload_length 0
		.amdhsa_user_sgpr_kernarg_preload_offset 0
		.amdhsa_user_sgpr_private_segment_size 0
		.amdhsa_uses_dynamic_stack 0
		.amdhsa_system_sgpr_private_segment_wavefront_offset 0
		.amdhsa_system_sgpr_workgroup_id_x 1
		.amdhsa_system_sgpr_workgroup_id_y 0
		.amdhsa_system_sgpr_workgroup_id_z 1
		.amdhsa_system_sgpr_workgroup_info 0
		.amdhsa_system_vgpr_workitem_id 0
		.amdhsa_next_free_vgpr 14
		.amdhsa_next_free_sgpr 25
		.amdhsa_accum_offset 16
		.amdhsa_reserve_vcc 1
		.amdhsa_reserve_flat_scratch 0
		.amdhsa_float_round_mode_32 0
		.amdhsa_float_round_mode_16_64 0
		.amdhsa_float_denorm_mode_32 3
		.amdhsa_float_denorm_mode_16_64 3
		.amdhsa_dx10_clamp 1
		.amdhsa_ieee_mode 1
		.amdhsa_fp16_overflow 0
		.amdhsa_tg_split 0
		.amdhsa_exception_fp_ieee_invalid_op 0
		.amdhsa_exception_fp_denorm_src 0
		.amdhsa_exception_fp_ieee_div_zero 0
		.amdhsa_exception_fp_ieee_overflow 0
		.amdhsa_exception_fp_ieee_underflow 0
		.amdhsa_exception_fp_ieee_inexact 0
		.amdhsa_exception_int_div_zero 0
	.end_amdhsa_kernel
	.section	.text._ZL36rocblas_hemvn_kernel_upper_block_sumILi64Ei19rocblas_complex_numIdEPKPS1_S1_EviT1_lS5_lT2_lT0_lPT3_i,"axG",@progbits,_ZL36rocblas_hemvn_kernel_upper_block_sumILi64Ei19rocblas_complex_numIdEPKPS1_S1_EviT1_lS5_lT2_lT0_lPT3_i,comdat
.Lfunc_end55:
	.size	_ZL36rocblas_hemvn_kernel_upper_block_sumILi64Ei19rocblas_complex_numIdEPKPS1_S1_EviT1_lS5_lT2_lT0_lPT3_i, .Lfunc_end55-_ZL36rocblas_hemvn_kernel_upper_block_sumILi64Ei19rocblas_complex_numIdEPKPS1_S1_EviT1_lS5_lT2_lT0_lPT3_i
                                        ; -- End function
	.section	.AMDGPU.csdata,"",@progbits
; Kernel info:
; codeLenInByte = 776
; NumSgprs: 29
; NumVgprs: 14
; NumAgprs: 0
; TotalNumVgprs: 14
; ScratchSize: 0
; MemoryBound: 0
; FloatMode: 240
; IeeeMode: 1
; LDSByteSize: 0 bytes/workgroup (compile time only)
; SGPRBlocks: 3
; VGPRBlocks: 1
; NumSGPRsForWavesPerEU: 29
; NumVGPRsForWavesPerEU: 14
; AccumOffset: 16
; Occupancy: 8
; WaveLimiterHint : 1
; COMPUTE_PGM_RSRC2:SCRATCH_EN: 0
; COMPUTE_PGM_RSRC2:USER_SGPR: 6
; COMPUTE_PGM_RSRC2:TRAP_HANDLER: 0
; COMPUTE_PGM_RSRC2:TGID_X_EN: 1
; COMPUTE_PGM_RSRC2:TGID_Y_EN: 0
; COMPUTE_PGM_RSRC2:TGID_Z_EN: 1
; COMPUTE_PGM_RSRC2:TIDIG_COMP_CNT: 0
; COMPUTE_PGM_RSRC3_GFX90A:ACCUM_OFFSET: 3
; COMPUTE_PGM_RSRC3_GFX90A:TG_SPLIT: 0
	.section	.text._ZL26rocblas_hemvn_kernel_lowerILb1ELi64ELi4ELi33ELi32ELi16ElPK19rocblas_complex_numIdEPKS3_PS1_EviT6_lT7_lT5_lS8_lS9_lS7_lT8_i,"axG",@progbits,_ZL26rocblas_hemvn_kernel_lowerILb1ELi64ELi4ELi33ELi32ELi16ElPK19rocblas_complex_numIdEPKS3_PS1_EviT6_lT7_lT5_lS8_lS9_lS7_lT8_i,comdat
	.globl	_ZL26rocblas_hemvn_kernel_lowerILb1ELi64ELi4ELi33ELi32ELi16ElPK19rocblas_complex_numIdEPKS3_PS1_EviT6_lT7_lT5_lS8_lS9_lS7_lT8_i ; -- Begin function _ZL26rocblas_hemvn_kernel_lowerILb1ELi64ELi4ELi33ELi32ELi16ElPK19rocblas_complex_numIdEPKS3_PS1_EviT6_lT7_lT5_lS8_lS9_lS7_lT8_i
	.p2align	8
	.type	_ZL26rocblas_hemvn_kernel_lowerILb1ELi64ELi4ELi33ELi32ELi16ElPK19rocblas_complex_numIdEPKS3_PS1_EviT6_lT7_lT5_lS8_lS9_lS7_lT8_i,@function
_ZL26rocblas_hemvn_kernel_lowerILb1ELi64ELi4ELi33ELi32ELi16ElPK19rocblas_complex_numIdEPKS3_PS1_EviT6_lT7_lT5_lS8_lS9_lS7_lT8_i: ; @_ZL26rocblas_hemvn_kernel_lowerILb1ELi64ELi4ELi33ELi32ELi16ElPK19rocblas_complex_numIdEPKS3_PS1_EviT6_lT7_lT5_lS8_lS9_lS7_lT8_i
; %bb.0:
	s_load_dwordx2 s[0:1], s[4:5], 0x84
	s_add_u32 s16, s4, 0x78
	s_addc_u32 s17, s5, 0
	s_waitcnt lgkmcnt(0)
	s_lshr_b32 s2, s0, 16
	s_and_b32 s0, s0, 0xffff
	s_and_b32 s1, s1, 0xffff
	s_mul_i32 s0, s2, s0
	s_mul_i32 s0, s0, s1
	s_cmpk_lg_i32 s0, 0x100
	s_cbranch_scc1 .LBB56_139
; %bb.1:
	s_load_dwordx8 s[8:15], s[4:5], 0x8
	s_load_dwordx2 s[26:27], s[4:5], 0x68
	s_mov_b32 s24, s7
	s_mov_b32 s25, 0
	s_waitcnt lgkmcnt(0)
	s_mul_i32 s1, s7, s11
	s_mul_hi_u32 s2, s7, s10
	s_mul_i32 s0, s7, s10
	s_add_i32 s1, s2, s1
	s_lshl_b64 s[0:1], s[0:1], 4
	s_add_u32 s8, s8, s0
	s_addc_u32 s9, s9, s1
	s_load_dwordx4 s[28:31], s[8:9], 0x0
	s_load_dwordx2 s[22:23], s[4:5], 0x28
	s_load_dwordx4 s[0:3], s[4:5], 0x58
	s_mov_b64 s[8:9], 0
	s_waitcnt lgkmcnt(0)
	v_cmp_neq_f64_e64 s[10:11], s[28:29], 0
	v_cmp_neq_f64_e64 s[18:19], s[30:31], 0
	s_or_b64 s[28:29], s[10:11], s[18:19]
	s_and_b64 vcc, exec, s[28:29]
	s_cbranch_vccnz .LBB56_3
; %bb.2:
	s_mul_i32 s3, s24, s3
	s_mul_hi_u32 s7, s24, s2
	s_add_i32 s3, s7, s3
	s_mul_i32 s2, s24, s2
	s_lshl_b64 s[2:3], s[2:3], 4
	s_add_u32 s0, s0, s2
	s_addc_u32 s1, s1, s3
	s_load_dwordx4 s[0:3], s[0:1], 0x0
	s_mov_b64 s[18:19], 0
	s_waitcnt lgkmcnt(0)
	v_cmp_neq_f64_e64 s[0:1], s[0:1], 1.0
	v_cmp_neq_f64_e64 s[2:3], s[2:3], 0
	s_or_b64 s[8:9], s[0:1], s[2:3]
	s_cbranch_execz .LBB56_4
	s_branch .LBB56_5
.LBB56_3:
	s_mov_b64 s[18:19], -1
.LBB56_4:
	s_lshl_b64 s[0:1], s[24:25], 3
	s_add_u32 s0, s12, s0
	s_addc_u32 s1, s13, s1
	s_load_dwordx2 s[0:1], s[0:1], 0x0
	s_lshl_b64 s[2:3], s[14:15], 4
	s_mov_b64 s[8:9], -1
	s_waitcnt lgkmcnt(0)
	s_add_u32 s18, s0, s2
	s_addc_u32 s19, s1, s3
.LBB56_5:
	s_andn2_b64 vcc, exec, s[8:9]
	s_cbranch_vccnz .LBB56_139
; %bb.6:
	s_load_dwordx4 s[8:11], s[4:5], 0x38
	s_load_dwordx2 s[20:21], s[4:5], 0x48
	v_cndmask_b32_e64 v1, 0, 1, s[28:29]
	v_cmp_ne_u32_e64 s[0:1], 1, v1
	s_andn2_b64 vcc, exec, s[28:29]
	s_mov_b64 s[2:3], 0
	s_cbranch_vccnz .LBB56_8
; %bb.7:
	s_lshl_b64 s[2:3], s[24:25], 3
	s_waitcnt lgkmcnt(0)
	s_add_u32 s2, s8, s2
	s_addc_u32 s3, s9, s3
	s_load_dwordx2 s[2:3], s[2:3], 0x0
	s_lshl_b64 s[8:9], s[10:11], 4
	s_waitcnt lgkmcnt(0)
	s_add_u32 s2, s2, s8
	s_addc_u32 s3, s3, s9
.LBB56_8:
	s_and_b64 vcc, exec, s[0:1]
	s_cbranch_vccnz .LBB56_139
; %bb.9:
	s_load_dword s25, s[16:17], 0x0
	s_load_dword s7, s[4:5], 0x0
	v_and_b32_e32 v42, 0x3ff, v0
	s_lshl_b32 s30, s6, 6
	v_add_u32_e32 v148, s30, v42
	s_waitcnt lgkmcnt(0)
	s_add_i32 s0, s25, -1
	s_ashr_i32 s33, s7, 31
	s_lshr_b32 s1, s33, 26
	s_add_i32 s1, s7, s1
	s_andn2_b32 s1, s1, 63
	s_sub_i32 s1, s7, s1
	s_cmp_eq_u32 s6, s0
	v_ashrrev_i32_e32 v149, 31, v148
	v_bfe_u32 v154, v0, 10, 10
	s_cselect_b32 s28, s1, 0
	v_mul_lo_u32 v2, v149, s20
	v_mul_lo_u32 v3, v148, s21
	v_mad_u64_u32 v[0:1], s[0:1], v148, s20, 0
	v_add3_u32 v1, v1, v3, v2
	v_lshlrev_b64 v[0:1], 4, v[0:1]
	v_mov_b32_e32 v2, s3
	v_add_co_u32_e32 v36, vcc, s2, v0
	v_addc_co_u32_e32 v37, vcc, v2, v1, vcc
	v_cmp_ne_u32_e64 s[0:1], 0, v154
	v_cmp_eq_u32_e64 s[2:3], 0, v154
	s_and_saveexec_b64 s[4:5], s[2:3]
	s_cbranch_execz .LBB56_14
; %bb.10:
	s_cmp_lg_u32 s28, 0
	s_cselect_b64 s[8:9], -1, 0
	v_cmp_le_i32_e32 vcc, s28, v42
	v_mov_b32_e32 v0, 0x4700
	s_and_b64 s[8:9], s[8:9], vcc
	v_lshl_add_u32 v0, v42, 4, v0
	s_and_saveexec_b64 s[10:11], s[8:9]
	s_xor_b64 s[8:9], exec, s[10:11]
	s_cbranch_execz .LBB56_12
; %bb.11:
	v_mov_b32_e32 v2, 0
	v_mov_b32_e32 v3, v2
	;; [unrolled: 1-line block ×4, first 2 shown]
	ds_write_b128 v0, v[2:5]
                                        ; implicit-def: $vgpr0
.LBB56_12:
	s_andn2_saveexec_b64 s[8:9], s[8:9]
	s_cbranch_execz .LBB56_14
; %bb.13:
	flat_load_dwordx4 v[2:5], v[36:37]
	s_waitcnt vmcnt(0) lgkmcnt(0)
	ds_write2_b64 v0, v[2:3], v[4:5] offset1:1
.LBB56_14:
	s_or_b64 exec, exec, s[4:5]
	s_ashr_i32 s31, s30, 31
	v_lshl_add_u32 v43, v154, 6, v42
	s_lshl_b64 s[4:5], s[30:31], 4
	v_and_b32_e32 v4, 31, v42
	v_lshrrev_b32_e32 v10, 5, v43
	s_add_u32 s8, s18, s4
	v_mov_b32_e32 v5, 0
	s_addc_u32 s9, s19, s5
	v_mad_u64_u32 v[0:1], s[4:5], v10, s22, v[4:5]
	v_mov_b32_e32 v2, v1
	v_mad_u64_u32 v[2:3], s[4:5], v10, s23, v[2:3]
	s_mul_i32 s4, s30, s23
	s_mul_hi_u32 s5, s30, s22
	s_add_i32 s4, s5, s4
	s_mul_i32 s5, s31, s22
	s_add_i32 s5, s4, s5
	s_mul_i32 s4, s30, s22
	s_lshl_b64 s[34:35], s[4:5], 4
	v_mov_b32_e32 v1, v2
	s_add_u32 s4, s34, s8
	v_lshlrev_b64 v[38:39], 4, v[0:1]
	s_addc_u32 s5, s35, s9
	v_mov_b32_e32 v0, s5
	v_add_co_u32_e32 v6, vcc, s4, v38
	s_cmp_lg_u32 s28, 0
	v_addc_co_u32_e32 v7, vcc, v0, v39, vcc
	s_cselect_b64 s[36:37], -1, 0
	s_cmp_eq_u32 s28, 0
	s_cselect_b64 s[38:39], -1, 0
	s_and_b64 vcc, exec, s[36:37]
	s_cbranch_vccnz .LBB56_16
; %bb.15:
	flat_load_dwordx4 v[0:3], v[6:7]
	v_mul_u32_u24_e32 v5, 33, v10
	s_lshl_b64 s[4:5], s[22:23], 7
	v_add_lshl_u32 v5, v5, v4, 4
	v_mov_b32_e32 v11, s5
	v_add_co_u32_e32 v8, vcc, s4, v6
	v_addc_co_u32_e32 v9, vcc, v7, v11, vcc
	v_add_u32_e32 v12, 0x1080, v5
	s_mul_i32 s8, s23, 0x180
	s_waitcnt vmcnt(0) lgkmcnt(0)
	ds_write2_b64 v5, v[0:1], v[2:3] offset1:1
	flat_load_dwordx4 v[0:3], v[8:9]
	v_add_co_u32_e32 v8, vcc, s4, v8
	v_addc_co_u32_e32 v9, vcc, v9, v11, vcc
	v_add_u32_e32 v11, 0x2100, v5
	v_add_u32_e32 v5, 0x3180, v5
	s_waitcnt vmcnt(0) lgkmcnt(0)
	ds_write2_b64 v12, v[0:1], v[2:3] offset1:1
	flat_load_dwordx4 v[0:3], v[8:9]
	v_mov_b32_e32 v8, 0x180
	v_mad_u64_u32 v[8:9], s[4:5], s22, v8, v[6:7]
	v_add_u32_e32 v9, s8, v9
	s_waitcnt vmcnt(0) lgkmcnt(0)
	ds_write2_b64 v11, v[0:1], v[2:3] offset1:1
	flat_load_dwordx4 v[0:3], v[8:9]
	s_waitcnt vmcnt(0) lgkmcnt(0)
	ds_write2_b64 v5, v[0:1], v[2:3] offset1:1
	s_cbranch_execz .LBB56_17
	s_branch .LBB56_34
.LBB56_16:
.LBB56_17:
	v_lshlrev_b32_e32 v2, 4, v4
	v_sub_co_u32_e32 v0, vcc, v6, v2
	s_ashr_i32 s29, s28, 31
	v_subbrev_co_u32_e32 v1, vcc, 0, v7, vcc
	s_lshl_b64 s[8:9], s[28:29], 4
	v_mov_b32_e32 v3, s9
	v_add_co_u32_e32 v0, vcc, s8, v0
	v_addc_co_u32_e32 v1, vcc, v1, v3, vcc
	v_add_co_u32_e32 v0, vcc, -16, v0
	v_addc_co_u32_e32 v1, vcc, -1, v1, vcc
	v_cmp_gt_i32_e32 vcc, s28, v4
	v_mul_u32_u24_e32 v3, 33, v10
	v_cndmask_b32_e32 v1, v1, v7, vcc
	v_cndmask_b32_e32 v0, v0, v6, vcc
	v_cmp_le_i32_e64 s[4:5], s28, v10
	v_add_lshl_u32 v3, v3, v4, 4
	s_and_saveexec_b64 s[10:11], s[4:5]
	s_xor_b64 s[4:5], exec, s[10:11]
	s_cbranch_execz .LBB56_19
; %bb.18:
	v_mov_b32_e32 v12, 0
	v_mov_b32_e32 v13, v12
	;; [unrolled: 1-line block ×4, first 2 shown]
	ds_write_b128 v3, v[12:15]
.LBB56_19:
	s_andn2_saveexec_b64 s[4:5], s[4:5]
	s_cbranch_execz .LBB56_21
; %bb.20:
	flat_load_dwordx4 v[12:15], v[0:1]
	s_waitcnt vmcnt(0) lgkmcnt(0)
	ds_write2_b64 v3, v[12:13], v[14:15] offset1:1
.LBB56_21:
	s_or_b64 exec, exec, s[4:5]
	v_add_u32_e32 v5, 8, v10
	v_cmp_le_i32_e64 s[4:5], s28, v5
	s_and_saveexec_b64 s[10:11], s[4:5]
	s_xor_b64 s[4:5], exec, s[10:11]
	s_cbranch_execz .LBB56_23
; %bb.22:
	v_mul_u32_u24_e32 v5, 33, v5
	v_mov_b32_e32 v12, 0
	v_add_lshl_u32 v5, v5, v4, 4
	v_mov_b32_e32 v13, v12
	v_mov_b32_e32 v14, v12
	;; [unrolled: 1-line block ×3, first 2 shown]
	ds_write_b128 v5, v[12:15]
.LBB56_23:
	s_andn2_saveexec_b64 s[10:11], s[4:5]
	s_cbranch_execz .LBB56_25
; %bb.24:
	s_lshl_b64 s[4:5], s[22:23], 7
	v_mov_b32_e32 v5, s5
	v_add_co_u32_e64 v8, s[4:5], s4, v0
	v_addc_co_u32_e64 v9, s[4:5], v1, v5, s[4:5]
	flat_load_dwordx4 v[12:15], v[8:9]
	v_add_u32_e32 v5, 0x1080, v3
	s_waitcnt vmcnt(0) lgkmcnt(0)
	ds_write2_b64 v5, v[12:13], v[14:15] offset1:1
.LBB56_25:
	s_or_b64 exec, exec, s[10:11]
	v_add_u32_e32 v5, 16, v10
	v_cmp_le_i32_e64 s[4:5], s28, v5
	s_and_saveexec_b64 s[10:11], s[4:5]
	s_xor_b64 s[4:5], exec, s[10:11]
	s_cbranch_execz .LBB56_27
; %bb.26:
	v_mov_b32_e32 v12, 0
	v_mov_b32_e32 v13, v12
	;; [unrolled: 1-line block ×4, first 2 shown]
	ds_write_b128 v3, v[12:15] offset:8448
.LBB56_27:
	s_andn2_saveexec_b64 s[10:11], s[4:5]
	s_cbranch_execz .LBB56_29
; %bb.28:
	s_lshl_b64 s[4:5], s[22:23], 8
	v_mov_b32_e32 v5, s5
	v_add_co_u32_e64 v8, s[4:5], s4, v0
	v_addc_co_u32_e64 v9, s[4:5], v1, v5, s[4:5]
	flat_load_dwordx4 v[12:15], v[8:9]
	v_add_u32_e32 v5, 0x2100, v3
	s_waitcnt vmcnt(0) lgkmcnt(0)
	ds_write2_b64 v5, v[12:13], v[14:15] offset1:1
.LBB56_29:
	s_or_b64 exec, exec, s[10:11]
	v_add_u32_e32 v5, 24, v10
	v_cmp_le_i32_e64 s[4:5], s28, v5
	s_and_saveexec_b64 s[10:11], s[4:5]
	s_xor_b64 s[4:5], exec, s[10:11]
	s_cbranch_execz .LBB56_31
; %bb.30:
	v_mov_b32_e32 v12, 0
	v_mov_b32_e32 v13, v12
	v_mov_b32_e32 v14, v12
	v_mov_b32_e32 v15, v12
	ds_write_b128 v3, v[12:15] offset:12672
                                        ; implicit-def: $vgpr3
.LBB56_31:
	s_andn2_saveexec_b64 s[4:5], s[4:5]
	s_cbranch_execz .LBB56_33
; %bb.32:
	v_mov_b32_e32 v5, 0x180
	v_mad_u64_u32 v[8:9], s[10:11], s22, v5, v[0:1]
	s_mul_i32 s10, s23, 0x180
	v_add_u32_e32 v9, s10, v9
	flat_load_dwordx4 v[12:15], v[8:9]
	v_add_u32_e32 v3, 0x3180, v3
	s_waitcnt vmcnt(0) lgkmcnt(0)
	ds_write2_b64 v3, v[12:13], v[14:15] offset1:1
.LBB56_33:
	s_or_b64 exec, exec, s[4:5]
	v_add_co_u32_e64 v0, s[4:5], v0, v2
	v_addc_co_u32_e64 v1, s[4:5], 0, v1, s[4:5]
	v_mov_b32_e32 v2, s9
	v_subrev_co_u32_e64 v0, s[4:5], s8, v0
	v_subb_co_u32_e64 v1, s[4:5], v1, v2, s[4:5]
	v_add_co_u32_e64 v0, s[4:5], 16, v0
	v_addc_co_u32_e64 v1, s[4:5], 0, v1, s[4:5]
	v_cndmask_b32_e32 v7, v1, v7, vcc
	v_cndmask_b32_e32 v6, v0, v6, vcc
.LBB56_34:
	v_lshlrev_b32_e32 v12, 2, v10
	v_cmp_ge_u32_e64 s[18:19], v12, v4
	s_waitcnt lgkmcnt(0)
	s_barrier
	s_and_saveexec_b64 s[4:5], s[18:19]
	s_xor_b64 s[4:5], exec, s[4:5]
	s_cbranch_execz .LBB56_38
; %bb.35:
	v_cmp_eq_u32_e32 vcc, v12, v4
	s_and_saveexec_b64 s[8:9], vcc
	s_cbranch_execz .LBB56_37
; %bb.36:
	v_mul_u32_u24_e32 v0, 34, v4
	v_lshlrev_b32_e32 v2, 4, v0
	v_mov_b32_e32 v0, 0
	v_mov_b32_e32 v1, v0
	ds_write_b64 v2, v[0:1] offset:8
.LBB56_37:
	s_or_b64 exec, exec, s[8:9]
.LBB56_38:
	s_or_saveexec_b64 s[4:5], s[4:5]
	v_mul_u32_u24_e32 v44, 33, v4
	v_add_lshl_u32 v5, v12, v44, 4
	s_xor_b64 exec, exec, s[4:5]
	s_cbranch_execz .LBB56_40
; %bb.39:
	v_mul_u32_u24_e32 v0, 0x84, v10
	v_add_lshl_u32 v0, v0, v4, 4
	ds_read_b128 v[0:3], v0
	s_waitcnt lgkmcnt(0)
	v_xor_b32_e32 v3, 0x80000000, v3
	ds_write_b128 v5, v[0:3]
.LBB56_40:
	s_or_b64 exec, exec, s[4:5]
	v_or_b32_e32 v13, 1, v12
	v_cmp_ge_u32_e64 s[8:9], v13, v4
	s_and_saveexec_b64 s[4:5], s[8:9]
	s_xor_b64 s[4:5], exec, s[4:5]
	s_cbranch_execz .LBB56_44
; %bb.41:
	v_cmp_eq_u32_e32 vcc, v13, v4
	s_and_saveexec_b64 s[10:11], vcc
	s_cbranch_execz .LBB56_43
; %bb.42:
	v_mul_u32_u24_e32 v0, 34, v4
	v_lshlrev_b32_e32 v2, 4, v0
	v_mov_b32_e32 v0, 0
	v_mov_b32_e32 v1, v0
	ds_write_b64 v2, v[0:1] offset:8
.LBB56_43:
	s_or_b64 exec, exec, s[10:11]
.LBB56_44:
	s_or_saveexec_b64 s[4:5], s[4:5]
	v_mul_u32_u24_e32 v0, 33, v13
	s_xor_b64 exec, exec, s[4:5]
	s_cbranch_execz .LBB56_46
; %bb.45:
	v_add_lshl_u32 v1, v0, v4, 4
	ds_read_b128 v[14:17], v1
	s_waitcnt lgkmcnt(0)
	v_xor_b32_e32 v17, 0x80000000, v17
	ds_write_b128 v5, v[14:17] offset:16
.LBB56_46:
	s_or_b64 exec, exec, s[4:5]
	v_or_b32_e32 v14, 2, v12
	v_cmp_ge_u32_e64 s[10:11], v14, v4
	s_and_saveexec_b64 s[4:5], s[10:11]
	s_xor_b64 s[4:5], exec, s[4:5]
	s_cbranch_execz .LBB56_50
; %bb.47:
	v_cmp_eq_u32_e32 vcc, v14, v4
	s_and_saveexec_b64 s[12:13], vcc
	s_cbranch_execz .LBB56_49
; %bb.48:
	v_mul_u32_u24_e32 v1, 34, v4
	v_mov_b32_e32 v2, 0
	v_lshlrev_b32_e32 v1, 4, v1
	v_mov_b32_e32 v3, v2
	ds_write_b64 v1, v[2:3] offset:8
.LBB56_49:
	s_or_b64 exec, exec, s[12:13]
.LBB56_50:
	s_andn2_saveexec_b64 s[4:5], s[4:5]
	s_cbranch_execz .LBB56_52
; %bb.51:
	v_mul_u32_u24_e32 v1, 33, v14
	v_add_lshl_u32 v1, v1, v4, 4
	ds_read_b128 v[16:19], v1
	s_waitcnt lgkmcnt(0)
	v_xor_b32_e32 v19, 0x80000000, v19
	ds_write_b128 v5, v[16:19] offset:32
.LBB56_52:
	s_or_b64 exec, exec, s[4:5]
	v_or_b32_e32 v15, 3, v12
	v_cmp_ge_u32_e64 s[12:13], v15, v4
	s_and_saveexec_b64 s[4:5], s[12:13]
	s_xor_b64 s[4:5], exec, s[4:5]
	s_cbranch_execz .LBB56_56
; %bb.53:
	v_cmp_eq_u32_e32 vcc, v15, v4
	s_and_saveexec_b64 s[14:15], vcc
	s_cbranch_execz .LBB56_55
; %bb.54:
	v_mul_u32_u24_e32 v1, 34, v4
	v_mov_b32_e32 v2, 0
	v_lshlrev_b32_e32 v1, 4, v1
	v_mov_b32_e32 v3, v2
	ds_write_b64 v1, v[2:3] offset:8
.LBB56_55:
	s_or_b64 exec, exec, s[14:15]
.LBB56_56:
	s_andn2_saveexec_b64 s[4:5], s[4:5]
	s_cbranch_execz .LBB56_58
; %bb.57:
	v_mul_u32_u24_e32 v1, 33, v15
	v_add_lshl_u32 v1, v1, v4, 4
	ds_read_b128 v[16:19], v1
	s_waitcnt lgkmcnt(0)
	v_xor_b32_e32 v19, 0x80000000, v19
	ds_write_b128 v5, v[16:19] offset:48
.LBB56_58:
	s_or_b64 exec, exec, s[4:5]
	v_mul_u32_u24_e32 v1, 0x84, v10
	v_lshlrev_b32_e32 v17, 4, v12
	s_waitcnt lgkmcnt(0)
	s_barrier
	v_add_lshl_u32 v16, v1, v4, 4
	ds_read_b128 v[18:21], v17 offset:18176
	ds_read_b128 v[22:25], v17 offset:18192
	ds_read_b128 v[26:29], v16
	ds_read_b128 v[30:33], v17 offset:18208
	ds_read_b128 v[46:49], v17 offset:18224
	v_add_lshl_u32 v11, v0, v4, 4
	ds_read_b128 v[0:3], v11
	s_waitcnt lgkmcnt(3)
	v_mul_f64 v[8:9], v[20:21], v[28:29]
	v_fma_f64 v[8:9], v[18:19], v[26:27], -v[8:9]
	v_mul_f64 v[18:19], v[18:19], v[28:29]
	v_fmac_f64_e32 v[18:19], v[20:21], v[26:27]
	v_add_f64 v[26:27], v[18:19], 0
	s_waitcnt lgkmcnt(0)
	v_mul_f64 v[18:19], v[24:25], v[2:3]
	v_fma_f64 v[28:29], v[22:23], v[0:1], -v[18:19]
	v_mul_f64 v[2:3], v[22:23], v[2:3]
	ds_read_b128 v[18:21], v11 offset:528
	v_fmac_f64_e32 v[2:3], v[24:25], v[0:1]
	v_add_f64 v[22:23], v[26:27], v[2:3]
	ds_read_b128 v[0:3], v11 offset:1056
	v_add_f64 v[8:9], v[8:9], 0
	s_waitcnt lgkmcnt(1)
	v_mul_f64 v[24:25], v[32:33], v[20:21]
	v_mul_f64 v[20:21], v[30:31], v[20:21]
	v_fmac_f64_e32 v[20:21], v[32:33], v[18:19]
	v_add_f64 v[8:9], v[8:9], v[28:29]
	v_fma_f64 v[24:25], v[30:31], v[18:19], -v[24:25]
	v_add_f64 v[18:19], v[22:23], v[20:21]
	s_waitcnt lgkmcnt(0)
	v_mul_f64 v[20:21], v[48:49], v[2:3]
	v_mul_f64 v[2:3], v[46:47], v[2:3]
	v_add_f64 v[8:9], v[8:9], v[24:25]
	v_fma_f64 v[20:21], v[46:47], v[0:1], -v[20:21]
	v_fmac_f64_e32 v[2:3], v[48:49], v[0:1]
	v_add_f64 v[0:1], v[8:9], v[20:21]
	v_add_f64 v[2:3], v[18:19], v[2:3]
	v_add_lshl_u32 v45, v10, v44, 4
	s_barrier
	ds_write_b128 v45, v[0:3]
	v_pk_mov_b32 v[0:1], 0, 0
	v_cmp_gt_u32_e64 s[4:5], 32, v43
	v_pk_mov_b32 v[2:3], v[0:1], v[0:1] op_sel:[0,1]
	s_waitcnt lgkmcnt(0)
	s_barrier
	s_and_saveexec_b64 s[14:15], s[4:5]
	s_cbranch_execz .LBB56_60
; %bb.59:
	v_lshlrev_b32_e32 v30, 4, v44
	ds_read_b128 v[0:3], v30
	ds_read_b128 v[18:21], v30 offset:16
	ds_read_b128 v[22:25], v30 offset:32
	;; [unrolled: 1-line block ×3, first 2 shown]
	s_waitcnt lgkmcnt(2)
	v_add_f64 v[0:1], v[18:19], v[0:1]
	v_add_f64 v[8:9], v[20:21], v[2:3]
	s_waitcnt lgkmcnt(1)
	v_add_f64 v[18:19], v[0:1], v[22:23]
	ds_read_b128 v[0:3], v30 offset:64
	v_add_f64 v[8:9], v[8:9], v[24:25]
	s_waitcnt lgkmcnt(1)
	v_add_f64 v[22:23], v[18:19], v[26:27]
	ds_read_b128 v[18:21], v30 offset:80
	;; [unrolled: 4-line block ×3, first 2 shown]
	v_add_f64 v[8:9], v[8:9], v[2:3]
	ds_read_b128 v[0:3], v30 offset:112
	s_waitcnt lgkmcnt(2)
	v_add_f64 v[18:19], v[26:27], v[18:19]
	v_add_f64 v[8:9], v[8:9], v[20:21]
	s_waitcnt lgkmcnt(1)
	v_add_f64 v[18:19], v[18:19], v[22:23]
	v_add_f64 v[8:9], v[8:9], v[24:25]
	;; [unrolled: 3-line block ×3, first 2 shown]
.LBB56_60:
	s_or_b64 exec, exec, s[14:15]
	s_lshl_b64 s[14:15], s[22:23], 9
	v_mov_b32_e32 v9, s15
	v_add_co_u32_e32 v8, vcc, s14, v6
	v_addc_co_u32_e32 v9, vcc, v7, v9, vcc
	v_add_co_u32_e32 v6, vcc, 0x200, v8
	v_cndmask_b32_e64 v7, 0, 1, s[38:39]
	s_mov_b64 s[16:17], vcc
	v_cmp_ne_u32_e64 s[14:15], 1, v7
	s_andn2_b64 vcc, exec, s[38:39]
	v_addc_co_u32_e64 v7, s[16:17], 0, v9, s[16:17]
	s_barrier
	s_cbranch_vccnz .LBB56_62
; %bb.61:
	flat_load_dwordx4 v[18:21], v[6:7]
	v_mul_u32_u24_e32 v22, 33, v10
	s_lshl_b64 s[16:17], s[22:23], 7
	v_add_lshl_u32 v24, v22, v4, 4
	v_mov_b32_e32 v25, s17
	v_add_co_u32_e32 v22, vcc, s16, v8
	v_addc_co_u32_e32 v23, vcc, v9, v25, vcc
	v_add_u32_e32 v26, 0x1080, v24
	s_mul_i32 s29, s23, 0x180
	s_waitcnt vmcnt(0) lgkmcnt(0)
	ds_write2_b64 v24, v[18:19], v[20:21] offset1:1
	flat_load_dwordx4 v[18:21], v[22:23] offset:512
	v_add_co_u32_e32 v22, vcc, s16, v22
	v_addc_co_u32_e32 v23, vcc, v23, v25, vcc
	s_waitcnt vmcnt(0) lgkmcnt(0)
	ds_write2_b64 v26, v[18:19], v[20:21] offset1:1
	flat_load_dwordx4 v[18:21], v[22:23] offset:512
	v_mov_b32_e32 v22, 0x180
	v_mad_u64_u32 v[8:9], s[16:17], s22, v22, v[8:9]
	v_add_u32_e32 v22, 0x2100, v24
	v_add_u32_e32 v9, s29, v9
	s_waitcnt vmcnt(0) lgkmcnt(0)
	ds_write2_b64 v22, v[18:19], v[20:21] offset1:1
	flat_load_dwordx4 v[18:21], v[8:9] offset:512
	v_add_u32_e32 v8, 0x3180, v24
	s_waitcnt vmcnt(0) lgkmcnt(0)
	ds_write2_b64 v8, v[18:19], v[20:21] offset1:1
	s_cbranch_execz .LBB56_63
	s_branch .LBB56_80
.LBB56_62:
.LBB56_63:
	v_or_b32_e32 v8, 32, v4
	v_lshlrev_b32_e32 v9, 4, v8
	v_sub_co_u32_e32 v9, vcc, v6, v9
	s_ashr_i32 s29, s28, 31
	v_subbrev_co_u32_e32 v18, vcc, 0, v7, vcc
	s_lshl_b64 s[38:39], s[28:29], 4
	v_mov_b32_e32 v19, s39
	v_add_co_u32_e32 v9, vcc, s38, v9
	v_addc_co_u32_e32 v18, vcc, v18, v19, vcc
	v_add_co_u32_e32 v19, vcc, -16, v9
	v_addc_co_u32_e32 v9, vcc, -1, v18, vcc
	v_cmp_gt_i32_e64 s[16:17], s28, v8
	s_sub_i32 s29, s28, 32
	v_mul_u32_u24_e32 v18, 33, v10
	v_cndmask_b32_e64 v9, v9, v7, s[16:17]
	v_cndmask_b32_e64 v8, v19, v6, s[16:17]
	v_cmp_le_i32_e32 vcc, s29, v10
	v_add_lshl_u32 v18, v18, v4, 4
	s_and_saveexec_b64 s[40:41], vcc
	s_xor_b64 s[40:41], exec, s[40:41]
	s_cbranch_execz .LBB56_65
; %bb.64:
	v_mov_b32_e32 v20, 0
	v_mov_b32_e32 v21, v20
	;; [unrolled: 1-line block ×4, first 2 shown]
	ds_write_b128 v18, v[20:23]
.LBB56_65:
	s_andn2_saveexec_b64 s[40:41], s[40:41]
	s_cbranch_execz .LBB56_67
; %bb.66:
	flat_load_dwordx4 v[20:23], v[8:9]
	s_waitcnt vmcnt(0) lgkmcnt(0)
	ds_write2_b64 v18, v[20:21], v[22:23] offset1:1
.LBB56_67:
	s_or_b64 exec, exec, s[40:41]
	v_add_u32_e32 v19, 8, v10
	v_cmp_le_i32_e32 vcc, s29, v19
	s_and_saveexec_b64 s[40:41], vcc
	s_xor_b64 s[40:41], exec, s[40:41]
	s_cbranch_execz .LBB56_69
; %bb.68:
	v_mul_u32_u24_e32 v19, 33, v19
	v_mov_b32_e32 v20, 0
	v_add_lshl_u32 v19, v19, v4, 4
	v_mov_b32_e32 v21, v20
	v_mov_b32_e32 v22, v20
	;; [unrolled: 1-line block ×3, first 2 shown]
	ds_write_b128 v19, v[20:23]
.LBB56_69:
	s_andn2_saveexec_b64 s[40:41], s[40:41]
	s_cbranch_execz .LBB56_71
; %bb.70:
	s_lshl_b64 s[42:43], s[22:23], 7
	v_mov_b32_e32 v19, s43
	v_add_co_u32_e32 v20, vcc, s42, v8
	v_addc_co_u32_e32 v21, vcc, v9, v19, vcc
	flat_load_dwordx4 v[20:23], v[20:21]
	v_add_u32_e32 v19, 0x1080, v18
	s_waitcnt vmcnt(0) lgkmcnt(0)
	ds_write2_b64 v19, v[20:21], v[22:23] offset1:1
.LBB56_71:
	s_or_b64 exec, exec, s[40:41]
	v_add_u32_e32 v19, 16, v10
	v_cmp_le_i32_e32 vcc, s29, v19
	s_and_saveexec_b64 s[40:41], vcc
	s_xor_b64 s[40:41], exec, s[40:41]
	s_cbranch_execz .LBB56_73
; %bb.72:
	v_mov_b32_e32 v20, 0
	v_mov_b32_e32 v21, v20
	;; [unrolled: 1-line block ×4, first 2 shown]
	ds_write_b128 v18, v[20:23] offset:8448
.LBB56_73:
	s_andn2_saveexec_b64 s[40:41], s[40:41]
	s_cbranch_execz .LBB56_75
; %bb.74:
	s_lshl_b64 s[42:43], s[22:23], 8
	v_mov_b32_e32 v19, s43
	v_add_co_u32_e32 v20, vcc, s42, v8
	v_addc_co_u32_e32 v21, vcc, v9, v19, vcc
	flat_load_dwordx4 v[20:23], v[20:21]
	v_add_u32_e32 v19, 0x2100, v18
	s_waitcnt vmcnt(0) lgkmcnt(0)
	ds_write2_b64 v19, v[20:21], v[22:23] offset1:1
.LBB56_75:
	s_or_b64 exec, exec, s[40:41]
	v_add_u32_e32 v19, 24, v10
	v_cmp_le_i32_e32 vcc, s29, v19
	s_and_saveexec_b64 s[40:41], vcc
	s_xor_b64 s[40:41], exec, s[40:41]
	s_cbranch_execz .LBB56_77
; %bb.76:
	v_mov_b32_e32 v20, 0
	v_mov_b32_e32 v21, v20
	;; [unrolled: 1-line block ×4, first 2 shown]
	ds_write_b128 v18, v[20:23] offset:12672
                                        ; implicit-def: $vgpr18
.LBB56_77:
	s_andn2_saveexec_b64 s[40:41], s[40:41]
	s_cbranch_execz .LBB56_79
; %bb.78:
	v_mov_b32_e32 v19, 0x180
	v_mad_u64_u32 v[20:21], s[42:43], s22, v19, v[8:9]
	s_mul_i32 s29, s23, 0x180
	v_add_u32_e32 v21, s29, v21
	flat_load_dwordx4 v[20:23], v[20:21]
	v_add_u32_e32 v18, 0x3180, v18
	s_waitcnt vmcnt(0) lgkmcnt(0)
	ds_write2_b64 v18, v[20:21], v[22:23] offset1:1
.LBB56_79:
	s_or_b64 exec, exec, s[40:41]
	v_lshlrev_b32_e32 v18, 4, v4
	v_add_co_u32_e32 v8, vcc, v8, v18
	v_addc_co_u32_e32 v9, vcc, 0, v9, vcc
	v_mov_b32_e32 v18, s39
	v_subrev_co_u32_e32 v8, vcc, s38, v8
	v_subb_co_u32_e32 v9, vcc, v9, v18, vcc
	v_add_co_u32_e32 v8, vcc, 0x210, v8
	v_addc_co_u32_e32 v9, vcc, 0, v9, vcc
	v_cndmask_b32_e64 v7, v9, v7, s[16:17]
	v_cndmask_b32_e64 v6, v8, v6, s[16:17]
.LBB56_80:
	v_add_u32_e32 v8, 0x4700, v17
	s_lshl_b64 s[16:17], s[22:23], 5
	s_waitcnt lgkmcnt(0)
	s_barrier
	s_and_saveexec_b64 s[38:39], s[18:19]
	s_xor_b64 s[18:19], exec, s[38:39]
	s_cbranch_execnz .LBB56_93
; %bb.81:
	s_andn2_saveexec_b64 s[18:19], s[18:19]
	s_cbranch_execnz .LBB56_96
.LBB56_82:
	s_or_b64 exec, exec, s[18:19]
	s_and_saveexec_b64 s[18:19], s[8:9]
	s_xor_b64 s[8:9], exec, s[18:19]
	s_cbranch_execnz .LBB56_97
.LBB56_83:
	s_andn2_saveexec_b64 s[8:9], s[8:9]
	s_cbranch_execnz .LBB56_100
.LBB56_84:
	s_or_b64 exec, exec, s[8:9]
	s_and_saveexec_b64 s[8:9], s[10:11]
	s_xor_b64 s[8:9], exec, s[8:9]
	s_cbranch_execnz .LBB56_101
.LBB56_85:
	s_andn2_saveexec_b64 s[8:9], s[8:9]
	s_cbranch_execnz .LBB56_104
.LBB56_86:
	s_or_b64 exec, exec, s[8:9]
	s_and_saveexec_b64 s[8:9], s[12:13]
	s_xor_b64 s[8:9], exec, s[8:9]
	s_cbranch_execnz .LBB56_105
.LBB56_87:
	s_andn2_saveexec_b64 s[8:9], s[8:9]
	s_cbranch_execz .LBB56_89
.LBB56_88:
	ds_read_b128 v[12:15], v11 offset:1056
	s_waitcnt lgkmcnt(0)
	v_xor_b32_e32 v15, 0x80000000, v15
	ds_write_b128 v5, v[12:15] offset:48
.LBB56_89:
	s_or_b64 exec, exec, s[8:9]
	s_waitcnt lgkmcnt(0)
	s_barrier
	ds_read_b128 v[12:15], v8 offset:512
	ds_read_b128 v[16:19], v16
	ds_read_b128 v[20:23], v8 offset:528
	ds_read_b128 v[24:27], v8 offset:544
	v_cmp_eq_u32_e64 s[10:11], 1, v10
	s_waitcnt lgkmcnt(2)
	v_mul_f64 v[28:29], v[14:15], v[18:19]
	v_fma_f64 v[40:41], v[12:13], v[16:17], -v[28:29]
	ds_read_b128 v[28:31], v8 offset:560
	ds_read_b128 v[32:35], v11
	v_mul_f64 v[12:13], v[12:13], v[18:19]
	v_fmac_f64_e32 v[12:13], v[14:15], v[16:17]
	v_add_f64 v[18:19], v[12:13], 0
	v_add_f64 v[16:17], v[40:41], 0
	s_waitcnt lgkmcnt(0)
	v_mul_f64 v[12:13], v[22:23], v[34:35]
	v_fma_f64 v[40:41], v[20:21], v[32:33], -v[12:13]
	v_mul_f64 v[20:21], v[20:21], v[34:35]
	ds_read_b128 v[12:15], v11 offset:528
	v_fmac_f64_e32 v[20:21], v[22:23], v[32:33]
	v_add_f64 v[22:23], v[16:17], v[40:41]
	v_add_f64 v[20:21], v[18:19], v[20:21]
	ds_read_b128 v[16:19], v11 offset:1056
	s_waitcnt lgkmcnt(1)
	v_mul_f64 v[32:33], v[26:27], v[14:15]
	v_mul_f64 v[14:15], v[24:25], v[14:15]
	v_fmac_f64_e32 v[14:15], v[26:27], v[12:13]
	v_fma_f64 v[32:33], v[24:25], v[12:13], -v[32:33]
	v_add_f64 v[14:15], v[20:21], v[14:15]
	s_waitcnt lgkmcnt(0)
	v_mul_f64 v[20:21], v[30:31], v[18:19]
	v_mul_f64 v[18:19], v[28:29], v[18:19]
	v_add_f64 v[12:13], v[22:23], v[32:33]
	v_fma_f64 v[20:21], v[28:29], v[16:17], -v[20:21]
	v_fmac_f64_e32 v[18:19], v[30:31], v[16:17]
	v_add_f64 v[12:13], v[12:13], v[20:21]
	v_add_f64 v[14:15], v[14:15], v[18:19]
	s_barrier
	ds_write_b128 v45, v[12:15]
	s_waitcnt lgkmcnt(0)
	s_barrier
	s_and_saveexec_b64 s[8:9], s[10:11]
	s_cbranch_execz .LBB56_91
; %bb.90:
	v_lshlrev_b32_e32 v9, 4, v44
	ds_read_b128 v[0:3], v9
	ds_read_b128 v[12:15], v9 offset:16
	ds_read_b128 v[16:19], v9 offset:32
	;; [unrolled: 1-line block ×3, first 2 shown]
	s_waitcnt lgkmcnt(2)
	v_add_f64 v[0:1], v[12:13], v[0:1]
	v_add_f64 v[12:13], v[14:15], v[2:3]
	s_waitcnt lgkmcnt(1)
	v_add_f64 v[14:15], v[0:1], v[16:17]
	ds_read_b128 v[0:3], v9 offset:64
	v_add_f64 v[12:13], v[12:13], v[18:19]
	s_waitcnt lgkmcnt(1)
	v_add_f64 v[16:17], v[14:15], v[20:21]
	v_add_f64 v[20:21], v[12:13], v[22:23]
	ds_read_b128 v[12:15], v9 offset:80
	s_waitcnt lgkmcnt(1)
	v_add_f64 v[22:23], v[16:17], v[0:1]
	ds_read_b128 v[16:19], v9 offset:96
	v_add_f64 v[20:21], v[20:21], v[2:3]
	ds_read_b128 v[0:3], v9 offset:112
	s_waitcnt lgkmcnt(2)
	v_add_f64 v[12:13], v[22:23], v[12:13]
	v_add_f64 v[14:15], v[20:21], v[14:15]
	s_waitcnt lgkmcnt(1)
	v_add_f64 v[12:13], v[12:13], v[16:17]
	v_add_f64 v[14:15], v[14:15], v[18:19]
	;; [unrolled: 3-line block ×3, first 2 shown]
.LBB56_91:
	s_or_b64 exec, exec, s[8:9]
	s_lshl_b64 s[8:9], s[16:17], 4
	v_mov_b32_e32 v9, s9
	v_subrev_co_u32_e64 v40, s[8:9], s8, v6
	s_and_b64 vcc, exec, s[14:15]
	v_subb_co_u32_e64 v41, s[8:9], v7, v9, s[8:9]
	s_barrier
	s_cbranch_vccnz .LBB56_108
; %bb.92:
	flat_load_dwordx4 v[12:15], v[40:41]
	v_mad_u32_u24 v9, v10, 33, v4
	s_lshl_b64 s[8:9], s[22:23], 7
	v_lshlrev_b32_e32 v20, 4, v9
	v_mov_b32_e32 v11, s9
	v_add_co_u32_e32 v6, vcc, s8, v40
	v_addc_co_u32_e32 v7, vcc, v41, v11, vcc
	v_add_u32_e32 v16, 0x1080, v20
	s_mul_i32 s12, s23, 0x180
	s_waitcnt vmcnt(0) lgkmcnt(0)
	ds_write2_b64 v20, v[12:13], v[14:15] offset1:1
	flat_load_dwordx4 v[12:15], v[6:7]
	v_add_co_u32_e32 v6, vcc, s8, v6
	v_addc_co_u32_e32 v7, vcc, v7, v11, vcc
	v_add_u32_e32 v11, 0x2100, v20
	s_waitcnt vmcnt(0) lgkmcnt(0)
	ds_write2_b64 v16, v[12:13], v[14:15] offset1:1
	flat_load_dwordx4 v[12:15], v[6:7]
	v_mov_b32_e32 v6, 0x180
	v_mad_u64_u32 v[6:7], s[8:9], s22, v6, v[40:41]
	v_add_u32_e32 v7, s12, v7
	s_waitcnt vmcnt(0) lgkmcnt(0)
	ds_write2_b64 v11, v[12:13], v[14:15] offset1:1
	flat_load_dwordx4 v[16:19], v[6:7]
	v_add_u32_e32 v11, 8, v10
	v_add_u32_e32 v12, 16, v10
	;; [unrolled: 1-line block ×7, first 2 shown]
	s_waitcnt vmcnt(0) lgkmcnt(0)
	ds_write2_b64 v15, v[16:17], v[18:19] offset1:1
	s_cbranch_execz .LBB56_109
	s_branch .LBB56_126
.LBB56_93:
	v_cmp_eq_u32_e32 vcc, v12, v4
	s_and_saveexec_b64 s[38:39], vcc
	s_cbranch_execz .LBB56_95
; %bb.94:
	v_mul_u32_u24_e32 v9, 34, v4
	v_mov_b32_e32 v18, 0
	v_lshlrev_b32_e32 v9, 4, v9
	v_mov_b32_e32 v19, v18
	ds_write_b64 v9, v[18:19] offset:8
.LBB56_95:
	s_or_b64 exec, exec, s[38:39]
	s_andn2_saveexec_b64 s[18:19], s[18:19]
	s_cbranch_execz .LBB56_82
.LBB56_96:
	ds_read_b128 v[18:21], v16
	s_waitcnt lgkmcnt(0)
	v_xor_b32_e32 v21, 0x80000000, v21
	ds_write_b128 v5, v[18:21]
	s_or_b64 exec, exec, s[18:19]
	s_and_saveexec_b64 s[18:19], s[8:9]
	s_xor_b64 s[8:9], exec, s[18:19]
	s_cbranch_execz .LBB56_83
.LBB56_97:
	v_cmp_eq_u32_e32 vcc, v13, v4
	s_and_saveexec_b64 s[18:19], vcc
	s_cbranch_execz .LBB56_99
; %bb.98:
	v_mul_u32_u24_e32 v9, 34, v4
	v_mov_b32_e32 v12, 0
	v_lshlrev_b32_e32 v9, 4, v9
	v_mov_b32_e32 v13, v12
	ds_write_b64 v9, v[12:13] offset:8
.LBB56_99:
	s_or_b64 exec, exec, s[18:19]
	s_andn2_saveexec_b64 s[8:9], s[8:9]
	s_cbranch_execz .LBB56_84
.LBB56_100:
	ds_read_b128 v[18:21], v11
	s_waitcnt lgkmcnt(0)
	v_xor_b32_e32 v21, 0x80000000, v21
	ds_write_b128 v5, v[18:21] offset:16
	s_or_b64 exec, exec, s[8:9]
	s_and_saveexec_b64 s[8:9], s[10:11]
	s_xor_b64 s[8:9], exec, s[8:9]
	s_cbranch_execz .LBB56_85
.LBB56_101:
	v_cmp_eq_u32_e32 vcc, v14, v4
	s_and_saveexec_b64 s[10:11], vcc
	s_cbranch_execz .LBB56_103
; %bb.102:
	v_mul_u32_u24_e32 v9, 34, v4
	v_mov_b32_e32 v12, 0
	v_lshlrev_b32_e32 v9, 4, v9
	v_mov_b32_e32 v13, v12
	ds_write_b64 v9, v[12:13] offset:8
.LBB56_103:
	s_or_b64 exec, exec, s[10:11]
	s_andn2_saveexec_b64 s[8:9], s[8:9]
	s_cbranch_execz .LBB56_86
.LBB56_104:
	ds_read_b128 v[18:21], v11 offset:528
	s_waitcnt lgkmcnt(0)
	v_xor_b32_e32 v21, 0x80000000, v21
	ds_write_b128 v5, v[18:21] offset:32
	s_or_b64 exec, exec, s[8:9]
	s_and_saveexec_b64 s[8:9], s[12:13]
	s_xor_b64 s[8:9], exec, s[8:9]
	s_cbranch_execz .LBB56_87
.LBB56_105:
	v_cmp_eq_u32_e32 vcc, v15, v4
	s_and_saveexec_b64 s[10:11], vcc
	s_cbranch_execz .LBB56_107
; %bb.106:
	v_mul_u32_u24_e32 v9, 34, v4
	v_mov_b32_e32 v12, 0
	v_lshlrev_b32_e32 v9, 4, v9
	v_mov_b32_e32 v13, v12
	ds_write_b64 v9, v[12:13] offset:8
.LBB56_107:
	s_or_b64 exec, exec, s[10:11]
	s_andn2_saveexec_b64 s[8:9], s[8:9]
	s_cbranch_execnz .LBB56_88
	s_branch .LBB56_89
.LBB56_108:
                                        ; implicit-def: $vgpr9
                                        ; implicit-def: $vgpr11
                                        ; implicit-def: $vgpr7
                                        ; implicit-def: $vgpr12
                                        ; implicit-def: $vgpr6
                                        ; implicit-def: $vgpr13
                                        ; implicit-def: $vgpr14
.LBB56_109:
	v_or_b32_e32 v6, 32, v4
	v_lshlrev_b32_e32 v7, 4, v6
	v_sub_co_u32_e32 v7, vcc, v40, v7
	s_ashr_i32 s29, s28, 31
	v_subbrev_co_u32_e32 v9, vcc, 0, v41, vcc
	s_lshl_b64 s[12:13], s[28:29], 4
	v_mov_b32_e32 v11, s13
	v_add_co_u32_e32 v7, vcc, s12, v7
	v_addc_co_u32_e32 v9, vcc, v9, v11, vcc
	v_add_co_u32_e32 v11, vcc, -16, v7
	v_addc_co_u32_e32 v7, vcc, -1, v9, vcc
	v_cmp_gt_i32_e64 s[8:9], s28, v6
	v_mad_u32_u24 v9, v10, 33, v4
	v_cndmask_b32_e64 v7, v7, v41, s[8:9]
	v_cndmask_b32_e64 v6, v11, v40, s[8:9]
	v_cmp_le_i32_e32 vcc, s28, v10
	v_lshlrev_b32_e32 v15, 4, v9
	s_and_saveexec_b64 s[14:15], vcc
	s_xor_b64 s[14:15], exec, s[14:15]
	s_cbranch_execz .LBB56_111
; %bb.110:
	v_mov_b32_e32 v16, 0
	v_mov_b32_e32 v17, v16
	;; [unrolled: 1-line block ×4, first 2 shown]
	ds_write_b128 v15, v[16:19]
.LBB56_111:
	s_andn2_saveexec_b64 s[14:15], s[14:15]
	s_cbranch_execz .LBB56_113
; %bb.112:
	flat_load_dwordx4 v[16:19], v[6:7]
	s_waitcnt vmcnt(0) lgkmcnt(0)
	ds_write2_b64 v15, v[16:17], v[18:19] offset1:1
.LBB56_113:
	s_or_b64 exec, exec, s[14:15]
	v_add_u32_e32 v11, 8, v10
	v_cmp_le_i32_e32 vcc, s28, v11
	s_and_saveexec_b64 s[14:15], vcc
	s_xor_b64 s[14:15], exec, s[14:15]
	s_cbranch_execz .LBB56_115
; %bb.114:
	v_mul_u32_u24_e32 v12, 33, v11
	v_mov_b32_e32 v16, 0
	v_add_lshl_u32 v12, v12, v4, 4
	v_mov_b32_e32 v17, v16
	v_mov_b32_e32 v18, v16
	;; [unrolled: 1-line block ×3, first 2 shown]
	ds_write_b128 v12, v[16:19]
.LBB56_115:
	s_andn2_saveexec_b64 s[14:15], s[14:15]
	s_cbranch_execz .LBB56_117
; %bb.116:
	s_lshl_b64 s[16:17], s[22:23], 7
	v_mov_b32_e32 v13, s17
	v_add_co_u32_e32 v12, vcc, s16, v6
	v_addc_co_u32_e32 v13, vcc, v7, v13, vcc
	flat_load_dwordx4 v[16:19], v[12:13]
	v_add_u32_e32 v12, 0x1080, v15
	s_waitcnt vmcnt(0) lgkmcnt(0)
	ds_write2_b64 v12, v[16:17], v[18:19] offset1:1
.LBB56_117:
	s_or_b64 exec, exec, s[14:15]
	v_add_u32_e32 v12, 16, v10
	v_cmp_le_i32_e32 vcc, s28, v12
	s_and_saveexec_b64 s[14:15], vcc
	s_xor_b64 s[14:15], exec, s[14:15]
	s_cbranch_execz .LBB56_119
; %bb.118:
	v_mul_u32_u24_e32 v13, 33, v12
	v_mov_b32_e32 v16, 0
	v_add_lshl_u32 v13, v13, v4, 4
	v_mov_b32_e32 v17, v16
	v_mov_b32_e32 v18, v16
	;; [unrolled: 1-line block ×3, first 2 shown]
	ds_write_b128 v13, v[16:19]
.LBB56_119:
	s_andn2_saveexec_b64 s[14:15], s[14:15]
	s_cbranch_execz .LBB56_121
; %bb.120:
	s_lshl_b64 s[16:17], s[22:23], 8
	v_mov_b32_e32 v13, s17
	v_add_co_u32_e32 v16, vcc, s16, v6
	v_addc_co_u32_e32 v17, vcc, v7, v13, vcc
	flat_load_dwordx4 v[16:19], v[16:17]
	v_add_u32_e32 v13, 0x2100, v15
	s_waitcnt vmcnt(0) lgkmcnt(0)
	ds_write2_b64 v13, v[16:17], v[18:19] offset1:1
.LBB56_121:
	s_or_b64 exec, exec, s[14:15]
	v_add_u32_e32 v13, 24, v10
	v_cmp_le_i32_e32 vcc, s28, v13
                                        ; implicit-def: $vgpr14
	s_and_saveexec_b64 s[14:15], vcc
	s_xor_b64 s[14:15], exec, s[14:15]
	s_cbranch_execz .LBB56_123
; %bb.122:
	v_mov_b32_e32 v16, 0
	v_add_u32_e32 v14, 0x318, v9
	v_mov_b32_e32 v17, v16
	v_mov_b32_e32 v18, v16
	;; [unrolled: 1-line block ×3, first 2 shown]
	ds_write_b128 v15, v[16:19] offset:12672
                                        ; implicit-def: $vgpr15
.LBB56_123:
	s_andn2_saveexec_b64 s[14:15], s[14:15]
	s_cbranch_execz .LBB56_125
; %bb.124:
	v_mov_b32_e32 v14, 0x180
	v_mad_u64_u32 v[16:17], s[16:17], s22, v14, v[6:7]
	s_mul_i32 s16, s23, 0x180
	v_add_u32_e32 v17, s16, v17
	flat_load_dwordx4 v[16:19], v[16:17]
	v_add_u32_e32 v14, 0x318, v9
	v_add_u32_e32 v15, 0x3180, v15
	s_waitcnt vmcnt(0) lgkmcnt(0)
	ds_write2_b64 v15, v[16:17], v[18:19] offset1:1
.LBB56_125:
	s_or_b64 exec, exec, s[14:15]
	v_lshlrev_b32_e32 v4, 4, v4
	v_add_co_u32_e32 v4, vcc, v6, v4
	v_addc_co_u32_e32 v6, vcc, 0, v7, vcc
	v_mov_b32_e32 v7, s13
	v_subrev_co_u32_e32 v4, vcc, s12, v4
	v_subb_co_u32_e32 v6, vcc, v6, v7, vcc
	v_add_co_u32_e32 v4, vcc, 0x210, v4
	v_addc_co_u32_e32 v6, vcc, 0, v6, vcc
	v_cndmask_b32_e64 v41, v6, v41, s[8:9]
	v_cndmask_b32_e64 v40, v4, v40, s[8:9]
	v_add_u32_e32 v7, 0x108, v9
	v_add_u32_e32 v6, 0x210, v9
.LBB56_126:
	v_lshlrev_b32_e32 v4, 4, v9
	v_lshlrev_b32_e32 v9, 4, v10
	s_waitcnt lgkmcnt(0)
	s_barrier
	ds_read_b128 v[46:49], v9 offset:18176
	ds_read_b128 v[50:53], v4
	v_lshlrev_b32_e32 v4, 4, v7
	v_lshlrev_b32_e32 v7, 4, v11
	ds_read_b128 v[54:57], v7 offset:18176
	ds_read_b128 v[58:61], v4
	v_lshlrev_b32_e32 v4, 4, v6
	v_lshlrev_b32_e32 v6, 4, v12
	ds_read_b128 v[62:65], v6 offset:18176
	ds_read_b128 v[66:69], v4
	v_lshlrev_b32_e32 v6, 4, v13
	s_waitcnt lgkmcnt(4)
	v_mul_f64 v[10:11], v[48:49], v[52:53]
	v_lshlrev_b32_e32 v4, 4, v14
	ds_read_b128 v[70:73], v6 offset:18176
	ds_read_b128 v[74:77], v4
	v_fma_f64 v[10:11], v[46:47], v[50:51], -v[10:11]
	s_waitcnt lgkmcnt(4)
	v_mul_f64 v[16:17], v[56:57], v[60:61]
	v_add_f64 v[10:11], v[10:11], 0
	v_fma_f64 v[16:17], v[54:55], v[58:59], -v[16:17]
	v_add_f64 v[6:7], v[10:11], v[16:17]
	s_waitcnt lgkmcnt(2)
	v_mul_f64 v[10:11], v[64:65], v[68:69]
	v_fma_f64 v[10:11], v[62:63], v[66:67], -v[10:11]
	v_add_f64 v[6:7], v[6:7], v[10:11]
	s_waitcnt lgkmcnt(0)
	v_mul_f64 v[10:11], v[72:73], v[76:77]
	v_fma_f64 v[10:11], v[70:71], v[74:75], -v[10:11]
	v_add_f64 v[78:79], v[6:7], v[10:11]
	ds_read_b128 v[28:31], v5
	ds_read_b128 v[20:23], v5 offset:16
	ds_read_b128 v[12:15], v5 offset:32
	;; [unrolled: 1-line block ×7, first 2 shown]
	v_mul_f64 v[46:47], v[46:47], v[52:53]
	v_fmac_f64_e32 v[46:47], v[48:49], v[50:51]
	v_mul_f64 v[48:49], v[54:55], v[60:61]
	v_add_f64 v[46:47], v[46:47], 0
	v_fmac_f64_e32 v[48:49], v[56:57], v[58:59]
	v_add_f64 v[46:47], v[46:47], v[48:49]
	v_mul_f64 v[48:49], v[62:63], v[68:69]
	v_fmac_f64_e32 v[48:49], v[64:65], v[66:67]
	v_add_f64 v[46:47], v[46:47], v[48:49]
	v_mul_f64 v[48:49], v[70:71], v[76:77]
	v_fmac_f64_e32 v[48:49], v[72:73], v[74:75]
	v_add_f64 v[80:81], v[46:47], v[48:49]
	s_waitcnt lgkmcnt(0)
	s_barrier
	ds_write_b128 v45, v[78:81]
	s_waitcnt lgkmcnt(0)
	s_barrier
	s_and_saveexec_b64 s[8:9], s[10:11]
	s_cbranch_execz .LBB56_128
; %bb.127:
	v_lshlrev_b32_e32 v62, 4, v44
	ds_read_b128 v[46:49], v62
	ds_read_b128 v[50:53], v62 offset:16
	ds_read_b128 v[54:57], v62 offset:32
	;; [unrolled: 1-line block ×3, first 2 shown]
	s_waitcnt lgkmcnt(3)
	v_add_f64 v[0:1], v[0:1], v[46:47]
	v_add_f64 v[2:3], v[2:3], v[48:49]
	s_waitcnt lgkmcnt(2)
	v_add_f64 v[0:1], v[0:1], v[50:51]
	v_add_f64 v[46:47], v[2:3], v[52:53]
	s_waitcnt lgkmcnt(1)
	v_add_f64 v[48:49], v[0:1], v[54:55]
	ds_read_b128 v[0:3], v62 offset:64
	v_add_f64 v[46:47], v[46:47], v[56:57]
	s_waitcnt lgkmcnt(1)
	v_add_f64 v[50:51], v[48:49], v[58:59]
	v_add_f64 v[54:55], v[46:47], v[60:61]
	ds_read_b128 v[46:49], v62 offset:80
	s_waitcnt lgkmcnt(1)
	v_add_f64 v[56:57], v[50:51], v[0:1]
	ds_read_b128 v[50:53], v62 offset:96
	v_add_f64 v[54:55], v[54:55], v[2:3]
	ds_read_b128 v[0:3], v62 offset:112
	s_waitcnt lgkmcnt(2)
	v_add_f64 v[46:47], v[56:57], v[46:47]
	v_add_f64 v[48:49], v[54:55], v[48:49]
	s_waitcnt lgkmcnt(1)
	v_add_f64 v[46:47], v[46:47], v[50:51]
	v_add_f64 v[48:49], v[48:49], v[52:53]
	;; [unrolled: 3-line block ×3, first 2 shown]
.LBB56_128:
	s_or_b64 exec, exec, s[8:9]
	v_mul_f64 v[46:47], v[30:31], v[34:35]
	v_mul_f64 v[30:31], v[30:31], v[32:33]
	v_fmac_f64_e32 v[46:47], v[28:29], v[32:33]
	v_fma_f64 v[28:29], v[28:29], v[34:35], -v[30:31]
	v_mul_f64 v[32:33], v[22:23], v[26:27]
	v_mul_f64 v[22:23], v[22:23], v[24:25]
	v_add_f64 v[30:31], v[46:47], 0
	v_add_f64 v[28:29], v[28:29], 0
	v_fmac_f64_e32 v[32:33], v[20:21], v[24:25]
	v_fma_f64 v[20:21], v[20:21], v[26:27], -v[22:23]
	v_mul_f64 v[24:25], v[14:15], v[18:19]
	v_mul_f64 v[14:15], v[14:15], v[16:17]
	v_add_f64 v[22:23], v[30:31], v[32:33]
	v_add_f64 v[20:21], v[28:29], v[20:21]
	;; [unrolled: 6-line block ×3, first 2 shown]
	v_fmac_f64_e32 v[16:17], v[4:5], v[8:9]
	v_fma_f64 v[6:7], v[4:5], v[10:11], -v[6:7]
	v_add_f64 v[4:5], v[14:15], v[16:17]
	v_add_f64 v[6:7], v[12:13], v[6:7]
	s_barrier
	ds_write_b128 v45, v[4:7]
	s_waitcnt lgkmcnt(0)
	s_barrier
	s_and_saveexec_b64 s[8:9], s[4:5]
	s_cbranch_execz .LBB56_130
; %bb.129:
	v_lshlrev_b32_e32 v20, 4, v44
	ds_read_b128 v[4:7], v20
	ds_read_b128 v[8:11], v20 offset:16
	ds_read_b128 v[12:15], v20 offset:32
	;; [unrolled: 1-line block ×3, first 2 shown]
	s_waitcnt lgkmcnt(3)
	v_add_f64 v[0:1], v[0:1], v[4:5]
	v_add_f64 v[2:3], v[2:3], v[6:7]
	s_waitcnt lgkmcnt(2)
	v_add_f64 v[0:1], v[0:1], v[8:9]
	v_add_f64 v[4:5], v[2:3], v[10:11]
	s_waitcnt lgkmcnt(1)
	v_add_f64 v[6:7], v[0:1], v[12:13]
	ds_read_b128 v[0:3], v20 offset:64
	v_add_f64 v[4:5], v[4:5], v[14:15]
	s_waitcnt lgkmcnt(1)
	v_add_f64 v[8:9], v[6:7], v[16:17]
	v_add_f64 v[12:13], v[4:5], v[18:19]
	ds_read_b128 v[4:7], v20 offset:80
	s_waitcnt lgkmcnt(1)
	v_add_f64 v[14:15], v[8:9], v[0:1]
	ds_read_b128 v[8:11], v20 offset:96
	v_add_f64 v[12:13], v[12:13], v[2:3]
	ds_read_b128 v[0:3], v20 offset:112
	s_waitcnt lgkmcnt(2)
	v_add_f64 v[4:5], v[14:15], v[4:5]
	v_add_f64 v[6:7], v[12:13], v[6:7]
	s_waitcnt lgkmcnt(1)
	v_add_f64 v[4:5], v[4:5], v[8:9]
	v_add_f64 v[6:7], v[6:7], v[10:11]
	;; [unrolled: 3-line block ×3, first 2 shown]
.LBB56_130:
	s_or_b64 exec, exec, s[8:9]
	s_mul_hi_u32 s4, s7, s24
	s_mul_i32 s33, s33, s24
	s_add_i32 s4, s4, s33
	s_mul_i32 s8, s7, s24
	s_mul_i32 s4, s4, s25
	s_mul_hi_u32 s5, s8, s25
	s_add_i32 s5, s5, s4
	s_mul_i32 s4, s8, s25
	s_lshl_b64 s[4:5], s[4:5], 4
	s_add_u32 s8, s26, s4
	s_mul_i32 s4, s6, s7
	s_addc_u32 s9, s27, s5
	s_ashr_i32 s5, s4, 31
	s_lshl_b64 s[4:5], s[4:5], 4
	s_add_u32 s7, s8, s4
	v_cmp_le_i32_e32 vcc, s28, v42
	s_addc_u32 s14, s9, s5
	s_and_b64 vcc, s[36:37], vcc
	s_cmp_lt_i32 s6, 1
	v_lshlrev_b32_e32 v155, 4, v42
	s_barrier
	s_cbranch_scc1 .LBB56_137
; %bb.131:
	s_mul_i32 s4, s30, s21
	s_mul_hi_u32 s5, s30, s20
	s_add_i32 s4, s5, s4
	s_mul_i32 s5, s31, s20
	s_add_i32 s5, s4, s5
	s_mul_i32 s4, s30, s20
	s_lshl_b64 s[4:5], s[4:5], 4
	v_mov_b32_e32 v4, s5
	v_subrev_co_u32_e64 v156, s[4:5], s4, v36
	v_subb_co_u32_e64 v157, s[4:5], v37, v4, s[4:5]
	v_mov_b32_e32 v4, s35
	v_subrev_co_u32_e64 v5, s[4:5], s34, v40
	v_subb_co_u32_e64 v4, s[4:5], v41, v4, s[4:5]
	v_lshlrev_b32_e32 v7, 2, v154
	v_sub_co_u32_e64 v8, s[4:5], v5, v38
	v_subb_co_u32_e64 v9, s[4:5], v4, v39, s[4:5]
	v_mad_u64_u32 v[4:5], s[4:5], v7, s22, 0
	v_mov_b32_e32 v6, v5
	v_mad_u64_u32 v[6:7], s[4:5], v7, s23, v[6:7]
	v_mov_b32_e32 v5, v6
	v_lshlrev_b64 v[4:5], 4, v[4:5]
	v_add_co_u32_e64 v4, s[4:5], v8, v4
	v_addc_co_u32_e64 v5, s[4:5], v9, v5, s[4:5]
	s_movk_i32 s4, 0xfe00
	v_add_co_u32_e64 v4, s[4:5], s4, v4
	v_addc_co_u32_e64 v5, s[4:5], -1, v5, s[4:5]
	s_ashr_i32 s29, s28, 31
	s_lshl_b64 s[4:5], s[28:29], 4
	v_mov_b32_e32 v6, s5
	v_add_co_u32_e64 v7, s[4:5], s4, v4
	v_addc_co_u32_e64 v6, s[4:5], v5, v6, s[4:5]
	v_add_co_u32_e64 v7, s[4:5], -16, v7
	v_addc_co_u32_e64 v6, s[4:5], -1, v6, s[4:5]
	v_add_co_u32_e64 v4, s[4:5], v4, v155
	v_addc_co_u32_e64 v5, s[4:5], 0, v5, s[4:5]
	v_cndmask_b32_e32 v8, v4, v7, vcc
	v_and_b32_e32 v4, 48, v42
	v_and_b32_e32 v10, 15, v42
	v_cndmask_b32_e32 v9, v5, v6, vcc
	v_lshlrev_b32_e32 v5, 4, v4
	s_movk_i32 s8, 0x430
	v_mad_u32_u24 v160, v10, s8, v5
	v_or_b32_e32 v5, 0xf0, v155
	v_mad_u32_u24 v161, v10, s8, v5
	v_lshlrev_b32_e32 v5, 2, v43
	v_and_b32_e32 v5, 0x7ffc0, v5
	v_mad_u32_u24 v162, v10, s8, v5
	v_mov_b32_e32 v5, 0x4300
	v_lshl_add_u32 v163, v154, 6, v5
	s_movk_i32 s9, 0x10c0
	v_and_b32_e32 v5, 0x1fff0, v43
	v_mad_u32_u24 v164, v154, s9, v155
	v_mad_u32_u24 v165, v10, s8, v5
	s_mul_i32 s8, s23, 0xd0
	s_mul_hi_u32 s9, s22, 0xd0
	s_lshl_b64 s[10:11], s[22:23], 4
	s_add_i32 s15, s9, s8
	v_mov_b32_e32 v151, 0
	v_add_u32_e32 v158, 0x4300, v155
	v_add_u32_e32 v159, 0x4700, v155
	v_cmp_gt_u32_e64 s[4:5], 64, v43
	s_mul_i32 s16, s22, 0xd0
	v_or_b32_e32 v166, v4, v10
	s_mov_b32 s17, 0
	v_mov_b32_e32 v167, s11
	v_mov_b32_e32 v168, s15
	s_branch .LBB56_133
.LBB56_132:                             ;   in Loop: Header=BB56_133 Depth=1
	s_or_b64 exec, exec, s[12:13]
	v_mul_f64 v[132:133], v[6:7], v[22:23]
	v_fma_f64 v[132:133], v[4:5], v[20:21], -v[132:133]
	v_mul_f64 v[4:5], v[4:5], v[22:23]
	v_mul_f64 v[22:23], v[10:11], v[42:43]
	v_add_f64 v[0:1], v[0:1], v[132:133]
	v_fma_f64 v[22:23], v[8:9], v[40:41], -v[22:23]
	v_add_f64 v[0:1], v[0:1], v[22:23]
	v_mul_f64 v[22:23], v[14:15], v[46:47]
	v_fma_f64 v[22:23], v[12:13], v[44:45], -v[22:23]
	v_add_f64 v[0:1], v[0:1], v[22:23]
	v_mul_f64 v[22:23], v[18:19], v[50:51]
	v_fmac_f64_e32 v[4:5], v[6:7], v[20:21]
	v_fma_f64 v[22:23], v[16:17], v[48:49], -v[22:23]
	v_add_f64 v[2:3], v[2:3], v[4:5]
	v_mul_f64 v[4:5], v[26:27], v[70:71]
	v_add_f64 v[0:1], v[0:1], v[22:23]
	v_fma_f64 v[4:5], v[24:25], v[68:69], -v[4:5]
	v_add_f64 v[0:1], v[0:1], v[4:5]
	v_mul_f64 v[4:5], v[34:35], v[82:83]
	v_fma_f64 v[4:5], v[32:33], v[80:81], -v[4:5]
	v_add_f64 v[0:1], v[0:1], v[4:5]
	v_mul_f64 v[4:5], v[30:31], v[78:79]
	;; [unrolled: 3-line block ×4, first 2 shown]
	v_mul_f64 v[8:9], v[8:9], v[42:43]
	v_fma_f64 v[4:5], v[52:53], v[100:101], -v[4:5]
	v_mul_f64 v[12:13], v[12:13], v[46:47]
	v_fmac_f64_e32 v[8:9], v[10:11], v[40:41]
	v_add_f64 v[0:1], v[0:1], v[4:5]
	v_mul_f64 v[4:5], v[62:63], v[118:119]
	v_mul_f64 v[16:17], v[16:17], v[50:51]
	v_add_f64 v[2:3], v[2:3], v[8:9]
	v_fmac_f64_e32 v[12:13], v[14:15], v[44:45]
	v_fma_f64 v[4:5], v[60:61], v[116:117], -v[4:5]
	v_add_f64 v[2:3], v[2:3], v[12:13]
	v_fmac_f64_e32 v[16:17], v[18:19], v[48:49]
	v_mul_f64 v[6:7], v[24:25], v[70:71]
	v_add_f64 v[0:1], v[0:1], v[4:5]
	v_mul_f64 v[4:5], v[58:59], v[114:115]
	v_add_f64 v[2:3], v[2:3], v[16:17]
	v_mul_f64 v[8:9], v[32:33], v[82:83]
	v_fmac_f64_e32 v[6:7], v[26:27], v[68:69]
	v_fma_f64 v[4:5], v[56:57], v[112:113], -v[4:5]
	v_mul_f64 v[10:11], v[28:29], v[78:79]
	v_add_f64 v[2:3], v[2:3], v[6:7]
	v_fmac_f64_e32 v[8:9], v[34:35], v[80:81]
	v_add_f64 v[0:1], v[0:1], v[4:5]
	v_mul_f64 v[4:5], v[66:67], v[110:111]
	v_mul_f64 v[12:13], v[36:37], v[74:75]
	v_add_f64 v[2:3], v[2:3], v[8:9]
	v_fmac_f64_e32 v[10:11], v[30:31], v[76:77]
	v_fma_f64 v[4:5], v[64:65], v[108:109], -v[4:5]
	v_add_f64 v[2:3], v[2:3], v[10:11]
	v_fmac_f64_e32 v[12:13], v[38:39], v[72:73]
	v_mul_f64 v[6:7], v[52:53], v[102:103]
	v_add_f64 v[0:1], v[0:1], v[4:5]
	v_mul_f64 v[4:5], v[90:91], v[106:107]
	v_add_f64 v[2:3], v[2:3], v[12:13]
	v_mul_f64 v[8:9], v[60:61], v[118:119]
	v_fmac_f64_e32 v[6:7], v[54:55], v[100:101]
	v_fma_f64 v[4:5], v[88:89], v[104:105], -v[4:5]
	v_mul_f64 v[10:11], v[56:57], v[114:115]
	v_add_f64 v[2:3], v[2:3], v[6:7]
	v_fmac_f64_e32 v[8:9], v[62:63], v[116:117]
	v_add_f64 v[0:1], v[0:1], v[4:5]
	v_mul_f64 v[4:5], v[94:95], v[122:123]
	v_mul_f64 v[12:13], v[64:65], v[110:111]
	v_add_f64 v[2:3], v[2:3], v[8:9]
	v_fmac_f64_e32 v[10:11], v[58:59], v[112:113]
	v_fma_f64 v[4:5], v[92:93], v[120:121], -v[4:5]
	v_add_f64 v[2:3], v[2:3], v[10:11]
	v_fmac_f64_e32 v[12:13], v[66:67], v[108:109]
	v_mul_f64 v[6:7], v[88:89], v[106:107]
	v_add_f64 v[0:1], v[0:1], v[4:5]
	v_mul_f64 v[4:5], v[86:87], v[126:127]
	v_add_f64 v[2:3], v[2:3], v[12:13]
	v_mul_f64 v[8:9], v[92:93], v[122:123]
	v_fma_f64 v[4:5], v[84:85], v[124:125], -v[4:5]
	v_fmac_f64_e32 v[6:7], v[90:91], v[104:105]
	v_mul_f64 v[10:11], v[84:85], v[126:127]
	v_add_f64 v[0:1], v[0:1], v[4:5]
	v_mul_f64 v[4:5], v[98:99], v[130:131]
	v_fmac_f64_e32 v[8:9], v[94:95], v[120:121]
	v_add_f64 v[2:3], v[2:3], v[6:7]
	v_fma_f64 v[4:5], v[96:97], v[128:129], -v[4:5]
	v_mul_f64 v[12:13], v[96:97], v[130:131]
	v_fmac_f64_e32 v[10:11], v[86:87], v[124:125]
	v_add_f64 v[2:3], v[2:3], v[8:9]
	v_add_f64 v[0:1], v[0:1], v[4:5]
	v_fmac_f64_e32 v[12:13], v[98:99], v[128:129]
	v_add_f64 v[2:3], v[2:3], v[10:11]
	s_add_i32 s17, s17, 64
	s_add_i32 s6, s6, -1
	v_mov_b32_e32 v4, s15
	v_add_co_u32_e64 v8, s[8:9], s16, v152
	v_add_f64 v[2:3], v[2:3], v[12:13]
	s_cmp_eq_u32 s6, 0
	v_addc_co_u32_e64 v9, s[8:9], v153, v4, s[8:9]
	s_barrier
	s_cbranch_scc1 .LBB56_137
.LBB56_133:                             ; =>This Inner Loop Header: Depth=1
	s_and_saveexec_b64 s[12:13], s[2:3]
	s_cbranch_execz .LBB56_135
; %bb.134:                              ;   in Loop: Header=BB56_133 Depth=1
	s_mul_i32 s8, s17, s21
	s_mul_hi_u32 s9, s17, s20
	s_add_i32 s9, s9, s8
	s_mul_i32 s8, s17, s20
	s_lshl_b64 s[8:9], s[8:9], 4
	v_mov_b32_e32 v5, s9
	v_add_co_u32_e64 v4, s[8:9], s8, v156
	v_addc_co_u32_e64 v5, s[8:9], v157, v5, s[8:9]
	flat_load_dwordx4 v[4:7], v[4:5]
	s_waitcnt vmcnt(0) lgkmcnt(0)
	ds_write2_b64 v158, v[4:5], v[6:7] offset1:1
.LBB56_135:                             ;   in Loop: Header=BB56_133 Depth=1
	s_or_b64 exec, exec, s[12:13]
	v_add_co_u32_e64 v12, s[8:9], s10, v8
	v_addc_co_u32_e64 v13, s[8:9], v9, v167, s[8:9]
	v_add_co_u32_e64 v16, s[8:9], s10, v12
	s_waitcnt lgkmcnt(0)
	s_barrier
	flat_load_dwordx4 v[4:7], v[8:9]
	v_addc_co_u32_e64 v17, s[8:9], v13, v167, s[8:9]
	flat_load_dwordx4 v[8:11], v[12:13]
	v_add_co_u32_e64 v28, s[8:9], s10, v16
	flat_load_dwordx4 v[12:15], v[16:17]
	v_addc_co_u32_e64 v29, s[8:9], v17, v167, s[8:9]
	flat_load_dwordx4 v[16:19], v[28:29]
	ds_read_b128 v[24:27], v159
	ds_read_b128 v[20:23], v163
	v_add_co_u32_e64 v36, s[8:9], s16, v28
	v_addc_co_u32_e64 v37, s[8:9], v29, v168, s[8:9]
	v_add_co_u32_e64 v38, s[8:9], s10, v36
	v_addc_co_u32_e64 v39, s[8:9], v37, v167, s[8:9]
	;; [unrolled: 2-line block ×3, first 2 shown]
	s_waitcnt vmcnt(0) lgkmcnt(0)
	v_mul_f64 v[28:29], v[6:7], v[26:27]
	v_mul_f64 v[30:31], v[6:7], v[24:25]
	v_fmac_f64_e32 v[28:29], v[4:5], v[24:25]
	v_fma_f64 v[30:31], v[4:5], v[26:27], -v[30:31]
	v_mul_f64 v[32:33], v[10:11], v[26:27]
	v_mul_f64 v[34:35], v[10:11], v[24:25]
	ds_write_b128 v164, v[28:31]
	v_fmac_f64_e32 v[32:33], v[8:9], v[24:25]
	v_fma_f64 v[34:35], v[8:9], v[26:27], -v[34:35]
	v_mul_f64 v[28:29], v[14:15], v[26:27]
	v_mul_f64 v[30:31], v[14:15], v[24:25]
	ds_read_b128 v[40:43], v163 offset:16
	ds_write_b128 v164, v[32:35] offset:1072
	v_fmac_f64_e32 v[28:29], v[12:13], v[24:25]
	v_fma_f64 v[30:31], v[12:13], v[26:27], -v[30:31]
	v_mul_f64 v[32:33], v[18:19], v[26:27]
	v_mul_f64 v[34:35], v[18:19], v[24:25]
	ds_read_b128 v[44:47], v163 offset:32
	ds_write_b128 v164, v[28:31] offset:2144
	v_fmac_f64_e32 v[32:33], v[16:17], v[24:25]
	v_fma_f64 v[34:35], v[16:17], v[26:27], -v[34:35]
	ds_read_b128 v[48:51], v163 offset:48
	ds_write_b128 v164, v[32:35] offset:3216
	s_waitcnt lgkmcnt(0)
	s_barrier
	ds_read_b128 v[128:131], v162
	ds_read_b128 v[124:127], v162 offset:16
	ds_read_b128 v[120:123], v162 offset:32
	;; [unrolled: 1-line block ×3, first 2 shown]
	s_waitcnt lgkmcnt(0)
	s_barrier
	flat_load_dwordx4 v[24:27], v[36:37]
	flat_load_dwordx4 v[32:35], v[38:39]
	;; [unrolled: 1-line block ×3, first 2 shown]
	v_add_co_u32_e64 v52, s[8:9], s10, v52
	v_addc_co_u32_e64 v53, s[8:9], v53, v167, s[8:9]
	flat_load_dwordx4 v[36:39], v[52:53]
	v_add_co_u32_e64 v88, s[8:9], s16, v52
	v_addc_co_u32_e64 v89, s[8:9], v53, v168, s[8:9]
	ds_read_b128 v[52:55], v159
	ds_read_b128 v[68:71], v163 offset:256
	v_add_co_u32_e64 v90, s[8:9], s10, v88
	v_addc_co_u32_e64 v91, s[8:9], v89, v167, s[8:9]
	v_add_co_u32_e64 v92, s[8:9], s10, v90
	v_addc_co_u32_e64 v93, s[8:9], v91, v167, s[8:9]
	v_add_f64 v[128:129], v[128:129], 0
	v_add_f64 v[130:131], v[130:131], 0
	;; [unrolled: 1-line block ×6, first 2 shown]
	s_waitcnt vmcnt(0) lgkmcnt(0)
	v_mul_f64 v[56:57], v[26:27], v[54:55]
	v_mul_f64 v[58:59], v[26:27], v[52:53]
	;; [unrolled: 1-line block ×4, first 2 shown]
	v_fmac_f64_e32 v[56:57], v[24:25], v[52:53]
	v_fma_f64 v[58:59], v[24:25], v[54:55], -v[58:59]
	v_mul_f64 v[64:65], v[30:31], v[54:55]
	v_mul_f64 v[66:67], v[30:31], v[52:53]
	v_fmac_f64_e32 v[60:61], v[32:33], v[52:53]
	v_fma_f64 v[62:63], v[32:33], v[54:55], -v[62:63]
	ds_write_b128 v164, v[56:59]
	v_mul_f64 v[84:85], v[38:39], v[54:55]
	v_mul_f64 v[72:73], v[38:39], v[52:53]
	v_fmac_f64_e32 v[64:65], v[28:29], v[52:53]
	v_fma_f64 v[66:67], v[28:29], v[54:55], -v[66:67]
	ds_read_b128 v[80:83], v163 offset:272
	ds_write_b128 v164, v[60:63] offset:1072
	v_fmac_f64_e32 v[84:85], v[36:37], v[52:53]
	v_fma_f64 v[86:87], v[36:37], v[54:55], -v[72:73]
	ds_read_b128 v[76:79], v163 offset:288
	ds_write_b128 v164, v[64:67] offset:2144
	ds_read_b128 v[72:75], v163 offset:304
	ds_write_b128 v164, v[84:87] offset:3216
	v_add_co_u32_e64 v84, s[8:9], s10, v92
	s_waitcnt lgkmcnt(0)
	s_barrier
	ds_read_b128 v[144:147], v162
	ds_read_b128 v[140:143], v162 offset:16
	ds_read_b128 v[136:139], v162 offset:32
	;; [unrolled: 1-line block ×3, first 2 shown]
	s_waitcnt lgkmcnt(0)
	s_barrier
	flat_load_dwordx4 v[52:55], v[88:89]
	flat_load_dwordx4 v[60:63], v[90:91]
	;; [unrolled: 1-line block ×3, first 2 shown]
	v_addc_co_u32_e64 v85, s[8:9], v93, v167, s[8:9]
	flat_load_dwordx4 v[64:67], v[84:85]
	v_add_co_u32_e64 v152, s[8:9], s16, v84
	v_addc_co_u32_e64 v153, s[8:9], v85, v168, s[8:9]
	ds_read_b128 v[84:87], v159
	ds_read_b128 v[100:103], v163 offset:512
	v_add_co_u32_e64 v186, s[8:9], s10, v152
	v_addc_co_u32_e64 v187, s[8:9], v153, v167, s[8:9]
	v_add_co_u32_e64 v188, s[8:9], s10, v186
	v_addc_co_u32_e64 v189, s[8:9], v187, v167, s[8:9]
	s_waitcnt vmcnt(0) lgkmcnt(0)
	v_mul_f64 v[88:89], v[54:55], v[86:87]
	v_mul_f64 v[90:91], v[54:55], v[84:85]
	;; [unrolled: 1-line block ×4, first 2 shown]
	v_fmac_f64_e32 v[88:89], v[52:53], v[84:85]
	v_fma_f64 v[90:91], v[52:53], v[86:87], -v[90:91]
	v_mul_f64 v[96:97], v[58:59], v[86:87]
	v_mul_f64 v[98:99], v[58:59], v[84:85]
	v_fmac_f64_e32 v[92:93], v[60:61], v[84:85]
	v_fma_f64 v[94:95], v[60:61], v[86:87], -v[94:95]
	ds_write_b128 v164, v[88:91]
	v_mul_f64 v[170:171], v[66:67], v[86:87]
	v_mul_f64 v[108:109], v[66:67], v[84:85]
	v_fmac_f64_e32 v[96:97], v[56:57], v[84:85]
	v_fma_f64 v[98:99], v[56:57], v[86:87], -v[98:99]
	ds_read_b128 v[116:119], v163 offset:528
	ds_write_b128 v164, v[92:95] offset:1072
	v_fmac_f64_e32 v[170:171], v[64:65], v[84:85]
	v_fma_f64 v[172:173], v[64:65], v[86:87], -v[108:109]
	ds_read_b128 v[112:115], v163 offset:544
	ds_write_b128 v164, v[96:99] offset:2144
	ds_read_b128 v[108:111], v163 offset:560
	ds_write_b128 v164, v[170:173] offset:3216
	s_waitcnt lgkmcnt(0)
	s_barrier
	ds_read_b128 v[170:173], v162
	ds_read_b128 v[174:177], v162 offset:16
	ds_read_b128 v[178:181], v162 offset:32
	;; [unrolled: 1-line block ×3, first 2 shown]
	s_waitcnt lgkmcnt(0)
	s_barrier
	flat_load_dwordx4 v[88:91], v[152:153]
	flat_load_dwordx4 v[92:95], v[186:187]
	flat_load_dwordx4 v[84:87], v[188:189]
	v_add_co_u32_e64 v152, s[8:9], s10, v188
	v_addc_co_u32_e64 v153, s[8:9], v189, v167, s[8:9]
	flat_load_dwordx4 v[96:99], v[152:153]
	v_add_f64 v[186:187], v[120:121], v[104:105]
	v_add_f64 v[188:189], v[122:123], v[106:107]
	v_add_f64 v[104:105], v[144:145], 0
	v_add_f64 v[106:107], v[146:147], 0
	v_add_f64 v[104:105], v[104:105], v[140:141]
	v_add_f64 v[106:107], v[106:107], v[142:143]
	v_add_f64 v[104:105], v[104:105], v[136:137]
	v_add_f64 v[106:107], v[106:107], v[138:139]
	v_add_f64 v[132:133], v[104:105], v[132:133]
	v_add_f64 v[134:135], v[106:107], v[134:135]
	ds_read_b128 v[120:123], v159
	ds_read_b128 v[104:107], v163 offset:768
	v_add_f64 v[124:125], v[170:171], 0
	v_add_f64 v[126:127], v[172:173], 0
	;; [unrolled: 1-line block ×8, first 2 shown]
	s_waitcnt vmcnt(0) lgkmcnt(0)
	v_mul_f64 v[124:125], v[90:91], v[122:123]
	v_mul_f64 v[126:127], v[90:91], v[120:121]
	;; [unrolled: 1-line block ×4, first 2 shown]
	v_fma_f64 v[126:127], v[88:89], v[122:123], -v[126:127]
	v_fmac_f64_e32 v[124:125], v[88:89], v[120:121]
	v_mul_f64 v[140:141], v[86:87], v[122:123]
	v_mul_f64 v[142:143], v[86:87], v[120:121]
	;; [unrolled: 1-line block ×4, first 2 shown]
	v_fma_f64 v[130:131], v[92:93], v[122:123], -v[130:131]
	v_fmac_f64_e32 v[128:129], v[92:93], v[120:121]
	ds_write_b128 v164, v[124:127]
	v_fma_f64 v[142:143], v[84:85], v[122:123], -v[142:143]
	v_fma_f64 v[146:147], v[96:97], v[122:123], -v[146:147]
	v_fmac_f64_e32 v[140:141], v[84:85], v[120:121]
	v_fmac_f64_e32 v[144:145], v[96:97], v[120:121]
	ds_read_b128 v[120:123], v163 offset:784
	ds_write_b128 v164, v[128:131] offset:1072
	ds_read_b128 v[124:127], v163 offset:800
	ds_write_b128 v164, v[140:143] offset:2144
	;; [unrolled: 2-line block ×3, first 2 shown]
	s_waitcnt lgkmcnt(0)
	s_barrier
	ds_read_b128 v[140:143], v162
	ds_read_b128 v[144:147], v162 offset:16
	ds_read_b128 v[170:173], v162 offset:32
	;; [unrolled: 1-line block ×3, first 2 shown]
	s_waitcnt lgkmcnt(0)
	s_barrier
	ds_write_b128 v165, v[186:189]
	ds_write_b128 v165, v[132:135] offset:256
	ds_write_b128 v165, v[136:139] offset:512
	v_add_f64 v[132:133], v[140:141], 0
	v_add_f64 v[134:135], v[142:143], 0
	;; [unrolled: 1-line block ×8, first 2 shown]
	ds_write_b128 v165, v[132:135] offset:768
	s_waitcnt lgkmcnt(0)
	s_barrier
	s_and_saveexec_b64 s[12:13], s[4:5]
	s_cbranch_execz .LBB56_132
; %bb.136:                              ;   in Loop: Header=BB56_133 Depth=1
	ds_read_b128 v[132:135], v160
	ds_read_b128 v[136:139], v160 offset:16
	ds_read_b128 v[140:143], v160 offset:32
	;; [unrolled: 1-line block ×3, first 2 shown]
	v_add_u32_e32 v150, s17, v166
	s_waitcnt lgkmcnt(2)
	v_add_f64 v[132:133], v[136:137], v[132:133]
	v_add_f64 v[136:137], v[138:139], v[134:135]
	s_waitcnt lgkmcnt(1)
	v_add_f64 v[138:139], v[132:133], v[140:141]
	ds_read_b128 v[132:135], v160 offset:64
	v_add_f64 v[140:141], v[136:137], v[142:143]
	s_waitcnt lgkmcnt(1)
	v_add_f64 v[142:143], v[138:139], v[144:145]
	ds_read_b128 v[136:139], v160 offset:80
	v_add_f64 v[144:145], v[140:141], v[146:147]
	s_waitcnt lgkmcnt(1)
	v_add_f64 v[132:133], v[142:143], v[132:133]
	ds_read_b128 v[140:143], v160 offset:96
	v_add_f64 v[144:145], v[144:145], v[134:135]
	s_waitcnt lgkmcnt(1)
	v_add_f64 v[136:137], v[132:133], v[136:137]
	ds_read_b128 v[132:135], v160 offset:112
	v_add_f64 v[144:145], v[144:145], v[138:139]
	s_waitcnt lgkmcnt(1)
	v_add_f64 v[140:141], v[136:137], v[140:141]
	ds_read_b128 v[136:139], v160 offset:128
	v_add_f64 v[144:145], v[144:145], v[142:143]
	s_waitcnt lgkmcnt(1)
	v_add_f64 v[132:133], v[140:141], v[132:133]
	ds_read_b128 v[140:143], v160 offset:144
	v_add_f64 v[144:145], v[144:145], v[134:135]
	s_waitcnt lgkmcnt(1)
	v_add_f64 v[136:137], v[132:133], v[136:137]
	ds_read_b128 v[132:135], v160 offset:160
	v_add_f64 v[144:145], v[144:145], v[138:139]
	s_waitcnt lgkmcnt(1)
	v_add_f64 v[140:141], v[136:137], v[140:141]
	ds_read_b128 v[136:139], v160 offset:176
	v_add_f64 v[144:145], v[144:145], v[142:143]
	s_waitcnt lgkmcnt(1)
	v_add_f64 v[132:133], v[140:141], v[132:133]
	ds_read_b128 v[140:143], v160 offset:192
	v_add_f64 v[134:135], v[144:145], v[134:135]
	s_waitcnt lgkmcnt(1)
	v_add_f64 v[136:137], v[132:133], v[136:137]
	v_add_f64 v[144:145], v[134:135], v[138:139]
	ds_read_b128 v[132:135], v160 offset:208
	s_waitcnt lgkmcnt(1)
	v_add_f64 v[146:147], v[136:137], v[140:141]
	ds_read_b128 v[136:139], v160 offset:224
	v_add_f64 v[144:145], v[144:145], v[142:143]
	ds_read_b128 v[140:143], v161
	s_waitcnt lgkmcnt(2)
	v_add_f64 v[132:133], v[146:147], v[132:133]
	v_add_f64 v[134:135], v[144:145], v[134:135]
	s_waitcnt lgkmcnt(1)
	v_add_f64 v[132:133], v[132:133], v[136:137]
	v_lshlrev_b64 v[136:137], 4, v[150:151]
	v_add_f64 v[134:135], v[134:135], v[138:139]
	v_mov_b32_e32 v138, s14
	v_add_co_u32_e64 v136, s[8:9], s7, v136
	s_waitcnt lgkmcnt(0)
	v_add_f64 v[132:133], v[132:133], v[140:141]
	v_add_f64 v[134:135], v[134:135], v[142:143]
	v_addc_co_u32_e64 v137, s[8:9], v138, v137, s[8:9]
	global_store_dwordx4 v[136:137], v[132:135], off
	s_branch .LBB56_132
.LBB56_137:
	s_movk_i32 s2, 0x430
	s_or_b64 s[0:1], s[0:1], vcc
	v_mad_u32_u24 v4, v154, s2, v155
	s_xor_b64 s[0:1], s[0:1], -1
	ds_write_b128 v4, v[0:3]
	s_waitcnt lgkmcnt(0)
	s_barrier
	s_and_saveexec_b64 s[2:3], s[0:1]
	s_cbranch_execz .LBB56_139
; %bb.138:
	ds_read_b128 v[0:3], v155 offset:1072
	ds_read_b128 v[4:7], v155
	ds_read_b128 v[8:11], v155 offset:2144
	ds_read_b128 v[12:15], v155 offset:3216
	s_waitcnt lgkmcnt(2)
	v_add_f64 v[0:1], v[0:1], v[4:5]
	v_add_f64 v[2:3], v[2:3], v[6:7]
	v_lshlrev_b64 v[4:5], 4, v[148:149]
	s_waitcnt lgkmcnt(1)
	v_add_f64 v[0:1], v[0:1], v[8:9]
	v_add_f64 v[2:3], v[2:3], v[10:11]
	v_mov_b32_e32 v6, s14
	v_add_co_u32_e32 v4, vcc, s7, v4
	s_waitcnt lgkmcnt(0)
	v_add_f64 v[0:1], v[0:1], v[12:13]
	v_add_f64 v[2:3], v[2:3], v[14:15]
	v_addc_co_u32_e32 v5, vcc, v6, v5, vcc
	global_store_dwordx4 v[4:5], v[0:3], off
.LBB56_139:
	s_endpgm
	.section	.rodata,"a",@progbits
	.p2align	6, 0x0
	.amdhsa_kernel _ZL26rocblas_hemvn_kernel_lowerILb1ELi64ELi4ELi33ELi32ELi16ElPK19rocblas_complex_numIdEPKS3_PS1_EviT6_lT7_lT5_lS8_lS9_lS7_lT8_i
		.amdhsa_group_segment_fixed_size 19200
		.amdhsa_private_segment_fixed_size 0
		.amdhsa_kernarg_size 376
		.amdhsa_user_sgpr_count 6
		.amdhsa_user_sgpr_private_segment_buffer 1
		.amdhsa_user_sgpr_dispatch_ptr 0
		.amdhsa_user_sgpr_queue_ptr 0
		.amdhsa_user_sgpr_kernarg_segment_ptr 1
		.amdhsa_user_sgpr_dispatch_id 0
		.amdhsa_user_sgpr_flat_scratch_init 0
		.amdhsa_user_sgpr_kernarg_preload_length 0
		.amdhsa_user_sgpr_kernarg_preload_offset 0
		.amdhsa_user_sgpr_private_segment_size 0
		.amdhsa_uses_dynamic_stack 0
		.amdhsa_system_sgpr_private_segment_wavefront_offset 0
		.amdhsa_system_sgpr_workgroup_id_x 1
		.amdhsa_system_sgpr_workgroup_id_y 0
		.amdhsa_system_sgpr_workgroup_id_z 1
		.amdhsa_system_sgpr_workgroup_info 0
		.amdhsa_system_vgpr_workitem_id 1
		.amdhsa_next_free_vgpr 190
		.amdhsa_next_free_sgpr 44
		.amdhsa_accum_offset 192
		.amdhsa_reserve_vcc 1
		.amdhsa_reserve_flat_scratch 0
		.amdhsa_float_round_mode_32 0
		.amdhsa_float_round_mode_16_64 0
		.amdhsa_float_denorm_mode_32 3
		.amdhsa_float_denorm_mode_16_64 3
		.amdhsa_dx10_clamp 1
		.amdhsa_ieee_mode 1
		.amdhsa_fp16_overflow 0
		.amdhsa_tg_split 0
		.amdhsa_exception_fp_ieee_invalid_op 0
		.amdhsa_exception_fp_denorm_src 0
		.amdhsa_exception_fp_ieee_div_zero 0
		.amdhsa_exception_fp_ieee_overflow 0
		.amdhsa_exception_fp_ieee_underflow 0
		.amdhsa_exception_fp_ieee_inexact 0
		.amdhsa_exception_int_div_zero 0
	.end_amdhsa_kernel
	.section	.text._ZL26rocblas_hemvn_kernel_lowerILb1ELi64ELi4ELi33ELi32ELi16ElPK19rocblas_complex_numIdEPKS3_PS1_EviT6_lT7_lT5_lS8_lS9_lS7_lT8_i,"axG",@progbits,_ZL26rocblas_hemvn_kernel_lowerILb1ELi64ELi4ELi33ELi32ELi16ElPK19rocblas_complex_numIdEPKS3_PS1_EviT6_lT7_lT5_lS8_lS9_lS7_lT8_i,comdat
.Lfunc_end56:
	.size	_ZL26rocblas_hemvn_kernel_lowerILb1ELi64ELi4ELi33ELi32ELi16ElPK19rocblas_complex_numIdEPKS3_PS1_EviT6_lT7_lT5_lS8_lS9_lS7_lT8_i, .Lfunc_end56-_ZL26rocblas_hemvn_kernel_lowerILb1ELi64ELi4ELi33ELi32ELi16ElPK19rocblas_complex_numIdEPKS3_PS1_EviT6_lT7_lT5_lS8_lS9_lS7_lT8_i
                                        ; -- End function
	.section	.AMDGPU.csdata,"",@progbits
; Kernel info:
; codeLenInByte = 9792
; NumSgprs: 48
; NumVgprs: 190
; NumAgprs: 0
; TotalNumVgprs: 190
; ScratchSize: 0
; MemoryBound: 0
; FloatMode: 240
; IeeeMode: 1
; LDSByteSize: 19200 bytes/workgroup (compile time only)
; SGPRBlocks: 5
; VGPRBlocks: 23
; NumSGPRsForWavesPerEU: 48
; NumVGPRsForWavesPerEU: 190
; AccumOffset: 192
; Occupancy: 2
; WaveLimiterHint : 1
; COMPUTE_PGM_RSRC2:SCRATCH_EN: 0
; COMPUTE_PGM_RSRC2:USER_SGPR: 6
; COMPUTE_PGM_RSRC2:TRAP_HANDLER: 0
; COMPUTE_PGM_RSRC2:TGID_X_EN: 1
; COMPUTE_PGM_RSRC2:TGID_Y_EN: 0
; COMPUTE_PGM_RSRC2:TGID_Z_EN: 1
; COMPUTE_PGM_RSRC2:TIDIG_COMP_CNT: 1
; COMPUTE_PGM_RSRC3_GFX90A:ACCUM_OFFSET: 47
; COMPUTE_PGM_RSRC3_GFX90A:TG_SPLIT: 0
	.section	.text._ZL36rocblas_hemvn_kernel_lower_block_sumILi64ElPK19rocblas_complex_numIdEPKPS1_S1_EviT1_lS7_lT2_lT0_lPT3_i,"axG",@progbits,_ZL36rocblas_hemvn_kernel_lower_block_sumILi64ElPK19rocblas_complex_numIdEPKPS1_S1_EviT1_lS7_lT2_lT0_lPT3_i,comdat
	.globl	_ZL36rocblas_hemvn_kernel_lower_block_sumILi64ElPK19rocblas_complex_numIdEPKPS1_S1_EviT1_lS7_lT2_lT0_lPT3_i ; -- Begin function _ZL36rocblas_hemvn_kernel_lower_block_sumILi64ElPK19rocblas_complex_numIdEPKPS1_S1_EviT1_lS7_lT2_lT0_lPT3_i
	.p2align	8
	.type	_ZL36rocblas_hemvn_kernel_lower_block_sumILi64ElPK19rocblas_complex_numIdEPKPS1_S1_EviT1_lS7_lT2_lT0_lPT3_i,@function
_ZL36rocblas_hemvn_kernel_lower_block_sumILi64ElPK19rocblas_complex_numIdEPKPS1_S1_EviT1_lS7_lT2_lT0_lPT3_i: ; @_ZL36rocblas_hemvn_kernel_lower_block_sumILi64ElPK19rocblas_complex_numIdEPKPS1_S1_EviT1_lS7_lT2_lT0_lPT3_i
; %bb.0:
	s_load_dwordx8 s[20:27], s[4:5], 0x8
	s_mov_b32 s18, s7
	s_waitcnt lgkmcnt(0)
	s_mul_i32 s0, s7, s23
	s_mul_hi_u32 s1, s7, s22
	s_add_i32 s1, s1, s0
	s_mul_i32 s0, s7, s22
	s_lshl_b64 s[0:1], s[0:1], 4
	s_add_u32 s0, s20, s0
	s_addc_u32 s1, s21, s1
	s_load_dwordx4 s[12:15], s[0:1], 0x0
	s_mul_i32 s0, s7, s27
	s_mul_hi_u32 s1, s7, s26
	s_add_i32 s1, s1, s0
	s_mul_i32 s0, s7, s26
	s_lshl_b64 s[0:1], s[0:1], 4
	s_add_u32 s0, s24, s0
	s_addc_u32 s1, s25, s1
	s_load_dwordx4 s[8:11], s[0:1], 0x0
	s_waitcnt lgkmcnt(0)
	v_cmp_neq_f64_e64 s[0:1], s[12:13], 0
	v_cmp_neq_f64_e64 s[2:3], s[14:15], 0
	s_or_b64 s[16:17], s[0:1], s[2:3]
	s_mov_b64 s[0:1], -1
	s_and_b64 vcc, exec, s[16:17]
	s_cbranch_vccnz .LBB57_2
; %bb.1:
	v_cmp_neq_f64_e64 s[0:1], s[8:9], 1.0
	v_cmp_neq_f64_e64 s[2:3], s[10:11], 0
	s_or_b64 s[0:1], s[0:1], s[2:3]
.LBB57_2:
	s_andn2_b64 vcc, exec, s[0:1]
	s_cbranch_vccnz .LBB57_22
; %bb.3:
	s_load_dwordx2 s[22:23], s[4:5], 0x28
	s_load_dword s20, s[4:5], 0x0
	s_load_dwordx4 s[0:3], s[4:5], 0x30
	s_mov_b32 s19, 0
	s_lshl_b64 s[24:25], s[18:19], 3
	s_xor_b64 s[16:17], s[16:17], -1
	s_waitcnt lgkmcnt(0)
	s_add_u32 s22, s22, s24
	s_addc_u32 s23, s23, s25
	s_load_dwordx2 s[22:23], s[22:23], 0x0
	s_lshl_b64 s[0:1], s[0:1], 4
	v_lshl_or_b32 v6, s6, 6, v0
	s_waitcnt lgkmcnt(0)
	s_add_u32 s7, s22, s0
	s_addc_u32 s19, s23, s1
	s_andn2_b64 vcc, exec, s[16:17]
	v_cmp_gt_i32_e64 s[0:1], s20, v6
	s_cbranch_vccnz .LBB57_8
; %bb.4:
	s_mov_b64 s[22:23], 0
	s_mov_b64 s[16:17], 0
                                        ; implicit-def: $vgpr2_vgpr3
                                        ; implicit-def: $vgpr4_vgpr5
	s_and_saveexec_b64 s[24:25], s[0:1]
	s_cbranch_execz .LBB57_9
; %bb.5:
	v_cmp_neq_f64_e64 s[0:1], s[8:9], 0
	v_cmp_neq_f64_e64 s[16:17], s[10:11], 0
	v_ashrrev_i32_e32 v0, 31, v6
	v_pk_mov_b32 v[2:3], 0, 0
	v_mul_lo_u32 v1, v6, s3
	v_mul_lo_u32 v0, v0, s2
	v_mad_u64_u32 v[4:5], s[26:27], v6, s2, 0
	s_or_b64 s[0:1], s[0:1], s[16:17]
	v_add3_u32 v5, v5, v1, v0
	s_andn2_b64 vcc, exec, s[0:1]
	v_pk_mov_b32 v[0:1], v[2:3], v[2:3] op_sel:[0,1]
	s_cbranch_vccnz .LBB57_7
; %bb.6:
	v_lshlrev_b64 v[0:1], 4, v[4:5]
	v_mov_b32_e32 v2, s19
	v_add_co_u32_e32 v0, vcc, s7, v0
	v_addc_co_u32_e32 v1, vcc, v2, v1, vcc
	global_load_dwordx4 v[8:11], v[0:1], off
	s_waitcnt vmcnt(0)
	v_mul_f64 v[0:1], s[10:11], v[10:11]
	v_mul_f64 v[2:3], s[8:9], v[10:11]
	v_fma_f64 v[0:1], s[8:9], v[8:9], -v[0:1]
	v_fmac_f64_e32 v[2:3], s[10:11], v[8:9]
.LBB57_7:
	s_mov_b64 s[16:17], exec
	s_or_b64 exec, exec, s[24:25]
	s_and_b64 vcc, exec, s[22:23]
	s_cbranch_vccnz .LBB57_10
	s_branch .LBB57_20
.LBB57_8:
	s_mov_b64 s[16:17], 0
                                        ; implicit-def: $vgpr2_vgpr3
                                        ; implicit-def: $vgpr4_vgpr5
	s_cbranch_execnz .LBB57_10
	s_branch .LBB57_20
.LBB57_9:
	s_or_b64 exec, exec, s[24:25]
	s_and_b64 vcc, exec, s[22:23]
	s_cbranch_vccz .LBB57_20
.LBB57_10:
	v_cmp_gt_i32_e32 vcc, s20, v6
                                        ; implicit-def: $vgpr2_vgpr3
                                        ; implicit-def: $vgpr4_vgpr5
	s_and_saveexec_b64 s[0:1], vcc
	s_cbranch_execz .LBB57_19
; %bb.11:
	s_load_dword s22, s[4:5], 0x58
	v_pk_mov_b32 v[0:1], 0, 0
	v_pk_mov_b32 v[4:5], v[0:1], v[0:1] op_sel:[0,1]
	s_waitcnt lgkmcnt(0)
	s_cmp_ge_i32 s6, s22
	s_cbranch_scc1 .LBB57_14
; %bb.12:
	s_ashr_i32 s21, s20, 31
	s_mul_i32 s23, s6, s20
	s_load_dwordx2 s[4:5], s[4:5], 0x48
	v_add_u32_e32 v0, s23, v6
	s_mul_hi_u32 s23, s20, s18
	s_mul_i32 s24, s21, s18
	s_add_i32 s23, s23, s24
	s_mul_i32 s18, s20, s18
	s_mul_i32 s23, s23, s22
	s_mul_hi_u32 s24, s18, s22
	s_add_i32 s25, s24, s23
	s_mul_i32 s24, s18, s22
	s_lshl_b64 s[24:25], s[24:25], 4
	v_ashrrev_i32_e32 v1, 31, v0
	s_waitcnt lgkmcnt(0)
	s_add_u32 s4, s4, s24
	v_lshlrev_b64 v[0:1], 4, v[0:1]
	s_addc_u32 s5, s5, s25
	v_mov_b32_e32 v2, s5
	v_add_co_u32_e32 v0, vcc, s4, v0
	v_addc_co_u32_e32 v1, vcc, v2, v1, vcc
	v_add_co_u32_e32 v2, vcc, 8, v0
	v_addc_co_u32_e32 v3, vcc, 0, v1, vcc
	s_lshl_b64 s[4:5], s[20:21], 4
	v_pk_mov_b32 v[0:1], 0, 0
	v_mov_b32_e32 v7, s5
	v_pk_mov_b32 v[4:5], v[0:1], v[0:1] op_sel:[0,1]
.LBB57_13:                              ; =>This Inner Loop Header: Depth=1
	global_load_dwordx4 v[8:11], v[2:3], off offset:-8
	s_add_i32 s6, s6, 1
	v_add_co_u32_e32 v2, vcc, s4, v2
	v_addc_co_u32_e32 v3, vcc, v3, v7, vcc
	s_cmp_ge_i32 s6, s22
	s_waitcnt vmcnt(0)
	v_add_f64 v[4:5], v[4:5], v[8:9]
	v_add_f64 v[0:1], v[0:1], v[10:11]
	s_cbranch_scc0 .LBB57_13
.LBB57_14:
	v_cmp_neq_f64_e64 s[20:21], s[8:9], 0
	v_cmp_neq_f64_e64 s[22:23], s[10:11], 0
	s_or_b64 s[20:21], s[20:21], s[22:23]
	v_mul_f64 v[8:9], s[14:15], v[0:1]
	v_mul_f64 v[2:3], s[12:13], v[0:1]
	v_ashrrev_i32_e32 v10, 31, v6
	s_mov_b64 s[4:5], 0
	s_andn2_b64 vcc, exec, s[20:21]
	v_fma_f64 v[0:1], s[12:13], v[4:5], -v[8:9]
	v_fmac_f64_e32 v[2:3], s[14:15], v[4:5]
	v_mul_lo_u32 v7, v6, s3
	v_mul_lo_u32 v8, v10, s2
	s_cbranch_vccz .LBB57_16
; %bb.15:
	v_mad_u64_u32 v[4:5], s[12:13], v6, s2, 0
	v_add3_u32 v5, v5, v7, v8
	s_andn2_b64 vcc, exec, s[4:5]
	s_cbranch_vccz .LBB57_17
	s_branch .LBB57_18
.LBB57_16:
                                        ; implicit-def: $vgpr4_vgpr5
.LBB57_17:
	v_mad_u64_u32 v[4:5], s[2:3], v6, s2, 0
	v_add3_u32 v5, v5, v7, v8
	v_lshlrev_b64 v[6:7], 4, v[4:5]
	v_mov_b32_e32 v8, s19
	v_add_co_u32_e32 v6, vcc, s7, v6
	v_addc_co_u32_e32 v7, vcc, v8, v7, vcc
	global_load_dwordx4 v[6:9], v[6:7], off
	s_waitcnt vmcnt(0)
	v_mul_f64 v[10:11], s[10:11], v[8:9]
	v_mul_f64 v[8:9], s[8:9], v[8:9]
	v_fma_f64 v[10:11], s[8:9], v[6:7], -v[10:11]
	v_fmac_f64_e32 v[8:9], s[10:11], v[6:7]
	v_add_f64 v[0:1], v[0:1], v[10:11]
	v_add_f64 v[2:3], v[2:3], v[8:9]
.LBB57_18:
	s_or_b64 s[16:17], s[16:17], exec
.LBB57_19:
	s_or_b64 exec, exec, s[0:1]
.LBB57_20:
	s_and_saveexec_b64 s[0:1], s[16:17]
	s_cbranch_execz .LBB57_22
; %bb.21:
	v_lshlrev_b64 v[4:5], 4, v[4:5]
	v_mov_b32_e32 v6, s19
	v_add_co_u32_e32 v4, vcc, s7, v4
	v_addc_co_u32_e32 v5, vcc, v6, v5, vcc
	global_store_dwordx4 v[4:5], v[0:3], off
.LBB57_22:
	s_endpgm
	.section	.rodata,"a",@progbits
	.p2align	6, 0x0
	.amdhsa_kernel _ZL36rocblas_hemvn_kernel_lower_block_sumILi64ElPK19rocblas_complex_numIdEPKPS1_S1_EviT1_lS7_lT2_lT0_lPT3_i
		.amdhsa_group_segment_fixed_size 0
		.amdhsa_private_segment_fixed_size 0
		.amdhsa_kernarg_size 344
		.amdhsa_user_sgpr_count 6
		.amdhsa_user_sgpr_private_segment_buffer 1
		.amdhsa_user_sgpr_dispatch_ptr 0
		.amdhsa_user_sgpr_queue_ptr 0
		.amdhsa_user_sgpr_kernarg_segment_ptr 1
		.amdhsa_user_sgpr_dispatch_id 0
		.amdhsa_user_sgpr_flat_scratch_init 0
		.amdhsa_user_sgpr_kernarg_preload_length 0
		.amdhsa_user_sgpr_kernarg_preload_offset 0
		.amdhsa_user_sgpr_private_segment_size 0
		.amdhsa_uses_dynamic_stack 0
		.amdhsa_system_sgpr_private_segment_wavefront_offset 0
		.amdhsa_system_sgpr_workgroup_id_x 1
		.amdhsa_system_sgpr_workgroup_id_y 0
		.amdhsa_system_sgpr_workgroup_id_z 1
		.amdhsa_system_sgpr_workgroup_info 0
		.amdhsa_system_vgpr_workitem_id 0
		.amdhsa_next_free_vgpr 12
		.amdhsa_next_free_sgpr 28
		.amdhsa_accum_offset 12
		.amdhsa_reserve_vcc 1
		.amdhsa_reserve_flat_scratch 0
		.amdhsa_float_round_mode_32 0
		.amdhsa_float_round_mode_16_64 0
		.amdhsa_float_denorm_mode_32 3
		.amdhsa_float_denorm_mode_16_64 3
		.amdhsa_dx10_clamp 1
		.amdhsa_ieee_mode 1
		.amdhsa_fp16_overflow 0
		.amdhsa_tg_split 0
		.amdhsa_exception_fp_ieee_invalid_op 0
		.amdhsa_exception_fp_denorm_src 0
		.amdhsa_exception_fp_ieee_div_zero 0
		.amdhsa_exception_fp_ieee_overflow 0
		.amdhsa_exception_fp_ieee_underflow 0
		.amdhsa_exception_fp_ieee_inexact 0
		.amdhsa_exception_int_div_zero 0
	.end_amdhsa_kernel
	.section	.text._ZL36rocblas_hemvn_kernel_lower_block_sumILi64ElPK19rocblas_complex_numIdEPKPS1_S1_EviT1_lS7_lT2_lT0_lPT3_i,"axG",@progbits,_ZL36rocblas_hemvn_kernel_lower_block_sumILi64ElPK19rocblas_complex_numIdEPKPS1_S1_EviT1_lS7_lT2_lT0_lPT3_i,comdat
.Lfunc_end57:
	.size	_ZL36rocblas_hemvn_kernel_lower_block_sumILi64ElPK19rocblas_complex_numIdEPKPS1_S1_EviT1_lS7_lT2_lT0_lPT3_i, .Lfunc_end57-_ZL36rocblas_hemvn_kernel_lower_block_sumILi64ElPK19rocblas_complex_numIdEPKPS1_S1_EviT1_lS7_lT2_lT0_lPT3_i
                                        ; -- End function
	.section	.AMDGPU.csdata,"",@progbits
; Kernel info:
; codeLenInByte = 916
; NumSgprs: 32
; NumVgprs: 12
; NumAgprs: 0
; TotalNumVgprs: 12
; ScratchSize: 0
; MemoryBound: 0
; FloatMode: 240
; IeeeMode: 1
; LDSByteSize: 0 bytes/workgroup (compile time only)
; SGPRBlocks: 3
; VGPRBlocks: 1
; NumSGPRsForWavesPerEU: 32
; NumVGPRsForWavesPerEU: 12
; AccumOffset: 12
; Occupancy: 8
; WaveLimiterHint : 1
; COMPUTE_PGM_RSRC2:SCRATCH_EN: 0
; COMPUTE_PGM_RSRC2:USER_SGPR: 6
; COMPUTE_PGM_RSRC2:TRAP_HANDLER: 0
; COMPUTE_PGM_RSRC2:TGID_X_EN: 1
; COMPUTE_PGM_RSRC2:TGID_Y_EN: 0
; COMPUTE_PGM_RSRC2:TGID_Z_EN: 1
; COMPUTE_PGM_RSRC2:TIDIG_COMP_CNT: 0
; COMPUTE_PGM_RSRC3_GFX90A:ACCUM_OFFSET: 2
; COMPUTE_PGM_RSRC3_GFX90A:TG_SPLIT: 0
	.section	.text._ZL26rocblas_hemvn_kernel_lowerILb1ELi64ELi4ELi33ELi32ELi16EiPK19rocblas_complex_numIdEPKS3_PS1_EviT6_lT7_lT5_lS8_lS9_lS7_lT8_i,"axG",@progbits,_ZL26rocblas_hemvn_kernel_lowerILb1ELi64ELi4ELi33ELi32ELi16EiPK19rocblas_complex_numIdEPKS3_PS1_EviT6_lT7_lT5_lS8_lS9_lS7_lT8_i,comdat
	.globl	_ZL26rocblas_hemvn_kernel_lowerILb1ELi64ELi4ELi33ELi32ELi16EiPK19rocblas_complex_numIdEPKS3_PS1_EviT6_lT7_lT5_lS8_lS9_lS7_lT8_i ; -- Begin function _ZL26rocblas_hemvn_kernel_lowerILb1ELi64ELi4ELi33ELi32ELi16EiPK19rocblas_complex_numIdEPKS3_PS1_EviT6_lT7_lT5_lS8_lS9_lS7_lT8_i
	.p2align	8
	.type	_ZL26rocblas_hemvn_kernel_lowerILb1ELi64ELi4ELi33ELi32ELi16EiPK19rocblas_complex_numIdEPKS3_PS1_EviT6_lT7_lT5_lS8_lS9_lS7_lT8_i,@function
_ZL26rocblas_hemvn_kernel_lowerILb1ELi64ELi4ELi33ELi32ELi16EiPK19rocblas_complex_numIdEPKS3_PS1_EviT6_lT7_lT5_lS8_lS9_lS7_lT8_i: ; @_ZL26rocblas_hemvn_kernel_lowerILb1ELi64ELi4ELi33ELi32ELi16EiPK19rocblas_complex_numIdEPKS3_PS1_EviT6_lT7_lT5_lS8_lS9_lS7_lT8_i
; %bb.0:
	s_load_dwordx2 s[0:1], s[4:5], 0x84
	s_add_u32 s16, s4, 0x78
	s_addc_u32 s17, s5, 0
	s_waitcnt lgkmcnt(0)
	s_lshr_b32 s2, s0, 16
	s_and_b32 s0, s0, 0xffff
	s_and_b32 s1, s1, 0xffff
	s_mul_i32 s0, s2, s0
	s_mul_i32 s0, s0, s1
	s_cmpk_lg_i32 s0, 0x100
	s_cbranch_scc1 .LBB58_139
; %bb.1:
	s_load_dwordx8 s[8:15], s[4:5], 0x8
	s_mov_b32 s20, s7
	s_mov_b32 s21, 0
	s_waitcnt lgkmcnt(0)
	s_mul_i32 s1, s7, s11
	s_mul_hi_u32 s2, s7, s10
	s_mul_i32 s0, s7, s10
	s_add_i32 s1, s2, s1
	s_lshl_b64 s[0:1], s[0:1], 4
	s_add_u32 s18, s8, s0
	s_addc_u32 s19, s9, s1
	s_load_dwordx4 s[8:11], s[18:19], 0x0
	s_load_dwordx2 s[22:23], s[4:5], 0x68
	s_load_dwordx4 s[0:3], s[4:5], 0x58
	s_mov_b64 s[18:19], 0
	s_waitcnt lgkmcnt(0)
	v_cmp_neq_f64_e64 s[8:9], s[8:9], 0
	v_cmp_neq_f64_e64 s[10:11], s[10:11], 0
	s_or_b64 s[10:11], s[8:9], s[10:11]
	s_and_b64 vcc, exec, s[10:11]
	s_cbranch_vccnz .LBB58_3
; %bb.2:
	s_mul_i32 s3, s20, s3
	s_mul_hi_u32 s7, s20, s2
	s_add_i32 s3, s7, s3
	s_mul_i32 s2, s20, s2
	s_lshl_b64 s[2:3], s[2:3], 4
	s_add_u32 s0, s0, s2
	s_addc_u32 s1, s1, s3
	s_load_dwordx4 s[0:3], s[0:1], 0x0
	s_mov_b64 s[8:9], 0
	s_waitcnt lgkmcnt(0)
	v_cmp_neq_f64_e64 s[0:1], s[0:1], 1.0
	v_cmp_neq_f64_e64 s[2:3], s[2:3], 0
	s_or_b64 s[18:19], s[0:1], s[2:3]
	s_cbranch_execz .LBB58_4
	s_branch .LBB58_5
.LBB58_3:
	s_mov_b64 s[8:9], -1
.LBB58_4:
	s_lshl_b64 s[0:1], s[20:21], 3
	s_add_u32 s0, s12, s0
	s_addc_u32 s1, s13, s1
	s_load_dwordx2 s[0:1], s[0:1], 0x0
	s_lshl_b64 s[2:3], s[14:15], 4
	s_mov_b64 s[18:19], -1
	s_waitcnt lgkmcnt(0)
	s_add_u32 s8, s0, s2
	s_addc_u32 s9, s1, s3
.LBB58_5:
	s_andn2_b64 vcc, exec, s[18:19]
	s_cbranch_vccnz .LBB58_139
; %bb.6:
	v_cndmask_b32_e64 v1, 0, 1, s[10:11]
	v_cmp_ne_u32_e64 s[0:1], 1, v1
	s_andn2_b64 vcc, exec, s[10:11]
	s_mov_b64 s[2:3], 0
	s_cbranch_vccnz .LBB58_8
; %bb.7:
	s_load_dwordx4 s[12:15], s[4:5], 0x38
	s_lshl_b64 s[2:3], s[20:21], 3
	s_waitcnt lgkmcnt(0)
	s_add_u32 s2, s12, s2
	s_addc_u32 s3, s13, s3
	s_load_dwordx2 s[2:3], s[2:3], 0x0
	s_lshl_b64 s[10:11], s[14:15], 4
	s_waitcnt lgkmcnt(0)
	s_add_u32 s2, s2, s10
	s_addc_u32 s3, s3, s11
.LBB58_8:
	s_and_b64 vcc, exec, s[0:1]
	s_cbranch_vccnz .LBB58_139
; %bb.9:
	s_load_dword s33, s[16:17], 0x0
	s_load_dword s21, s[4:5], 0x0
	;; [unrolled: 1-line block ×3, first 2 shown]
	v_and_b32_e32 v42, 0x3ff, v0
	s_lshl_b32 s26, s6, 6
	v_add_u32_e32 v148, s26, v42
	s_waitcnt lgkmcnt(0)
	s_ashr_i32 s42, s21, 31
	s_lshr_b32 s1, s42, 26
	v_bfe_u32 v149, v0, 10, 10
	s_add_i32 s1, s21, s1
	v_mul_lo_u32 v0, v148, s7
	s_andn2_b32 s1, s1, 63
	v_ashrrev_i32_e32 v1, 31, v0
	s_add_i32 s0, s33, -1
	s_sub_i32 s1, s21, s1
	v_lshlrev_b64 v[0:1], 4, v[0:1]
	s_cmp_eq_u32 s6, s0
	v_mov_b32_e32 v2, s3
	v_add_co_u32_e32 v36, vcc, s2, v0
	s_cselect_b32 s24, s1, 0
	v_addc_co_u32_e32 v37, vcc, v2, v1, vcc
	v_cmp_ne_u32_e64 s[0:1], 0, v149
	v_cmp_eq_u32_e64 s[2:3], 0, v149
	s_and_saveexec_b64 s[10:11], s[2:3]
	s_cbranch_execz .LBB58_14
; %bb.10:
	s_cmp_lg_u32 s24, 0
	s_cselect_b64 s[12:13], -1, 0
	v_cmp_le_i32_e32 vcc, s24, v42
	v_mov_b32_e32 v0, 0x4700
	s_and_b64 s[12:13], s[12:13], vcc
	v_lshl_add_u32 v0, v42, 4, v0
	s_and_saveexec_b64 s[14:15], s[12:13]
	s_xor_b64 s[12:13], exec, s[14:15]
	s_cbranch_execz .LBB58_12
; %bb.11:
	v_mov_b32_e32 v2, 0
	v_mov_b32_e32 v3, v2
	;; [unrolled: 1-line block ×4, first 2 shown]
	ds_write_b128 v0, v[2:5]
                                        ; implicit-def: $vgpr0
.LBB58_12:
	s_andn2_saveexec_b64 s[12:13], s[12:13]
	s_cbranch_execz .LBB58_14
; %bb.13:
	flat_load_dwordx4 v[2:5], v[36:37]
	s_waitcnt vmcnt(0) lgkmcnt(0)
	ds_write2_b64 v0, v[2:3], v[4:5] offset1:1
.LBB58_14:
	s_or_b64 exec, exec, s[10:11]
	s_load_dword s28, s[4:5], 0x28
	s_ashr_i32 s27, s26, 31
	v_lshl_add_u32 v43, v149, 6, v42
	s_lshl_b64 s[4:5], s[26:27], 4
	v_and_b32_e32 v4, 31, v42
	v_lshrrev_b32_e32 v5, 5, v43
	s_add_u32 s8, s8, s4
	s_addc_u32 s9, s9, s5
	s_waitcnt lgkmcnt(0)
	v_mad_u64_u32 v[0:1], s[4:5], v5, s28, v[4:5]
	s_mul_i32 s4, s26, s28
	s_ashr_i32 s5, s4, 31
	s_lshl_b64 s[30:31], s[4:5], 4
	v_ashrrev_i32_e32 v1, 31, v0
	s_add_u32 s4, s30, s8
	v_lshlrev_b64 v[38:39], 4, v[0:1]
	s_addc_u32 s5, s31, s9
	v_mov_b32_e32 v0, s5
	v_add_co_u32_e32 v6, vcc, s4, v38
	s_cmp_lg_u32 s24, 0
	v_addc_co_u32_e32 v7, vcc, v0, v39, vcc
	s_cselect_b64 s[34:35], -1, 0
	s_cmp_eq_u32 s24, 0
	s_cselect_b64 s[36:37], -1, 0
	s_and_b64 vcc, exec, s[34:35]
	s_cbranch_vccnz .LBB58_16
; %bb.15:
	flat_load_dwordx4 v[0:3], v[6:7]
	s_lshl_b32 s4, s28, 3
	s_ashr_i32 s5, s4, 31
	v_mul_u32_u24_e32 v8, 33, v5
	s_lshl_b64 s[4:5], s[4:5], 4
	v_add_lshl_u32 v10, v8, v4, 4
	v_mov_b32_e32 v9, s5
	v_add_co_u32_e32 v8, vcc, s4, v6
	v_addc_co_u32_e32 v9, vcc, v7, v9, vcc
	s_ashr_i32 s29, s28, 31
	s_lshl_b64 s[4:5], s[28:29], 7
	v_add_u32_e32 v11, 0x1080, v10
	v_mov_b32_e32 v12, s5
	s_waitcnt vmcnt(0) lgkmcnt(0)
	ds_write2_b64 v10, v[0:1], v[2:3] offset1:1
	flat_load_dwordx4 v[0:3], v[8:9]
	v_add_co_u32_e32 v8, vcc, s4, v8
	v_addc_co_u32_e32 v9, vcc, v9, v12, vcc
	s_waitcnt vmcnt(0) lgkmcnt(0)
	ds_write2_b64 v11, v[0:1], v[2:3] offset1:1
	flat_load_dwordx4 v[0:3], v[8:9]
	v_add_u32_e32 v11, 0x2100, v10
	v_add_co_u32_e32 v8, vcc, s4, v8
	v_addc_co_u32_e32 v9, vcc, v9, v12, vcc
	s_waitcnt vmcnt(0) lgkmcnt(0)
	ds_write2_b64 v11, v[0:1], v[2:3] offset1:1
	flat_load_dwordx4 v[0:3], v[8:9]
	v_add_u32_e32 v8, 0x3180, v10
	s_waitcnt vmcnt(0) lgkmcnt(0)
	ds_write2_b64 v8, v[0:1], v[2:3] offset1:1
	s_cbranch_execz .LBB58_17
	s_branch .LBB58_34
.LBB58_16:
.LBB58_17:
	v_lshlrev_b32_e32 v2, 4, v4
	v_sub_co_u32_e32 v0, vcc, v6, v2
	s_ashr_i32 s25, s24, 31
	v_subbrev_co_u32_e32 v1, vcc, 0, v7, vcc
	s_lshl_b64 s[8:9], s[24:25], 4
	v_mov_b32_e32 v3, s9
	v_add_co_u32_e32 v0, vcc, s8, v0
	v_addc_co_u32_e32 v1, vcc, v1, v3, vcc
	v_add_co_u32_e32 v0, vcc, -16, v0
	v_addc_co_u32_e32 v1, vcc, -1, v1, vcc
	v_cmp_gt_i32_e32 vcc, s24, v4
	v_mul_u32_u24_e32 v3, 33, v5
	v_cndmask_b32_e32 v1, v1, v7, vcc
	v_cndmask_b32_e32 v0, v0, v6, vcc
	v_cmp_le_i32_e64 s[4:5], s24, v5
	v_add_lshl_u32 v3, v3, v4, 4
	s_and_saveexec_b64 s[10:11], s[4:5]
	s_xor_b64 s[4:5], exec, s[10:11]
	s_cbranch_execz .LBB58_19
; %bb.18:
	v_mov_b32_e32 v8, 0
	v_mov_b32_e32 v9, v8
	;; [unrolled: 1-line block ×4, first 2 shown]
	ds_write_b128 v3, v[8:11]
.LBB58_19:
	s_andn2_saveexec_b64 s[4:5], s[4:5]
	s_cbranch_execz .LBB58_21
; %bb.20:
	flat_load_dwordx4 v[8:11], v[0:1]
	s_waitcnt vmcnt(0) lgkmcnt(0)
	ds_write2_b64 v3, v[8:9], v[10:11] offset1:1
.LBB58_21:
	s_or_b64 exec, exec, s[4:5]
	v_add_u32_e32 v8, 8, v5
	v_cmp_le_i32_e64 s[4:5], s24, v8
	s_and_saveexec_b64 s[10:11], s[4:5]
	s_xor_b64 s[4:5], exec, s[10:11]
	s_cbranch_execz .LBB58_23
; %bb.22:
	v_mul_u32_u24_e32 v8, 33, v8
	v_add_lshl_u32 v12, v8, v4, 4
	v_mov_b32_e32 v8, 0
	v_mov_b32_e32 v9, v8
	v_mov_b32_e32 v10, v8
	v_mov_b32_e32 v11, v8
	ds_write_b128 v12, v[8:11]
.LBB58_23:
	s_andn2_saveexec_b64 s[10:11], s[4:5]
	s_cbranch_execz .LBB58_25
; %bb.24:
	s_lshl_b32 s4, s28, 3
	s_ashr_i32 s5, s4, 31
	s_lshl_b64 s[4:5], s[4:5], 4
	v_mov_b32_e32 v9, s5
	v_add_co_u32_e64 v8, s[4:5], s4, v0
	v_addc_co_u32_e64 v9, s[4:5], v1, v9, s[4:5]
	flat_load_dwordx4 v[8:11], v[8:9]
	v_add_u32_e32 v12, 0x1080, v3
	s_waitcnt vmcnt(0) lgkmcnt(0)
	ds_write2_b64 v12, v[8:9], v[10:11] offset1:1
.LBB58_25:
	s_or_b64 exec, exec, s[10:11]
	v_add_u32_e32 v8, 16, v5
	v_cmp_le_i32_e64 s[4:5], s24, v8
	s_and_saveexec_b64 s[10:11], s[4:5]
	s_xor_b64 s[4:5], exec, s[10:11]
	s_cbranch_execz .LBB58_27
; %bb.26:
	v_mul_u32_u24_e32 v8, 33, v8
	v_add_lshl_u32 v12, v8, v4, 4
	v_mov_b32_e32 v8, 0
	v_mov_b32_e32 v9, v8
	;; [unrolled: 1-line block ×4, first 2 shown]
	ds_write_b128 v12, v[8:11]
.LBB58_27:
	s_andn2_saveexec_b64 s[10:11], s[4:5]
	s_cbranch_execz .LBB58_29
; %bb.28:
	s_lshl_b32 s4, s28, 4
	s_ashr_i32 s5, s4, 31
	s_lshl_b64 s[4:5], s[4:5], 4
	v_mov_b32_e32 v9, s5
	v_add_co_u32_e64 v8, s[4:5], s4, v0
	v_addc_co_u32_e64 v9, s[4:5], v1, v9, s[4:5]
	flat_load_dwordx4 v[8:11], v[8:9]
	v_add_u32_e32 v12, 0x2100, v3
	s_waitcnt vmcnt(0) lgkmcnt(0)
	ds_write2_b64 v12, v[8:9], v[10:11] offset1:1
.LBB58_29:
	s_or_b64 exec, exec, s[10:11]
	v_add_u32_e32 v8, 24, v5
	v_cmp_le_i32_e64 s[4:5], s24, v8
	s_and_saveexec_b64 s[10:11], s[4:5]
	s_xor_b64 s[4:5], exec, s[10:11]
	s_cbranch_execz .LBB58_31
; %bb.30:
	v_mov_b32_e32 v8, 0
	v_mov_b32_e32 v9, v8
	;; [unrolled: 1-line block ×4, first 2 shown]
	ds_write_b128 v3, v[8:11] offset:12672
                                        ; implicit-def: $vgpr3
.LBB58_31:
	s_andn2_saveexec_b64 s[10:11], s[4:5]
	s_cbranch_execz .LBB58_33
; %bb.32:
	s_mul_i32 s4, s28, 24
	s_ashr_i32 s5, s4, 31
	s_lshl_b64 s[4:5], s[4:5], 4
	v_mov_b32_e32 v9, s5
	v_add_co_u32_e64 v8, s[4:5], s4, v0
	v_addc_co_u32_e64 v9, s[4:5], v1, v9, s[4:5]
	flat_load_dwordx4 v[8:11], v[8:9]
	v_add_u32_e32 v3, 0x3180, v3
	s_waitcnt vmcnt(0) lgkmcnt(0)
	ds_write2_b64 v3, v[8:9], v[10:11] offset1:1
.LBB58_33:
	s_or_b64 exec, exec, s[10:11]
	v_add_co_u32_e64 v0, s[4:5], v0, v2
	v_addc_co_u32_e64 v1, s[4:5], 0, v1, s[4:5]
	v_mov_b32_e32 v2, s9
	v_subrev_co_u32_e64 v0, s[4:5], s8, v0
	v_subb_co_u32_e64 v1, s[4:5], v1, v2, s[4:5]
	v_add_co_u32_e64 v0, s[4:5], 16, v0
	v_addc_co_u32_e64 v1, s[4:5], 0, v1, s[4:5]
	v_cndmask_b32_e32 v7, v1, v7, vcc
	v_cndmask_b32_e32 v6, v0, v6, vcc
.LBB58_34:
	v_lshlrev_b32_e32 v12, 2, v5
	v_cmp_ge_u32_e64 s[18:19], v12, v4
	s_waitcnt lgkmcnt(0)
	s_barrier
	s_and_saveexec_b64 s[4:5], s[18:19]
	s_xor_b64 s[4:5], exec, s[4:5]
	s_cbranch_execz .LBB58_38
; %bb.35:
	v_cmp_eq_u32_e32 vcc, v12, v4
	s_and_saveexec_b64 s[8:9], vcc
	s_cbranch_execz .LBB58_37
; %bb.36:
	v_mul_u32_u24_e32 v0, 34, v4
	v_lshlrev_b32_e32 v2, 4, v0
	v_mov_b32_e32 v0, 0
	v_mov_b32_e32 v1, v0
	ds_write_b64 v2, v[0:1] offset:8
.LBB58_37:
	s_or_b64 exec, exec, s[8:9]
.LBB58_38:
	s_or_saveexec_b64 s[4:5], s[4:5]
	v_mul_u32_u24_e32 v44, 33, v4
	v_add_lshl_u32 v10, v12, v44, 4
	s_xor_b64 exec, exec, s[4:5]
	s_cbranch_execz .LBB58_40
; %bb.39:
	v_mul_u32_u24_e32 v0, 0x84, v5
	v_add_lshl_u32 v0, v0, v4, 4
	ds_read_b128 v[0:3], v0
	s_waitcnt lgkmcnt(0)
	v_xor_b32_e32 v3, 0x80000000, v3
	ds_write_b128 v10, v[0:3]
.LBB58_40:
	s_or_b64 exec, exec, s[4:5]
	v_or_b32_e32 v13, 1, v12
	v_cmp_ge_u32_e64 s[8:9], v13, v4
	s_and_saveexec_b64 s[4:5], s[8:9]
	s_xor_b64 s[4:5], exec, s[4:5]
	s_cbranch_execz .LBB58_44
; %bb.41:
	v_cmp_eq_u32_e32 vcc, v13, v4
	s_and_saveexec_b64 s[10:11], vcc
	s_cbranch_execz .LBB58_43
; %bb.42:
	v_mul_u32_u24_e32 v0, 34, v4
	v_lshlrev_b32_e32 v2, 4, v0
	v_mov_b32_e32 v0, 0
	v_mov_b32_e32 v1, v0
	ds_write_b64 v2, v[0:1] offset:8
.LBB58_43:
	s_or_b64 exec, exec, s[10:11]
.LBB58_44:
	s_or_saveexec_b64 s[4:5], s[4:5]
	v_mul_u32_u24_e32 v0, 33, v13
	s_xor_b64 exec, exec, s[4:5]
	s_cbranch_execz .LBB58_46
; %bb.45:
	v_add_lshl_u32 v1, v0, v4, 4
	ds_read_b128 v[14:17], v1
	s_waitcnt lgkmcnt(0)
	v_xor_b32_e32 v17, 0x80000000, v17
	ds_write_b128 v10, v[14:17] offset:16
.LBB58_46:
	s_or_b64 exec, exec, s[4:5]
	v_or_b32_e32 v14, 2, v12
	v_cmp_ge_u32_e64 s[10:11], v14, v4
	s_and_saveexec_b64 s[4:5], s[10:11]
	s_xor_b64 s[4:5], exec, s[4:5]
	s_cbranch_execz .LBB58_50
; %bb.47:
	v_cmp_eq_u32_e32 vcc, v14, v4
	s_and_saveexec_b64 s[12:13], vcc
	s_cbranch_execz .LBB58_49
; %bb.48:
	v_mul_u32_u24_e32 v1, 34, v4
	v_mov_b32_e32 v2, 0
	v_lshlrev_b32_e32 v1, 4, v1
	v_mov_b32_e32 v3, v2
	ds_write_b64 v1, v[2:3] offset:8
.LBB58_49:
	s_or_b64 exec, exec, s[12:13]
.LBB58_50:
	s_andn2_saveexec_b64 s[4:5], s[4:5]
	s_cbranch_execz .LBB58_52
; %bb.51:
	v_mul_u32_u24_e32 v1, 33, v14
	v_add_lshl_u32 v1, v1, v4, 4
	ds_read_b128 v[16:19], v1
	s_waitcnt lgkmcnt(0)
	v_xor_b32_e32 v19, 0x80000000, v19
	ds_write_b128 v10, v[16:19] offset:32
.LBB58_52:
	s_or_b64 exec, exec, s[4:5]
	v_or_b32_e32 v15, 3, v12
	v_cmp_ge_u32_e64 s[12:13], v15, v4
	s_and_saveexec_b64 s[4:5], s[12:13]
	s_xor_b64 s[4:5], exec, s[4:5]
	s_cbranch_execz .LBB58_56
; %bb.53:
	v_cmp_eq_u32_e32 vcc, v15, v4
	s_and_saveexec_b64 s[14:15], vcc
	s_cbranch_execz .LBB58_55
; %bb.54:
	v_mul_u32_u24_e32 v1, 34, v4
	v_mov_b32_e32 v2, 0
	v_lshlrev_b32_e32 v1, 4, v1
	v_mov_b32_e32 v3, v2
	ds_write_b64 v1, v[2:3] offset:8
.LBB58_55:
	s_or_b64 exec, exec, s[14:15]
.LBB58_56:
	s_andn2_saveexec_b64 s[4:5], s[4:5]
	s_cbranch_execz .LBB58_58
; %bb.57:
	v_mul_u32_u24_e32 v1, 33, v15
	v_add_lshl_u32 v1, v1, v4, 4
	ds_read_b128 v[16:19], v1
	s_waitcnt lgkmcnt(0)
	v_xor_b32_e32 v19, 0x80000000, v19
	ds_write_b128 v10, v[16:19] offset:48
.LBB58_58:
	s_or_b64 exec, exec, s[4:5]
	v_mul_u32_u24_e32 v1, 0x84, v5
	v_lshlrev_b32_e32 v17, 4, v12
	s_waitcnt lgkmcnt(0)
	s_barrier
	v_add_lshl_u32 v16, v1, v4, 4
	ds_read_b128 v[18:21], v17 offset:18176
	ds_read_b128 v[22:25], v17 offset:18192
	ds_read_b128 v[26:29], v16
	ds_read_b128 v[30:33], v17 offset:18208
	ds_read_b128 v[46:49], v17 offset:18224
	v_add_lshl_u32 v11, v0, v4, 4
	ds_read_b128 v[0:3], v11
	s_waitcnt lgkmcnt(3)
	v_mul_f64 v[8:9], v[20:21], v[28:29]
	v_fma_f64 v[8:9], v[18:19], v[26:27], -v[8:9]
	v_mul_f64 v[18:19], v[18:19], v[28:29]
	v_fmac_f64_e32 v[18:19], v[20:21], v[26:27]
	v_add_f64 v[26:27], v[18:19], 0
	s_waitcnt lgkmcnt(0)
	v_mul_f64 v[18:19], v[24:25], v[2:3]
	v_fma_f64 v[28:29], v[22:23], v[0:1], -v[18:19]
	v_mul_f64 v[2:3], v[22:23], v[2:3]
	ds_read_b128 v[18:21], v11 offset:528
	v_fmac_f64_e32 v[2:3], v[24:25], v[0:1]
	v_add_f64 v[22:23], v[26:27], v[2:3]
	ds_read_b128 v[0:3], v11 offset:1056
	v_add_f64 v[8:9], v[8:9], 0
	s_waitcnt lgkmcnt(1)
	v_mul_f64 v[24:25], v[32:33], v[20:21]
	v_mul_f64 v[20:21], v[30:31], v[20:21]
	v_fmac_f64_e32 v[20:21], v[32:33], v[18:19]
	v_add_f64 v[8:9], v[8:9], v[28:29]
	v_fma_f64 v[24:25], v[30:31], v[18:19], -v[24:25]
	v_add_f64 v[18:19], v[22:23], v[20:21]
	s_waitcnt lgkmcnt(0)
	v_mul_f64 v[20:21], v[48:49], v[2:3]
	v_mul_f64 v[2:3], v[46:47], v[2:3]
	v_add_f64 v[8:9], v[8:9], v[24:25]
	v_fma_f64 v[20:21], v[46:47], v[0:1], -v[20:21]
	v_fmac_f64_e32 v[2:3], v[48:49], v[0:1]
	v_add_f64 v[0:1], v[8:9], v[20:21]
	v_add_f64 v[2:3], v[18:19], v[2:3]
	v_add_lshl_u32 v45, v5, v44, 4
	s_barrier
	ds_write_b128 v45, v[0:3]
	v_pk_mov_b32 v[0:1], 0, 0
	v_cmp_gt_u32_e64 s[4:5], 32, v43
	v_pk_mov_b32 v[2:3], v[0:1], v[0:1] op_sel:[0,1]
	s_waitcnt lgkmcnt(0)
	s_barrier
	s_and_saveexec_b64 s[14:15], s[4:5]
	s_cbranch_execz .LBB58_60
; %bb.59:
	v_lshlrev_b32_e32 v30, 4, v44
	ds_read_b128 v[0:3], v30
	ds_read_b128 v[18:21], v30 offset:16
	ds_read_b128 v[22:25], v30 offset:32
	;; [unrolled: 1-line block ×3, first 2 shown]
	s_waitcnt lgkmcnt(2)
	v_add_f64 v[0:1], v[18:19], v[0:1]
	v_add_f64 v[8:9], v[20:21], v[2:3]
	s_waitcnt lgkmcnt(1)
	v_add_f64 v[18:19], v[0:1], v[22:23]
	ds_read_b128 v[0:3], v30 offset:64
	v_add_f64 v[8:9], v[8:9], v[24:25]
	s_waitcnt lgkmcnt(1)
	v_add_f64 v[22:23], v[18:19], v[26:27]
	ds_read_b128 v[18:21], v30 offset:80
	;; [unrolled: 4-line block ×3, first 2 shown]
	v_add_f64 v[8:9], v[8:9], v[2:3]
	ds_read_b128 v[0:3], v30 offset:112
	s_waitcnt lgkmcnt(2)
	v_add_f64 v[18:19], v[26:27], v[18:19]
	v_add_f64 v[8:9], v[8:9], v[20:21]
	s_waitcnt lgkmcnt(1)
	v_add_f64 v[18:19], v[18:19], v[22:23]
	v_add_f64 v[8:9], v[8:9], v[24:25]
	;; [unrolled: 3-line block ×3, first 2 shown]
.LBB58_60:
	s_or_b64 exec, exec, s[14:15]
	s_lshl_b32 s14, s28, 5
	s_ashr_i32 s15, s14, 31
	s_lshl_b64 s[38:39], s[14:15], 4
	v_mov_b32_e32 v9, s39
	v_add_co_u32_e32 v8, vcc, s38, v6
	v_addc_co_u32_e32 v9, vcc, v7, v9, vcc
	v_add_co_u32_e32 v6, vcc, 0x200, v8
	v_cndmask_b32_e64 v7, 0, 1, s[36:37]
	s_mov_b64 s[16:17], vcc
	v_cmp_ne_u32_e64 s[14:15], 1, v7
	s_andn2_b64 vcc, exec, s[36:37]
	v_addc_co_u32_e64 v7, s[16:17], 0, v9, s[16:17]
	s_barrier
	s_cbranch_vccnz .LBB58_62
; %bb.61:
	flat_load_dwordx4 v[18:21], v[6:7]
	s_lshl_b32 s16, s28, 3
	s_ashr_i32 s17, s16, 31
	v_mul_u32_u24_e32 v22, 33, v5
	s_lshl_b64 s[16:17], s[16:17], 4
	v_add_lshl_u32 v22, v22, v4, 4
	v_mov_b32_e32 v23, s17
	v_add_co_u32_e32 v8, vcc, s16, v8
	v_addc_co_u32_e32 v9, vcc, v9, v23, vcc
	s_ashr_i32 s29, s28, 31
	s_lshl_b64 s[16:17], s[28:29], 7
	v_add_u32_e32 v23, 0x1080, v22
	v_mov_b32_e32 v24, s17
	s_waitcnt vmcnt(0) lgkmcnt(0)
	ds_write2_b64 v22, v[18:19], v[20:21] offset1:1
	flat_load_dwordx4 v[18:21], v[8:9] offset:512
	v_add_co_u32_e32 v8, vcc, s16, v8
	v_addc_co_u32_e32 v9, vcc, v9, v24, vcc
	s_waitcnt vmcnt(0) lgkmcnt(0)
	ds_write2_b64 v23, v[18:19], v[20:21] offset1:1
	flat_load_dwordx4 v[18:21], v[8:9] offset:512
	v_add_u32_e32 v23, 0x2100, v22
	v_add_co_u32_e32 v8, vcc, s16, v8
	v_addc_co_u32_e32 v9, vcc, v9, v24, vcc
	s_waitcnt vmcnt(0) lgkmcnt(0)
	ds_write2_b64 v23, v[18:19], v[20:21] offset1:1
	flat_load_dwordx4 v[18:21], v[8:9] offset:512
	v_add_u32_e32 v8, 0x3180, v22
	s_waitcnt vmcnt(0) lgkmcnt(0)
	ds_write2_b64 v8, v[18:19], v[20:21] offset1:1
	s_cbranch_execz .LBB58_63
	s_branch .LBB58_80
.LBB58_62:
.LBB58_63:
	v_or_b32_e32 v8, 32, v4
	v_lshlrev_b32_e32 v9, 4, v8
	v_sub_co_u32_e32 v9, vcc, v6, v9
	s_ashr_i32 s25, s24, 31
	v_subbrev_co_u32_e32 v18, vcc, 0, v7, vcc
	s_lshl_b64 s[36:37], s[24:25], 4
	v_mov_b32_e32 v19, s37
	v_add_co_u32_e32 v9, vcc, s36, v9
	v_addc_co_u32_e32 v18, vcc, v18, v19, vcc
	v_add_co_u32_e32 v19, vcc, -16, v9
	v_addc_co_u32_e32 v9, vcc, -1, v18, vcc
	v_cmp_gt_i32_e64 s[16:17], s24, v8
	s_sub_i32 s25, s24, 32
	v_mul_u32_u24_e32 v18, 33, v5
	v_cndmask_b32_e64 v9, v9, v7, s[16:17]
	v_cndmask_b32_e64 v8, v19, v6, s[16:17]
	v_cmp_le_i32_e32 vcc, s25, v5
	v_add_lshl_u32 v18, v18, v4, 4
	s_and_saveexec_b64 s[40:41], vcc
	s_xor_b64 s[40:41], exec, s[40:41]
	s_cbranch_execz .LBB58_65
; %bb.64:
	v_mov_b32_e32 v20, 0
	v_mov_b32_e32 v21, v20
	;; [unrolled: 1-line block ×4, first 2 shown]
	ds_write_b128 v18, v[20:23]
.LBB58_65:
	s_andn2_saveexec_b64 s[40:41], s[40:41]
	s_cbranch_execz .LBB58_67
; %bb.66:
	flat_load_dwordx4 v[20:23], v[8:9]
	s_waitcnt vmcnt(0) lgkmcnt(0)
	ds_write2_b64 v18, v[20:21], v[22:23] offset1:1
.LBB58_67:
	s_or_b64 exec, exec, s[40:41]
	v_add_u32_e32 v19, 8, v5
	v_cmp_le_i32_e32 vcc, s25, v19
	s_and_saveexec_b64 s[40:41], vcc
	s_xor_b64 s[40:41], exec, s[40:41]
	s_cbranch_execz .LBB58_69
; %bb.68:
	v_mul_u32_u24_e32 v19, 33, v19
	v_mov_b32_e32 v20, 0
	v_add_lshl_u32 v19, v19, v4, 4
	v_mov_b32_e32 v21, v20
	v_mov_b32_e32 v22, v20
	;; [unrolled: 1-line block ×3, first 2 shown]
	ds_write_b128 v19, v[20:23]
.LBB58_69:
	s_andn2_saveexec_b64 s[40:41], s[40:41]
	s_cbranch_execz .LBB58_71
; %bb.70:
	s_lshl_b32 s44, s28, 3
	s_ashr_i32 s45, s44, 31
	s_lshl_b64 s[44:45], s[44:45], 4
	v_mov_b32_e32 v19, s45
	v_add_co_u32_e32 v20, vcc, s44, v8
	v_addc_co_u32_e32 v21, vcc, v9, v19, vcc
	flat_load_dwordx4 v[20:23], v[20:21]
	v_add_u32_e32 v19, 0x1080, v18
	s_waitcnt vmcnt(0) lgkmcnt(0)
	ds_write2_b64 v19, v[20:21], v[22:23] offset1:1
.LBB58_71:
	s_or_b64 exec, exec, s[40:41]
	v_add_u32_e32 v19, 16, v5
	v_cmp_le_i32_e32 vcc, s25, v19
	s_and_saveexec_b64 s[40:41], vcc
	s_xor_b64 s[40:41], exec, s[40:41]
	s_cbranch_execz .LBB58_73
; %bb.72:
	v_mul_u32_u24_e32 v19, 33, v19
	v_mov_b32_e32 v20, 0
	v_add_lshl_u32 v19, v19, v4, 4
	v_mov_b32_e32 v21, v20
	v_mov_b32_e32 v22, v20
	;; [unrolled: 1-line block ×3, first 2 shown]
	ds_write_b128 v19, v[20:23]
.LBB58_73:
	s_andn2_saveexec_b64 s[40:41], s[40:41]
	s_cbranch_execz .LBB58_75
; %bb.74:
	s_lshl_b32 s44, s28, 4
	s_ashr_i32 s45, s44, 31
	s_lshl_b64 s[44:45], s[44:45], 4
	v_mov_b32_e32 v19, s45
	v_add_co_u32_e32 v20, vcc, s44, v8
	v_addc_co_u32_e32 v21, vcc, v9, v19, vcc
	flat_load_dwordx4 v[20:23], v[20:21]
	v_add_u32_e32 v19, 0x2100, v18
	s_waitcnt vmcnt(0) lgkmcnt(0)
	ds_write2_b64 v19, v[20:21], v[22:23] offset1:1
.LBB58_75:
	s_or_b64 exec, exec, s[40:41]
	v_add_u32_e32 v19, 24, v5
	v_cmp_le_i32_e32 vcc, s25, v19
	s_and_saveexec_b64 s[40:41], vcc
	s_xor_b64 s[40:41], exec, s[40:41]
	s_cbranch_execz .LBB58_77
; %bb.76:
	v_mov_b32_e32 v20, 0
	v_mov_b32_e32 v21, v20
	;; [unrolled: 1-line block ×4, first 2 shown]
	ds_write_b128 v18, v[20:23] offset:12672
                                        ; implicit-def: $vgpr18
.LBB58_77:
	s_andn2_saveexec_b64 s[40:41], s[40:41]
	s_cbranch_execz .LBB58_79
; %bb.78:
	s_mul_i32 s44, s28, 24
	s_ashr_i32 s45, s44, 31
	s_lshl_b64 s[44:45], s[44:45], 4
	v_mov_b32_e32 v19, s45
	v_add_co_u32_e32 v20, vcc, s44, v8
	v_addc_co_u32_e32 v21, vcc, v9, v19, vcc
	flat_load_dwordx4 v[20:23], v[20:21]
	v_add_u32_e32 v18, 0x3180, v18
	s_waitcnt vmcnt(0) lgkmcnt(0)
	ds_write2_b64 v18, v[20:21], v[22:23] offset1:1
.LBB58_79:
	s_or_b64 exec, exec, s[40:41]
	v_lshlrev_b32_e32 v18, 4, v4
	v_add_co_u32_e32 v8, vcc, v8, v18
	v_addc_co_u32_e32 v9, vcc, 0, v9, vcc
	v_mov_b32_e32 v18, s37
	v_subrev_co_u32_e32 v8, vcc, s36, v8
	v_subb_co_u32_e32 v9, vcc, v9, v18, vcc
	v_add_co_u32_e32 v8, vcc, 0x210, v8
	v_addc_co_u32_e32 v9, vcc, 0, v9, vcc
	v_cndmask_b32_e64 v7, v9, v7, s[16:17]
	v_cndmask_b32_e64 v6, v8, v6, s[16:17]
.LBB58_80:
	v_add_u32_e32 v8, 0x4700, v17
	s_waitcnt lgkmcnt(0)
	s_barrier
	s_and_saveexec_b64 s[16:17], s[18:19]
	s_xor_b64 s[16:17], exec, s[16:17]
	s_cbranch_execnz .LBB58_93
; %bb.81:
	s_andn2_saveexec_b64 s[16:17], s[16:17]
	s_cbranch_execnz .LBB58_96
.LBB58_82:
	s_or_b64 exec, exec, s[16:17]
	s_and_saveexec_b64 s[16:17], s[8:9]
	s_xor_b64 s[8:9], exec, s[16:17]
	s_cbranch_execnz .LBB58_97
.LBB58_83:
	s_andn2_saveexec_b64 s[8:9], s[8:9]
	s_cbranch_execnz .LBB58_100
.LBB58_84:
	s_or_b64 exec, exec, s[8:9]
	s_and_saveexec_b64 s[8:9], s[10:11]
	s_xor_b64 s[8:9], exec, s[8:9]
	s_cbranch_execnz .LBB58_101
.LBB58_85:
	s_andn2_saveexec_b64 s[8:9], s[8:9]
	s_cbranch_execnz .LBB58_104
.LBB58_86:
	s_or_b64 exec, exec, s[8:9]
	s_and_saveexec_b64 s[8:9], s[12:13]
	s_xor_b64 s[8:9], exec, s[8:9]
	s_cbranch_execnz .LBB58_105
.LBB58_87:
	s_andn2_saveexec_b64 s[8:9], s[8:9]
	s_cbranch_execz .LBB58_89
.LBB58_88:
	ds_read_b128 v[12:15], v11 offset:1056
	s_waitcnt lgkmcnt(0)
	v_xor_b32_e32 v15, 0x80000000, v15
	ds_write_b128 v10, v[12:15] offset:48
.LBB58_89:
	s_or_b64 exec, exec, s[8:9]
	s_waitcnt lgkmcnt(0)
	s_barrier
	ds_read_b128 v[12:15], v8 offset:512
	ds_read_b128 v[16:19], v16
	ds_read_b128 v[20:23], v8 offset:528
	ds_read_b128 v[24:27], v8 offset:544
	v_cmp_eq_u32_e64 s[10:11], 1, v5
	s_waitcnt lgkmcnt(2)
	v_mul_f64 v[28:29], v[14:15], v[18:19]
	v_fma_f64 v[40:41], v[12:13], v[16:17], -v[28:29]
	ds_read_b128 v[28:31], v8 offset:560
	ds_read_b128 v[32:35], v11
	v_mul_f64 v[12:13], v[12:13], v[18:19]
	v_fmac_f64_e32 v[12:13], v[14:15], v[16:17]
	v_add_f64 v[18:19], v[12:13], 0
	v_add_f64 v[16:17], v[40:41], 0
	s_waitcnt lgkmcnt(0)
	v_mul_f64 v[12:13], v[22:23], v[34:35]
	v_fma_f64 v[40:41], v[20:21], v[32:33], -v[12:13]
	v_mul_f64 v[20:21], v[20:21], v[34:35]
	ds_read_b128 v[12:15], v11 offset:528
	v_fmac_f64_e32 v[20:21], v[22:23], v[32:33]
	v_add_f64 v[22:23], v[16:17], v[40:41]
	v_add_f64 v[20:21], v[18:19], v[20:21]
	ds_read_b128 v[16:19], v11 offset:1056
	s_waitcnt lgkmcnt(1)
	v_mul_f64 v[32:33], v[26:27], v[14:15]
	v_mul_f64 v[14:15], v[24:25], v[14:15]
	v_fmac_f64_e32 v[14:15], v[26:27], v[12:13]
	v_fma_f64 v[32:33], v[24:25], v[12:13], -v[32:33]
	v_add_f64 v[14:15], v[20:21], v[14:15]
	s_waitcnt lgkmcnt(0)
	v_mul_f64 v[20:21], v[30:31], v[18:19]
	v_mul_f64 v[18:19], v[28:29], v[18:19]
	v_add_f64 v[12:13], v[22:23], v[32:33]
	v_fma_f64 v[20:21], v[28:29], v[16:17], -v[20:21]
	v_fmac_f64_e32 v[18:19], v[30:31], v[16:17]
	v_add_f64 v[12:13], v[12:13], v[20:21]
	v_add_f64 v[14:15], v[14:15], v[18:19]
	s_barrier
	ds_write_b128 v45, v[12:15]
	s_waitcnt lgkmcnt(0)
	s_barrier
	s_and_saveexec_b64 s[8:9], s[10:11]
	s_cbranch_execz .LBB58_91
; %bb.90:
	v_lshlrev_b32_e32 v9, 4, v44
	ds_read_b128 v[0:3], v9
	ds_read_b128 v[12:15], v9 offset:16
	ds_read_b128 v[16:19], v9 offset:32
	;; [unrolled: 1-line block ×3, first 2 shown]
	s_waitcnt lgkmcnt(2)
	v_add_f64 v[0:1], v[12:13], v[0:1]
	v_add_f64 v[12:13], v[14:15], v[2:3]
	s_waitcnt lgkmcnt(1)
	v_add_f64 v[14:15], v[0:1], v[16:17]
	ds_read_b128 v[0:3], v9 offset:64
	v_add_f64 v[12:13], v[12:13], v[18:19]
	s_waitcnt lgkmcnt(1)
	v_add_f64 v[16:17], v[14:15], v[20:21]
	v_add_f64 v[20:21], v[12:13], v[22:23]
	ds_read_b128 v[12:15], v9 offset:80
	s_waitcnt lgkmcnt(1)
	v_add_f64 v[22:23], v[16:17], v[0:1]
	ds_read_b128 v[16:19], v9 offset:96
	v_add_f64 v[20:21], v[20:21], v[2:3]
	ds_read_b128 v[0:3], v9 offset:112
	s_waitcnt lgkmcnt(2)
	v_add_f64 v[12:13], v[22:23], v[12:13]
	v_add_f64 v[14:15], v[20:21], v[14:15]
	s_waitcnt lgkmcnt(1)
	v_add_f64 v[12:13], v[12:13], v[16:17]
	v_add_f64 v[14:15], v[14:15], v[18:19]
	s_waitcnt lgkmcnt(0)
	v_add_f64 v[0:1], v[12:13], v[0:1]
	v_add_f64 v[2:3], v[14:15], v[2:3]
.LBB58_91:
	s_or_b64 exec, exec, s[8:9]
	v_mov_b32_e32 v9, s39
	v_subrev_co_u32_e64 v40, s[8:9], s38, v6
	s_and_b64 vcc, exec, s[14:15]
	v_subb_co_u32_e64 v41, s[8:9], v7, v9, s[8:9]
	s_barrier
	s_cbranch_vccnz .LBB58_108
; %bb.92:
	flat_load_dwordx4 v[12:15], v[40:41]
	s_lshl_b32 s8, s28, 3
	s_ashr_i32 s9, s8, 31
	v_mad_u32_u24 v9, v5, 33, v4
	s_lshl_b64 s[8:9], s[8:9], 4
	v_lshlrev_b32_e32 v20, 4, v9
	v_mov_b32_e32 v7, s9
	v_add_co_u32_e32 v6, vcc, s8, v40
	v_addc_co_u32_e32 v7, vcc, v41, v7, vcc
	s_ashr_i32 s29, s28, 31
	s_lshl_b64 s[8:9], s[28:29], 7
	v_add_u32_e32 v11, 0x1080, v20
	v_mov_b32_e32 v16, s9
	s_waitcnt vmcnt(0) lgkmcnt(0)
	ds_write2_b64 v20, v[12:13], v[14:15] offset1:1
	flat_load_dwordx4 v[12:15], v[6:7]
	v_add_co_u32_e32 v6, vcc, s8, v6
	v_addc_co_u32_e32 v7, vcc, v7, v16, vcc
	s_waitcnt vmcnt(0) lgkmcnt(0)
	ds_write2_b64 v11, v[12:13], v[14:15] offset1:1
	flat_load_dwordx4 v[12:15], v[6:7]
	v_add_u32_e32 v11, 0x2100, v20
	v_add_co_u32_e32 v6, vcc, s8, v6
	v_addc_co_u32_e32 v7, vcc, v7, v16, vcc
	s_waitcnt vmcnt(0) lgkmcnt(0)
	ds_write2_b64 v11, v[12:13], v[14:15] offset1:1
	flat_load_dwordx4 v[16:19], v[6:7]
	v_add_u32_e32 v11, 8, v5
	v_add_u32_e32 v12, 16, v5
	;; [unrolled: 1-line block ×7, first 2 shown]
	s_waitcnt vmcnt(0) lgkmcnt(0)
	ds_write2_b64 v15, v[16:17], v[18:19] offset1:1
	s_cbranch_execz .LBB58_109
	s_branch .LBB58_126
.LBB58_93:
	v_cmp_eq_u32_e32 vcc, v12, v4
	s_and_saveexec_b64 s[18:19], vcc
	s_cbranch_execz .LBB58_95
; %bb.94:
	v_mul_u32_u24_e32 v9, 34, v4
	v_mov_b32_e32 v18, 0
	v_lshlrev_b32_e32 v9, 4, v9
	v_mov_b32_e32 v19, v18
	ds_write_b64 v9, v[18:19] offset:8
.LBB58_95:
	s_or_b64 exec, exec, s[18:19]
	s_andn2_saveexec_b64 s[16:17], s[16:17]
	s_cbranch_execz .LBB58_82
.LBB58_96:
	ds_read_b128 v[18:21], v16
	s_waitcnt lgkmcnt(0)
	v_xor_b32_e32 v21, 0x80000000, v21
	ds_write_b128 v10, v[18:21]
	s_or_b64 exec, exec, s[16:17]
	s_and_saveexec_b64 s[16:17], s[8:9]
	s_xor_b64 s[8:9], exec, s[16:17]
	s_cbranch_execz .LBB58_83
.LBB58_97:
	v_cmp_eq_u32_e32 vcc, v13, v4
	s_and_saveexec_b64 s[16:17], vcc
	s_cbranch_execz .LBB58_99
; %bb.98:
	v_mul_u32_u24_e32 v9, 34, v4
	v_mov_b32_e32 v12, 0
	v_lshlrev_b32_e32 v9, 4, v9
	v_mov_b32_e32 v13, v12
	ds_write_b64 v9, v[12:13] offset:8
.LBB58_99:
	s_or_b64 exec, exec, s[16:17]
	s_andn2_saveexec_b64 s[8:9], s[8:9]
	s_cbranch_execz .LBB58_84
.LBB58_100:
	ds_read_b128 v[18:21], v11
	s_waitcnt lgkmcnt(0)
	v_xor_b32_e32 v21, 0x80000000, v21
	ds_write_b128 v10, v[18:21] offset:16
	s_or_b64 exec, exec, s[8:9]
	s_and_saveexec_b64 s[8:9], s[10:11]
	s_xor_b64 s[8:9], exec, s[8:9]
	s_cbranch_execz .LBB58_85
.LBB58_101:
	v_cmp_eq_u32_e32 vcc, v14, v4
	s_and_saveexec_b64 s[10:11], vcc
	s_cbranch_execz .LBB58_103
; %bb.102:
	v_mul_u32_u24_e32 v9, 34, v4
	v_mov_b32_e32 v12, 0
	v_lshlrev_b32_e32 v9, 4, v9
	v_mov_b32_e32 v13, v12
	ds_write_b64 v9, v[12:13] offset:8
.LBB58_103:
	s_or_b64 exec, exec, s[10:11]
	s_andn2_saveexec_b64 s[8:9], s[8:9]
	s_cbranch_execz .LBB58_86
.LBB58_104:
	ds_read_b128 v[18:21], v11 offset:528
	s_waitcnt lgkmcnt(0)
	v_xor_b32_e32 v21, 0x80000000, v21
	ds_write_b128 v10, v[18:21] offset:32
	s_or_b64 exec, exec, s[8:9]
	s_and_saveexec_b64 s[8:9], s[12:13]
	s_xor_b64 s[8:9], exec, s[8:9]
	s_cbranch_execz .LBB58_87
.LBB58_105:
	v_cmp_eq_u32_e32 vcc, v15, v4
	s_and_saveexec_b64 s[10:11], vcc
	s_cbranch_execz .LBB58_107
; %bb.106:
	v_mul_u32_u24_e32 v9, 34, v4
	v_mov_b32_e32 v12, 0
	v_lshlrev_b32_e32 v9, 4, v9
	v_mov_b32_e32 v13, v12
	ds_write_b64 v9, v[12:13] offset:8
.LBB58_107:
	s_or_b64 exec, exec, s[10:11]
	s_andn2_saveexec_b64 s[8:9], s[8:9]
	s_cbranch_execnz .LBB58_88
	s_branch .LBB58_89
.LBB58_108:
                                        ; implicit-def: $vgpr9
                                        ; implicit-def: $vgpr11
                                        ; implicit-def: $vgpr7
                                        ; implicit-def: $vgpr12
                                        ; implicit-def: $vgpr6
                                        ; implicit-def: $vgpr13
                                        ; implicit-def: $vgpr14
.LBB58_109:
	v_or_b32_e32 v6, 32, v4
	v_lshlrev_b32_e32 v7, 4, v6
	v_sub_co_u32_e32 v7, vcc, v40, v7
	s_ashr_i32 s25, s24, 31
	v_subbrev_co_u32_e32 v9, vcc, 0, v41, vcc
	s_lshl_b64 s[12:13], s[24:25], 4
	v_mov_b32_e32 v11, s13
	v_add_co_u32_e32 v7, vcc, s12, v7
	v_addc_co_u32_e32 v9, vcc, v9, v11, vcc
	v_add_co_u32_e32 v11, vcc, -16, v7
	v_addc_co_u32_e32 v7, vcc, -1, v9, vcc
	v_cmp_gt_i32_e64 s[8:9], s24, v6
	v_mad_u32_u24 v9, v5, 33, v4
	v_cndmask_b32_e64 v7, v7, v41, s[8:9]
	v_cndmask_b32_e64 v6, v11, v40, s[8:9]
	v_cmp_le_i32_e32 vcc, s24, v5
	v_lshlrev_b32_e32 v15, 4, v9
	s_and_saveexec_b64 s[14:15], vcc
	s_xor_b64 s[14:15], exec, s[14:15]
	s_cbranch_execz .LBB58_111
; %bb.110:
	v_mov_b32_e32 v16, 0
	v_mov_b32_e32 v17, v16
	;; [unrolled: 1-line block ×4, first 2 shown]
	ds_write_b128 v15, v[16:19]
.LBB58_111:
	s_andn2_saveexec_b64 s[14:15], s[14:15]
	s_cbranch_execz .LBB58_113
; %bb.112:
	flat_load_dwordx4 v[16:19], v[6:7]
	s_waitcnt vmcnt(0) lgkmcnt(0)
	ds_write2_b64 v15, v[16:17], v[18:19] offset1:1
.LBB58_113:
	s_or_b64 exec, exec, s[14:15]
	v_add_u32_e32 v11, 8, v5
	v_cmp_le_i32_e32 vcc, s24, v11
	s_and_saveexec_b64 s[14:15], vcc
	s_xor_b64 s[14:15], exec, s[14:15]
	s_cbranch_execz .LBB58_115
; %bb.114:
	v_mul_u32_u24_e32 v12, 33, v11
	v_mov_b32_e32 v16, 0
	v_add_lshl_u32 v12, v12, v4, 4
	v_mov_b32_e32 v17, v16
	v_mov_b32_e32 v18, v16
	;; [unrolled: 1-line block ×3, first 2 shown]
	ds_write_b128 v12, v[16:19]
.LBB58_115:
	s_andn2_saveexec_b64 s[14:15], s[14:15]
	s_cbranch_execz .LBB58_117
; %bb.116:
	s_lshl_b32 s16, s28, 3
	s_ashr_i32 s17, s16, 31
	s_lshl_b64 s[16:17], s[16:17], 4
	v_mov_b32_e32 v13, s17
	v_add_co_u32_e32 v12, vcc, s16, v6
	v_addc_co_u32_e32 v13, vcc, v7, v13, vcc
	flat_load_dwordx4 v[16:19], v[12:13]
	v_add_u32_e32 v12, 0x1080, v15
	s_waitcnt vmcnt(0) lgkmcnt(0)
	ds_write2_b64 v12, v[16:17], v[18:19] offset1:1
.LBB58_117:
	s_or_b64 exec, exec, s[14:15]
	v_add_u32_e32 v12, 16, v5
	v_cmp_le_i32_e32 vcc, s24, v12
	s_and_saveexec_b64 s[14:15], vcc
	s_xor_b64 s[14:15], exec, s[14:15]
	s_cbranch_execz .LBB58_119
; %bb.118:
	v_mul_u32_u24_e32 v13, 33, v12
	v_mov_b32_e32 v16, 0
	v_add_lshl_u32 v13, v13, v4, 4
	v_mov_b32_e32 v17, v16
	v_mov_b32_e32 v18, v16
	;; [unrolled: 1-line block ×3, first 2 shown]
	ds_write_b128 v13, v[16:19]
.LBB58_119:
	s_andn2_saveexec_b64 s[14:15], s[14:15]
	s_cbranch_execz .LBB58_121
; %bb.120:
	s_lshl_b32 s16, s28, 4
	s_ashr_i32 s17, s16, 31
	s_lshl_b64 s[16:17], s[16:17], 4
	v_mov_b32_e32 v13, s17
	v_add_co_u32_e32 v16, vcc, s16, v6
	v_addc_co_u32_e32 v17, vcc, v7, v13, vcc
	flat_load_dwordx4 v[16:19], v[16:17]
	v_add_u32_e32 v13, 0x2100, v15
	s_waitcnt vmcnt(0) lgkmcnt(0)
	ds_write2_b64 v13, v[16:17], v[18:19] offset1:1
.LBB58_121:
	s_or_b64 exec, exec, s[14:15]
	v_add_u32_e32 v13, 24, v5
	v_cmp_le_i32_e32 vcc, s24, v13
                                        ; implicit-def: $vgpr14
	s_and_saveexec_b64 s[14:15], vcc
	s_xor_b64 s[14:15], exec, s[14:15]
	s_cbranch_execz .LBB58_123
; %bb.122:
	v_mad_u32_u24 v14, v13, 33, v4
	v_mov_b32_e32 v16, 0
	v_lshlrev_b32_e32 v15, 4, v14
	v_mov_b32_e32 v17, v16
	v_mov_b32_e32 v18, v16
	;; [unrolled: 1-line block ×3, first 2 shown]
	ds_write_b128 v15, v[16:19]
                                        ; implicit-def: $vgpr15
.LBB58_123:
	s_andn2_saveexec_b64 s[14:15], s[14:15]
	s_cbranch_execz .LBB58_125
; %bb.124:
	s_mul_i32 s16, s28, 24
	s_ashr_i32 s17, s16, 31
	s_lshl_b64 s[16:17], s[16:17], 4
	v_mov_b32_e32 v14, s17
	v_add_co_u32_e32 v16, vcc, s16, v6
	v_addc_co_u32_e32 v17, vcc, v7, v14, vcc
	flat_load_dwordx4 v[16:19], v[16:17]
	v_add_u32_e32 v14, 0x318, v9
	v_add_u32_e32 v15, 0x3180, v15
	s_waitcnt vmcnt(0) lgkmcnt(0)
	ds_write2_b64 v15, v[16:17], v[18:19] offset1:1
.LBB58_125:
	s_or_b64 exec, exec, s[14:15]
	v_lshlrev_b32_e32 v4, 4, v4
	v_add_co_u32_e32 v4, vcc, v6, v4
	v_addc_co_u32_e32 v6, vcc, 0, v7, vcc
	v_mov_b32_e32 v7, s13
	v_subrev_co_u32_e32 v4, vcc, s12, v4
	v_subb_co_u32_e32 v6, vcc, v6, v7, vcc
	v_add_co_u32_e32 v4, vcc, 0x210, v4
	v_addc_co_u32_e32 v6, vcc, 0, v6, vcc
	v_cndmask_b32_e64 v41, v6, v41, s[8:9]
	v_cndmask_b32_e64 v40, v4, v40, s[8:9]
	v_add_u32_e32 v7, 0x108, v9
	v_add_u32_e32 v6, 0x210, v9
.LBB58_126:
	v_lshlrev_b32_e32 v5, 4, v5
	s_waitcnt lgkmcnt(0)
	s_barrier
	v_lshlrev_b32_e32 v4, 4, v9
	ds_read_b128 v[46:49], v5 offset:18176
	ds_read_b128 v[50:53], v4
	v_lshlrev_b32_e32 v5, 4, v11
	v_lshlrev_b32_e32 v4, 4, v7
	ds_read_b128 v[54:57], v5 offset:18176
	ds_read_b128 v[58:61], v4
	v_lshlrev_b32_e32 v7, 4, v12
	;; [unrolled: 4-line block ×3, first 2 shown]
	v_lshlrev_b32_e32 v6, 4, v14
	ds_read_b128 v[70:73], v7 offset:18176
	ds_read_b128 v[74:77], v6
	s_waitcnt lgkmcnt(6)
	v_mul_f64 v[4:5], v[48:49], v[52:53]
	v_fma_f64 v[4:5], v[46:47], v[50:51], -v[4:5]
	s_waitcnt lgkmcnt(4)
	v_mul_f64 v[16:17], v[56:57], v[60:61]
	v_add_f64 v[4:5], v[4:5], 0
	v_fma_f64 v[16:17], v[54:55], v[58:59], -v[16:17]
	s_waitcnt lgkmcnt(2)
	v_mul_f64 v[6:7], v[64:65], v[68:69]
	v_add_f64 v[4:5], v[4:5], v[16:17]
	v_fma_f64 v[6:7], v[62:63], v[66:67], -v[6:7]
	v_add_f64 v[4:5], v[4:5], v[6:7]
	s_waitcnt lgkmcnt(0)
	v_mul_f64 v[6:7], v[72:73], v[76:77]
	v_fma_f64 v[6:7], v[70:71], v[74:75], -v[6:7]
	v_add_f64 v[78:79], v[4:5], v[6:7]
	ds_read_b128 v[28:31], v10
	ds_read_b128 v[20:23], v10 offset:16
	ds_read_b128 v[12:15], v10 offset:32
	;; [unrolled: 1-line block ×7, first 2 shown]
	v_mul_f64 v[46:47], v[46:47], v[52:53]
	v_fmac_f64_e32 v[46:47], v[48:49], v[50:51]
	v_mul_f64 v[48:49], v[54:55], v[60:61]
	v_add_f64 v[46:47], v[46:47], 0
	v_fmac_f64_e32 v[48:49], v[56:57], v[58:59]
	v_add_f64 v[46:47], v[46:47], v[48:49]
	v_mul_f64 v[48:49], v[62:63], v[68:69]
	v_fmac_f64_e32 v[48:49], v[64:65], v[66:67]
	v_add_f64 v[46:47], v[46:47], v[48:49]
	v_mul_f64 v[48:49], v[70:71], v[76:77]
	v_fmac_f64_e32 v[48:49], v[72:73], v[74:75]
	v_add_f64 v[80:81], v[46:47], v[48:49]
	s_waitcnt lgkmcnt(0)
	s_barrier
	ds_write_b128 v45, v[78:81]
	s_waitcnt lgkmcnt(0)
	s_barrier
	s_and_saveexec_b64 s[8:9], s[10:11]
	s_cbranch_execz .LBB58_128
; %bb.127:
	v_lshlrev_b32_e32 v62, 4, v44
	ds_read_b128 v[46:49], v62
	ds_read_b128 v[50:53], v62 offset:16
	ds_read_b128 v[54:57], v62 offset:32
	;; [unrolled: 1-line block ×3, first 2 shown]
	s_waitcnt lgkmcnt(3)
	v_add_f64 v[0:1], v[0:1], v[46:47]
	v_add_f64 v[2:3], v[2:3], v[48:49]
	s_waitcnt lgkmcnt(2)
	v_add_f64 v[0:1], v[0:1], v[50:51]
	v_add_f64 v[46:47], v[2:3], v[52:53]
	s_waitcnt lgkmcnt(1)
	v_add_f64 v[48:49], v[0:1], v[54:55]
	ds_read_b128 v[0:3], v62 offset:64
	v_add_f64 v[46:47], v[46:47], v[56:57]
	s_waitcnt lgkmcnt(1)
	v_add_f64 v[50:51], v[48:49], v[58:59]
	v_add_f64 v[54:55], v[46:47], v[60:61]
	ds_read_b128 v[46:49], v62 offset:80
	s_waitcnt lgkmcnt(1)
	v_add_f64 v[56:57], v[50:51], v[0:1]
	ds_read_b128 v[50:53], v62 offset:96
	v_add_f64 v[54:55], v[54:55], v[2:3]
	ds_read_b128 v[0:3], v62 offset:112
	s_waitcnt lgkmcnt(2)
	v_add_f64 v[46:47], v[56:57], v[46:47]
	v_add_f64 v[48:49], v[54:55], v[48:49]
	s_waitcnt lgkmcnt(1)
	v_add_f64 v[46:47], v[46:47], v[50:51]
	v_add_f64 v[48:49], v[48:49], v[52:53]
	;; [unrolled: 3-line block ×3, first 2 shown]
.LBB58_128:
	s_or_b64 exec, exec, s[8:9]
	v_mul_f64 v[46:47], v[30:31], v[34:35]
	v_mul_f64 v[30:31], v[30:31], v[32:33]
	v_fmac_f64_e32 v[46:47], v[28:29], v[32:33]
	v_fma_f64 v[28:29], v[28:29], v[34:35], -v[30:31]
	v_mul_f64 v[32:33], v[22:23], v[26:27]
	v_mul_f64 v[22:23], v[22:23], v[24:25]
	v_add_f64 v[30:31], v[46:47], 0
	v_add_f64 v[28:29], v[28:29], 0
	v_fmac_f64_e32 v[32:33], v[20:21], v[24:25]
	v_fma_f64 v[20:21], v[20:21], v[26:27], -v[22:23]
	v_mul_f64 v[24:25], v[14:15], v[18:19]
	v_mul_f64 v[14:15], v[14:15], v[16:17]
	v_add_f64 v[22:23], v[30:31], v[32:33]
	v_add_f64 v[20:21], v[28:29], v[20:21]
	;; [unrolled: 6-line block ×3, first 2 shown]
	v_fmac_f64_e32 v[16:17], v[4:5], v[8:9]
	v_fma_f64 v[6:7], v[4:5], v[10:11], -v[6:7]
	v_add_f64 v[4:5], v[14:15], v[16:17]
	v_add_f64 v[6:7], v[12:13], v[6:7]
	s_barrier
	ds_write_b128 v45, v[4:7]
	s_waitcnt lgkmcnt(0)
	s_barrier
	s_and_saveexec_b64 s[8:9], s[4:5]
	s_cbranch_execz .LBB58_130
; %bb.129:
	v_lshlrev_b32_e32 v20, 4, v44
	ds_read_b128 v[4:7], v20
	ds_read_b128 v[8:11], v20 offset:16
	ds_read_b128 v[12:15], v20 offset:32
	;; [unrolled: 1-line block ×3, first 2 shown]
	s_waitcnt lgkmcnt(3)
	v_add_f64 v[0:1], v[0:1], v[4:5]
	v_add_f64 v[2:3], v[2:3], v[6:7]
	s_waitcnt lgkmcnt(2)
	v_add_f64 v[0:1], v[0:1], v[8:9]
	v_add_f64 v[4:5], v[2:3], v[10:11]
	s_waitcnt lgkmcnt(1)
	v_add_f64 v[6:7], v[0:1], v[12:13]
	ds_read_b128 v[0:3], v20 offset:64
	v_add_f64 v[4:5], v[4:5], v[14:15]
	s_waitcnt lgkmcnt(1)
	v_add_f64 v[8:9], v[6:7], v[16:17]
	v_add_f64 v[12:13], v[4:5], v[18:19]
	ds_read_b128 v[4:7], v20 offset:80
	s_waitcnt lgkmcnt(1)
	v_add_f64 v[14:15], v[8:9], v[0:1]
	ds_read_b128 v[8:11], v20 offset:96
	v_add_f64 v[12:13], v[12:13], v[2:3]
	ds_read_b128 v[0:3], v20 offset:112
	s_waitcnt lgkmcnt(2)
	v_add_f64 v[4:5], v[14:15], v[4:5]
	v_add_f64 v[6:7], v[12:13], v[6:7]
	s_waitcnt lgkmcnt(1)
	v_add_f64 v[4:5], v[4:5], v[8:9]
	v_add_f64 v[6:7], v[6:7], v[10:11]
	;; [unrolled: 3-line block ×3, first 2 shown]
.LBB58_130:
	s_or_b64 exec, exec, s[8:9]
	s_mul_hi_u32 s4, s21, s20
	s_mul_i32 s42, s42, s20
	s_add_i32 s4, s4, s42
	s_mul_i32 s8, s21, s20
	s_mul_i32 s4, s4, s33
	s_mul_hi_u32 s5, s8, s33
	s_add_i32 s5, s5, s4
	s_mul_i32 s4, s8, s33
	s_lshl_b64 s[4:5], s[4:5], 4
	s_add_u32 s8, s22, s4
	s_mul_i32 s4, s6, s21
	s_addc_u32 s9, s23, s5
	s_ashr_i32 s5, s4, 31
	s_lshl_b64 s[4:5], s[4:5], 4
	s_add_u32 s16, s8, s4
	v_cmp_le_i32_e32 vcc, s24, v42
	s_addc_u32 s17, s9, s5
	s_and_b64 vcc, s[34:35], vcc
	s_cmp_lt_i32 s6, 1
	v_lshlrev_b32_e32 v154, 4, v42
	s_barrier
	s_cbranch_scc1 .LBB58_137
; %bb.131:
	s_mul_i32 s4, s26, s7
	s_ashr_i32 s5, s4, 31
	s_lshl_b64 s[4:5], s[4:5], 4
	v_mov_b32_e32 v4, s5
	v_subrev_co_u32_e64 v155, s[4:5], s4, v36
	v_subb_co_u32_e64 v156, s[4:5], v37, v4, s[4:5]
	v_mov_b32_e32 v4, s31
	v_subrev_co_u32_e64 v5, s[4:5], s30, v40
	v_subb_co_u32_e64 v4, s[4:5], v41, v4, s[4:5]
	v_sub_co_u32_e64 v7, s[4:5], v5, v38
	v_subb_co_u32_e64 v8, s[4:5], v4, v39, s[4:5]
	v_mul_lo_u32 v4, v149, s28
	v_lshl_add_u32 v4, v4, 2, v42
	v_ashrrev_i32_e32 v5, 31, v4
	v_lshlrev_b64 v[4:5], 4, v[4:5]
	v_add_co_u32_e64 v4, s[4:5], v7, v4
	v_addc_co_u32_e64 v5, s[4:5], v8, v5, s[4:5]
	s_movk_i32 s4, 0xfe00
	v_add_co_u32_e64 v4, s[4:5], s4, v4
	v_addc_co_u32_e64 v5, s[4:5], -1, v5, s[4:5]
	v_sub_co_u32_e64 v7, s[4:5], v4, v154
	v_subbrev_co_u32_e64 v8, s[4:5], 0, v5, s[4:5]
	s_ashr_i32 s25, s24, 31
	s_lshl_b64 s[4:5], s[24:25], 4
	v_mov_b32_e32 v9, s5
	v_add_co_u32_e64 v7, s[4:5], s4, v7
	v_addc_co_u32_e64 v8, s[4:5], v8, v9, s[4:5]
	v_add_co_u32_e64 v7, s[4:5], -16, v7
	v_addc_co_u32_e64 v8, s[4:5], -1, v8, s[4:5]
	v_cndmask_b32_e32 v9, v5, v8, vcc
	v_cndmask_b32_e32 v8, v4, v7, vcc
	v_and_b32_e32 v4, 48, v42
	v_and_b32_e32 v6, 15, v42
	v_lshlrev_b32_e32 v5, 4, v4
	s_movk_i32 s8, 0x430
	v_mad_u32_u24 v159, v6, s8, v5
	v_or_b32_e32 v5, 0xf0, v154
	v_mad_u32_u24 v160, v6, s8, v5
	v_lshlrev_b32_e32 v5, 2, v43
	v_and_b32_e32 v5, 0x7ffc0, v5
	v_mad_u32_u24 v161, v6, s8, v5
	s_ashr_i32 s29, s28, 31
	v_mov_b32_e32 v5, 0x4300
	v_lshl_add_u32 v162, v149, 6, v5
	s_movk_i32 s9, 0x10c0
	v_and_b32_e32 v5, 0x1fff0, v43
	s_lshl_b64 s[10:11], s[28:29], 4
	s_mul_hi_i32 s18, s28, 0xd0
	v_mov_b32_e32 v151, 0
	s_lshl_b32 s7, s7, 6
	v_add_u32_e32 v157, 0x4300, v154
	v_add_u32_e32 v158, 0x4700, v154
	v_cmp_gt_u32_e64 s[4:5], 64, v43
	v_mad_u32_u24 v163, v149, s9, v154
	v_mad_u32_u24 v164, v6, s8, v5
	s_mul_i32 s19, s28, 0xd0
	v_or_b32_e32 v150, v4, v6
	s_mov_b32 s12, 0
	v_mov_b32_e32 v165, s11
	v_mov_b32_e32 v166, s18
	s_branch .LBB58_133
.LBB58_132:                             ;   in Loop: Header=BB58_133 Depth=1
	s_or_b64 exec, exec, s[14:15]
	v_mul_f64 v[132:133], v[6:7], v[22:23]
	v_fma_f64 v[132:133], v[4:5], v[20:21], -v[132:133]
	v_mul_f64 v[4:5], v[4:5], v[22:23]
	v_mul_f64 v[22:23], v[10:11], v[42:43]
	v_add_f64 v[0:1], v[0:1], v[132:133]
	v_fma_f64 v[22:23], v[8:9], v[40:41], -v[22:23]
	v_add_f64 v[0:1], v[0:1], v[22:23]
	v_mul_f64 v[22:23], v[14:15], v[46:47]
	v_fma_f64 v[22:23], v[12:13], v[44:45], -v[22:23]
	v_add_f64 v[0:1], v[0:1], v[22:23]
	v_mul_f64 v[22:23], v[18:19], v[50:51]
	v_fmac_f64_e32 v[4:5], v[6:7], v[20:21]
	v_fma_f64 v[22:23], v[16:17], v[48:49], -v[22:23]
	v_add_f64 v[2:3], v[2:3], v[4:5]
	v_mul_f64 v[4:5], v[26:27], v[70:71]
	v_add_f64 v[0:1], v[0:1], v[22:23]
	v_fma_f64 v[4:5], v[24:25], v[68:69], -v[4:5]
	v_add_f64 v[0:1], v[0:1], v[4:5]
	v_mul_f64 v[4:5], v[34:35], v[82:83]
	v_fma_f64 v[4:5], v[32:33], v[80:81], -v[4:5]
	v_add_f64 v[0:1], v[0:1], v[4:5]
	v_mul_f64 v[4:5], v[30:31], v[78:79]
	;; [unrolled: 3-line block ×4, first 2 shown]
	v_mul_f64 v[8:9], v[8:9], v[42:43]
	v_fma_f64 v[4:5], v[52:53], v[100:101], -v[4:5]
	v_mul_f64 v[12:13], v[12:13], v[46:47]
	v_fmac_f64_e32 v[8:9], v[10:11], v[40:41]
	v_add_f64 v[0:1], v[0:1], v[4:5]
	v_mul_f64 v[4:5], v[62:63], v[118:119]
	v_mul_f64 v[16:17], v[16:17], v[50:51]
	v_add_f64 v[2:3], v[2:3], v[8:9]
	v_fmac_f64_e32 v[12:13], v[14:15], v[44:45]
	v_fma_f64 v[4:5], v[60:61], v[116:117], -v[4:5]
	v_add_f64 v[2:3], v[2:3], v[12:13]
	v_fmac_f64_e32 v[16:17], v[18:19], v[48:49]
	v_mul_f64 v[6:7], v[24:25], v[70:71]
	v_add_f64 v[0:1], v[0:1], v[4:5]
	v_mul_f64 v[4:5], v[58:59], v[114:115]
	v_add_f64 v[2:3], v[2:3], v[16:17]
	v_mul_f64 v[8:9], v[32:33], v[82:83]
	v_fmac_f64_e32 v[6:7], v[26:27], v[68:69]
	v_fma_f64 v[4:5], v[56:57], v[112:113], -v[4:5]
	v_mul_f64 v[10:11], v[28:29], v[78:79]
	v_add_f64 v[2:3], v[2:3], v[6:7]
	v_fmac_f64_e32 v[8:9], v[34:35], v[80:81]
	v_add_f64 v[0:1], v[0:1], v[4:5]
	v_mul_f64 v[4:5], v[66:67], v[110:111]
	v_mul_f64 v[12:13], v[36:37], v[74:75]
	v_add_f64 v[2:3], v[2:3], v[8:9]
	v_fmac_f64_e32 v[10:11], v[30:31], v[76:77]
	v_fma_f64 v[4:5], v[64:65], v[108:109], -v[4:5]
	v_add_f64 v[2:3], v[2:3], v[10:11]
	v_fmac_f64_e32 v[12:13], v[38:39], v[72:73]
	v_mul_f64 v[6:7], v[52:53], v[102:103]
	v_add_f64 v[0:1], v[0:1], v[4:5]
	v_mul_f64 v[4:5], v[90:91], v[106:107]
	v_add_f64 v[2:3], v[2:3], v[12:13]
	v_mul_f64 v[8:9], v[60:61], v[118:119]
	v_fmac_f64_e32 v[6:7], v[54:55], v[100:101]
	v_fma_f64 v[4:5], v[88:89], v[104:105], -v[4:5]
	v_mul_f64 v[10:11], v[56:57], v[114:115]
	v_add_f64 v[2:3], v[2:3], v[6:7]
	v_fmac_f64_e32 v[8:9], v[62:63], v[116:117]
	v_add_f64 v[0:1], v[0:1], v[4:5]
	v_mul_f64 v[4:5], v[94:95], v[122:123]
	v_mul_f64 v[12:13], v[64:65], v[110:111]
	v_add_f64 v[2:3], v[2:3], v[8:9]
	v_fmac_f64_e32 v[10:11], v[58:59], v[112:113]
	v_fma_f64 v[4:5], v[92:93], v[120:121], -v[4:5]
	v_add_f64 v[2:3], v[2:3], v[10:11]
	v_fmac_f64_e32 v[12:13], v[66:67], v[108:109]
	v_mul_f64 v[6:7], v[88:89], v[106:107]
	v_add_f64 v[0:1], v[0:1], v[4:5]
	v_mul_f64 v[4:5], v[86:87], v[126:127]
	v_add_f64 v[2:3], v[2:3], v[12:13]
	v_mul_f64 v[8:9], v[92:93], v[122:123]
	v_fma_f64 v[4:5], v[84:85], v[124:125], -v[4:5]
	v_fmac_f64_e32 v[6:7], v[90:91], v[104:105]
	v_mul_f64 v[10:11], v[84:85], v[126:127]
	v_add_f64 v[0:1], v[0:1], v[4:5]
	v_mul_f64 v[4:5], v[98:99], v[130:131]
	v_fmac_f64_e32 v[8:9], v[94:95], v[120:121]
	v_add_f64 v[2:3], v[2:3], v[6:7]
	v_fma_f64 v[4:5], v[96:97], v[128:129], -v[4:5]
	v_mul_f64 v[12:13], v[96:97], v[130:131]
	v_fmac_f64_e32 v[10:11], v[86:87], v[124:125]
	v_add_f64 v[2:3], v[2:3], v[8:9]
	v_add_f64 v[0:1], v[0:1], v[4:5]
	v_fmac_f64_e32 v[12:13], v[98:99], v[128:129]
	v_add_f64 v[2:3], v[2:3], v[10:11]
	s_add_i32 s6, s6, -1
	s_add_i32 s12, s12, s7
	v_mov_b32_e32 v4, s18
	v_add_co_u32_e64 v8, s[8:9], s19, v152
	v_add_f64 v[2:3], v[2:3], v[12:13]
	v_add_u32_e32 v150, 64, v150
	s_cmp_eq_u32 s6, 0
	v_addc_co_u32_e64 v9, s[8:9], v153, v4, s[8:9]
	s_barrier
	s_cbranch_scc1 .LBB58_137
.LBB58_133:                             ; =>This Inner Loop Header: Depth=1
	s_and_saveexec_b64 s[14:15], s[2:3]
	s_cbranch_execz .LBB58_135
; %bb.134:                              ;   in Loop: Header=BB58_133 Depth=1
	s_ashr_i32 s13, s12, 31
	s_lshl_b64 s[8:9], s[12:13], 4
	v_mov_b32_e32 v5, s9
	v_add_co_u32_e64 v4, s[8:9], s8, v155
	v_addc_co_u32_e64 v5, s[8:9], v156, v5, s[8:9]
	flat_load_dwordx4 v[4:7], v[4:5]
	s_waitcnt vmcnt(0) lgkmcnt(0)
	ds_write2_b64 v157, v[4:5], v[6:7] offset1:1
.LBB58_135:                             ;   in Loop: Header=BB58_133 Depth=1
	s_or_b64 exec, exec, s[14:15]
	v_add_co_u32_e64 v12, s[8:9], s10, v8
	v_addc_co_u32_e64 v13, s[8:9], v9, v165, s[8:9]
	v_add_co_u32_e64 v16, s[8:9], s10, v12
	s_waitcnt lgkmcnt(0)
	s_barrier
	flat_load_dwordx4 v[4:7], v[8:9]
	v_addc_co_u32_e64 v17, s[8:9], v13, v165, s[8:9]
	flat_load_dwordx4 v[8:11], v[12:13]
	v_add_co_u32_e64 v28, s[8:9], s10, v16
	flat_load_dwordx4 v[12:15], v[16:17]
	v_addc_co_u32_e64 v29, s[8:9], v17, v165, s[8:9]
	flat_load_dwordx4 v[16:19], v[28:29]
	ds_read_b128 v[24:27], v158
	ds_read_b128 v[20:23], v162
	v_add_co_u32_e64 v36, s[8:9], s19, v28
	v_addc_co_u32_e64 v37, s[8:9], v29, v166, s[8:9]
	v_add_co_u32_e64 v38, s[8:9], s10, v36
	v_addc_co_u32_e64 v39, s[8:9], v37, v165, s[8:9]
	;; [unrolled: 2-line block ×3, first 2 shown]
	s_waitcnt vmcnt(0) lgkmcnt(0)
	v_mul_f64 v[28:29], v[6:7], v[26:27]
	v_mul_f64 v[30:31], v[6:7], v[24:25]
	v_fmac_f64_e32 v[28:29], v[4:5], v[24:25]
	v_fma_f64 v[30:31], v[4:5], v[26:27], -v[30:31]
	v_mul_f64 v[32:33], v[10:11], v[26:27]
	v_mul_f64 v[34:35], v[10:11], v[24:25]
	ds_write_b128 v163, v[28:31]
	v_fmac_f64_e32 v[32:33], v[8:9], v[24:25]
	v_fma_f64 v[34:35], v[8:9], v[26:27], -v[34:35]
	v_mul_f64 v[28:29], v[14:15], v[26:27]
	v_mul_f64 v[30:31], v[14:15], v[24:25]
	ds_read_b128 v[40:43], v162 offset:16
	ds_write_b128 v163, v[32:35] offset:1072
	v_fmac_f64_e32 v[28:29], v[12:13], v[24:25]
	v_fma_f64 v[30:31], v[12:13], v[26:27], -v[30:31]
	v_mul_f64 v[32:33], v[18:19], v[26:27]
	v_mul_f64 v[34:35], v[18:19], v[24:25]
	ds_read_b128 v[44:47], v162 offset:32
	ds_write_b128 v163, v[28:31] offset:2144
	v_fmac_f64_e32 v[32:33], v[16:17], v[24:25]
	v_fma_f64 v[34:35], v[16:17], v[26:27], -v[34:35]
	ds_read_b128 v[48:51], v162 offset:48
	ds_write_b128 v163, v[32:35] offset:3216
	s_waitcnt lgkmcnt(0)
	s_barrier
	ds_read_b128 v[128:131], v161
	ds_read_b128 v[124:127], v161 offset:16
	ds_read_b128 v[120:123], v161 offset:32
	;; [unrolled: 1-line block ×3, first 2 shown]
	s_waitcnt lgkmcnt(0)
	s_barrier
	flat_load_dwordx4 v[24:27], v[36:37]
	flat_load_dwordx4 v[32:35], v[38:39]
	;; [unrolled: 1-line block ×3, first 2 shown]
	v_add_co_u32_e64 v52, s[8:9], s10, v52
	v_addc_co_u32_e64 v53, s[8:9], v53, v165, s[8:9]
	flat_load_dwordx4 v[36:39], v[52:53]
	v_add_co_u32_e64 v88, s[8:9], s19, v52
	v_addc_co_u32_e64 v89, s[8:9], v53, v166, s[8:9]
	ds_read_b128 v[52:55], v158
	ds_read_b128 v[68:71], v162 offset:256
	v_add_co_u32_e64 v90, s[8:9], s10, v88
	v_addc_co_u32_e64 v91, s[8:9], v89, v165, s[8:9]
	v_add_co_u32_e64 v92, s[8:9], s10, v90
	v_addc_co_u32_e64 v93, s[8:9], v91, v165, s[8:9]
	v_add_f64 v[128:129], v[128:129], 0
	v_add_f64 v[130:131], v[130:131], 0
	;; [unrolled: 1-line block ×6, first 2 shown]
	s_waitcnt vmcnt(0) lgkmcnt(0)
	v_mul_f64 v[56:57], v[26:27], v[54:55]
	v_mul_f64 v[58:59], v[26:27], v[52:53]
	;; [unrolled: 1-line block ×4, first 2 shown]
	v_fmac_f64_e32 v[56:57], v[24:25], v[52:53]
	v_fma_f64 v[58:59], v[24:25], v[54:55], -v[58:59]
	v_mul_f64 v[64:65], v[30:31], v[54:55]
	v_mul_f64 v[66:67], v[30:31], v[52:53]
	v_fmac_f64_e32 v[60:61], v[32:33], v[52:53]
	v_fma_f64 v[62:63], v[32:33], v[54:55], -v[62:63]
	ds_write_b128 v163, v[56:59]
	v_mul_f64 v[84:85], v[38:39], v[54:55]
	v_mul_f64 v[72:73], v[38:39], v[52:53]
	v_fmac_f64_e32 v[64:65], v[28:29], v[52:53]
	v_fma_f64 v[66:67], v[28:29], v[54:55], -v[66:67]
	ds_read_b128 v[80:83], v162 offset:272
	ds_write_b128 v163, v[60:63] offset:1072
	v_fmac_f64_e32 v[84:85], v[36:37], v[52:53]
	v_fma_f64 v[86:87], v[36:37], v[54:55], -v[72:73]
	ds_read_b128 v[76:79], v162 offset:288
	ds_write_b128 v163, v[64:67] offset:2144
	ds_read_b128 v[72:75], v162 offset:304
	ds_write_b128 v163, v[84:87] offset:3216
	v_add_co_u32_e64 v84, s[8:9], s10, v92
	s_waitcnt lgkmcnt(0)
	s_barrier
	ds_read_b128 v[144:147], v161
	ds_read_b128 v[140:143], v161 offset:16
	ds_read_b128 v[136:139], v161 offset:32
	;; [unrolled: 1-line block ×3, first 2 shown]
	s_waitcnt lgkmcnt(0)
	s_barrier
	flat_load_dwordx4 v[52:55], v[88:89]
	flat_load_dwordx4 v[60:63], v[90:91]
	;; [unrolled: 1-line block ×3, first 2 shown]
	v_addc_co_u32_e64 v85, s[8:9], v93, v165, s[8:9]
	flat_load_dwordx4 v[64:67], v[84:85]
	v_add_co_u32_e64 v152, s[8:9], s19, v84
	v_addc_co_u32_e64 v153, s[8:9], v85, v166, s[8:9]
	ds_read_b128 v[84:87], v158
	ds_read_b128 v[100:103], v162 offset:512
	v_add_co_u32_e64 v184, s[8:9], s10, v152
	v_addc_co_u32_e64 v185, s[8:9], v153, v165, s[8:9]
	v_add_co_u32_e64 v186, s[8:9], s10, v184
	v_addc_co_u32_e64 v187, s[8:9], v185, v165, s[8:9]
	s_waitcnt vmcnt(0) lgkmcnt(0)
	v_mul_f64 v[88:89], v[54:55], v[86:87]
	v_mul_f64 v[90:91], v[54:55], v[84:85]
	;; [unrolled: 1-line block ×4, first 2 shown]
	v_fmac_f64_e32 v[88:89], v[52:53], v[84:85]
	v_fma_f64 v[90:91], v[52:53], v[86:87], -v[90:91]
	v_mul_f64 v[96:97], v[58:59], v[86:87]
	v_mul_f64 v[98:99], v[58:59], v[84:85]
	v_fmac_f64_e32 v[92:93], v[60:61], v[84:85]
	v_fma_f64 v[94:95], v[60:61], v[86:87], -v[94:95]
	ds_write_b128 v163, v[88:91]
	v_mul_f64 v[168:169], v[66:67], v[86:87]
	v_mul_f64 v[108:109], v[66:67], v[84:85]
	v_fmac_f64_e32 v[96:97], v[56:57], v[84:85]
	v_fma_f64 v[98:99], v[56:57], v[86:87], -v[98:99]
	ds_read_b128 v[116:119], v162 offset:528
	ds_write_b128 v163, v[92:95] offset:1072
	v_fmac_f64_e32 v[168:169], v[64:65], v[84:85]
	v_fma_f64 v[170:171], v[64:65], v[86:87], -v[108:109]
	ds_read_b128 v[112:115], v162 offset:544
	ds_write_b128 v163, v[96:99] offset:2144
	ds_read_b128 v[108:111], v162 offset:560
	ds_write_b128 v163, v[168:171] offset:3216
	s_waitcnt lgkmcnt(0)
	s_barrier
	ds_read_b128 v[168:171], v161
	ds_read_b128 v[172:175], v161 offset:16
	ds_read_b128 v[176:179], v161 offset:32
	;; [unrolled: 1-line block ×3, first 2 shown]
	s_waitcnt lgkmcnt(0)
	s_barrier
	flat_load_dwordx4 v[88:91], v[152:153]
	flat_load_dwordx4 v[92:95], v[184:185]
	;; [unrolled: 1-line block ×3, first 2 shown]
	v_add_co_u32_e64 v152, s[8:9], s10, v186
	v_addc_co_u32_e64 v153, s[8:9], v187, v165, s[8:9]
	flat_load_dwordx4 v[96:99], v[152:153]
	v_add_f64 v[184:185], v[120:121], v[104:105]
	v_add_f64 v[186:187], v[122:123], v[106:107]
	;; [unrolled: 1-line block ×10, first 2 shown]
	ds_read_b128 v[120:123], v158
	ds_read_b128 v[104:107], v162 offset:768
	v_add_f64 v[124:125], v[168:169], 0
	v_add_f64 v[126:127], v[170:171], 0
	;; [unrolled: 1-line block ×8, first 2 shown]
	s_waitcnt vmcnt(0) lgkmcnt(0)
	v_mul_f64 v[124:125], v[90:91], v[122:123]
	v_mul_f64 v[126:127], v[90:91], v[120:121]
	;; [unrolled: 1-line block ×4, first 2 shown]
	v_fma_f64 v[126:127], v[88:89], v[122:123], -v[126:127]
	v_fmac_f64_e32 v[124:125], v[88:89], v[120:121]
	v_mul_f64 v[140:141], v[86:87], v[122:123]
	v_mul_f64 v[142:143], v[86:87], v[120:121]
	;; [unrolled: 1-line block ×4, first 2 shown]
	v_fma_f64 v[130:131], v[92:93], v[122:123], -v[130:131]
	v_fmac_f64_e32 v[128:129], v[92:93], v[120:121]
	ds_write_b128 v163, v[124:127]
	v_fma_f64 v[142:143], v[84:85], v[122:123], -v[142:143]
	v_fma_f64 v[146:147], v[96:97], v[122:123], -v[146:147]
	v_fmac_f64_e32 v[140:141], v[84:85], v[120:121]
	v_fmac_f64_e32 v[144:145], v[96:97], v[120:121]
	ds_read_b128 v[120:123], v162 offset:784
	ds_write_b128 v163, v[128:131] offset:1072
	ds_read_b128 v[124:127], v162 offset:800
	ds_write_b128 v163, v[140:143] offset:2144
	;; [unrolled: 2-line block ×3, first 2 shown]
	s_waitcnt lgkmcnt(0)
	s_barrier
	ds_read_b128 v[140:143], v161
	ds_read_b128 v[144:147], v161 offset:16
	ds_read_b128 v[168:171], v161 offset:32
	;; [unrolled: 1-line block ×3, first 2 shown]
	s_waitcnt lgkmcnt(0)
	s_barrier
	ds_write_b128 v164, v[184:187]
	ds_write_b128 v164, v[132:135] offset:256
	ds_write_b128 v164, v[136:139] offset:512
	v_add_f64 v[132:133], v[140:141], 0
	v_add_f64 v[134:135], v[142:143], 0
	;; [unrolled: 1-line block ×8, first 2 shown]
	ds_write_b128 v164, v[132:135] offset:768
	s_waitcnt lgkmcnt(0)
	s_barrier
	s_and_saveexec_b64 s[14:15], s[4:5]
	s_cbranch_execz .LBB58_132
; %bb.136:                              ;   in Loop: Header=BB58_133 Depth=1
	ds_read_b128 v[132:135], v159
	ds_read_b128 v[136:139], v159 offset:16
	ds_read_b128 v[140:143], v159 offset:32
	;; [unrolled: 1-line block ×3, first 2 shown]
	s_waitcnt lgkmcnt(2)
	v_add_f64 v[132:133], v[136:137], v[132:133]
	v_add_f64 v[136:137], v[138:139], v[134:135]
	s_waitcnt lgkmcnt(1)
	v_add_f64 v[138:139], v[132:133], v[140:141]
	ds_read_b128 v[132:135], v159 offset:64
	v_add_f64 v[140:141], v[136:137], v[142:143]
	s_waitcnt lgkmcnt(1)
	v_add_f64 v[142:143], v[138:139], v[144:145]
	ds_read_b128 v[136:139], v159 offset:80
	;; [unrolled: 4-line block ×9, first 2 shown]
	v_add_f64 v[134:135], v[144:145], v[134:135]
	s_waitcnt lgkmcnt(1)
	v_add_f64 v[136:137], v[132:133], v[136:137]
	v_add_f64 v[144:145], v[134:135], v[138:139]
	ds_read_b128 v[132:135], v159 offset:208
	s_waitcnt lgkmcnt(1)
	v_add_f64 v[146:147], v[136:137], v[140:141]
	ds_read_b128 v[136:139], v159 offset:224
	v_add_f64 v[144:145], v[144:145], v[142:143]
	ds_read_b128 v[140:143], v160
	s_waitcnt lgkmcnt(2)
	v_add_f64 v[132:133], v[146:147], v[132:133]
	v_add_f64 v[134:135], v[144:145], v[134:135]
	s_waitcnt lgkmcnt(1)
	v_add_f64 v[132:133], v[132:133], v[136:137]
	v_lshlrev_b64 v[136:137], 4, v[150:151]
	v_add_f64 v[134:135], v[134:135], v[138:139]
	v_mov_b32_e32 v138, s17
	v_add_co_u32_e64 v136, s[8:9], s16, v136
	s_waitcnt lgkmcnt(0)
	v_add_f64 v[132:133], v[132:133], v[140:141]
	v_add_f64 v[134:135], v[134:135], v[142:143]
	v_addc_co_u32_e64 v137, s[8:9], v138, v137, s[8:9]
	global_store_dwordx4 v[136:137], v[132:135], off
	s_branch .LBB58_132
.LBB58_137:
	s_movk_i32 s2, 0x430
	s_or_b64 s[0:1], s[0:1], vcc
	v_mad_u32_u24 v4, v149, s2, v154
	s_xor_b64 s[0:1], s[0:1], -1
	ds_write_b128 v4, v[0:3]
	s_waitcnt lgkmcnt(0)
	s_barrier
	s_and_saveexec_b64 s[2:3], s[0:1]
	s_cbranch_execz .LBB58_139
; %bb.138:
	ds_read_b128 v[0:3], v154 offset:1072
	ds_read_b128 v[4:7], v154
	ds_read_b128 v[8:11], v154 offset:2144
	ds_read_b128 v[12:15], v154 offset:3216
	v_ashrrev_i32_e32 v149, 31, v148
	s_waitcnt lgkmcnt(2)
	v_add_f64 v[0:1], v[0:1], v[4:5]
	v_add_f64 v[2:3], v[2:3], v[6:7]
	v_lshlrev_b64 v[4:5], 4, v[148:149]
	s_waitcnt lgkmcnt(1)
	v_add_f64 v[0:1], v[0:1], v[8:9]
	v_add_f64 v[2:3], v[2:3], v[10:11]
	v_mov_b32_e32 v6, s17
	v_add_co_u32_e32 v4, vcc, s16, v4
	s_waitcnt lgkmcnt(0)
	v_add_f64 v[0:1], v[0:1], v[12:13]
	v_add_f64 v[2:3], v[2:3], v[14:15]
	v_addc_co_u32_e32 v5, vcc, v6, v5, vcc
	global_store_dwordx4 v[4:5], v[0:3], off
.LBB58_139:
	s_endpgm
	.section	.rodata,"a",@progbits
	.p2align	6, 0x0
	.amdhsa_kernel _ZL26rocblas_hemvn_kernel_lowerILb1ELi64ELi4ELi33ELi32ELi16EiPK19rocblas_complex_numIdEPKS3_PS1_EviT6_lT7_lT5_lS8_lS9_lS7_lT8_i
		.amdhsa_group_segment_fixed_size 19200
		.amdhsa_private_segment_fixed_size 0
		.amdhsa_kernarg_size 376
		.amdhsa_user_sgpr_count 6
		.amdhsa_user_sgpr_private_segment_buffer 1
		.amdhsa_user_sgpr_dispatch_ptr 0
		.amdhsa_user_sgpr_queue_ptr 0
		.amdhsa_user_sgpr_kernarg_segment_ptr 1
		.amdhsa_user_sgpr_dispatch_id 0
		.amdhsa_user_sgpr_flat_scratch_init 0
		.amdhsa_user_sgpr_kernarg_preload_length 0
		.amdhsa_user_sgpr_kernarg_preload_offset 0
		.amdhsa_user_sgpr_private_segment_size 0
		.amdhsa_uses_dynamic_stack 0
		.amdhsa_system_sgpr_private_segment_wavefront_offset 0
		.amdhsa_system_sgpr_workgroup_id_x 1
		.amdhsa_system_sgpr_workgroup_id_y 0
		.amdhsa_system_sgpr_workgroup_id_z 1
		.amdhsa_system_sgpr_workgroup_info 0
		.amdhsa_system_vgpr_workitem_id 1
		.amdhsa_next_free_vgpr 188
		.amdhsa_next_free_sgpr 46
		.amdhsa_accum_offset 188
		.amdhsa_reserve_vcc 1
		.amdhsa_reserve_flat_scratch 0
		.amdhsa_float_round_mode_32 0
		.amdhsa_float_round_mode_16_64 0
		.amdhsa_float_denorm_mode_32 3
		.amdhsa_float_denorm_mode_16_64 3
		.amdhsa_dx10_clamp 1
		.amdhsa_ieee_mode 1
		.amdhsa_fp16_overflow 0
		.amdhsa_tg_split 0
		.amdhsa_exception_fp_ieee_invalid_op 0
		.amdhsa_exception_fp_denorm_src 0
		.amdhsa_exception_fp_ieee_div_zero 0
		.amdhsa_exception_fp_ieee_overflow 0
		.amdhsa_exception_fp_ieee_underflow 0
		.amdhsa_exception_fp_ieee_inexact 0
		.amdhsa_exception_int_div_zero 0
	.end_amdhsa_kernel
	.section	.text._ZL26rocblas_hemvn_kernel_lowerILb1ELi64ELi4ELi33ELi32ELi16EiPK19rocblas_complex_numIdEPKS3_PS1_EviT6_lT7_lT5_lS8_lS9_lS7_lT8_i,"axG",@progbits,_ZL26rocblas_hemvn_kernel_lowerILb1ELi64ELi4ELi33ELi32ELi16EiPK19rocblas_complex_numIdEPKS3_PS1_EviT6_lT7_lT5_lS8_lS9_lS7_lT8_i,comdat
.Lfunc_end58:
	.size	_ZL26rocblas_hemvn_kernel_lowerILb1ELi64ELi4ELi33ELi32ELi16EiPK19rocblas_complex_numIdEPKS3_PS1_EviT6_lT7_lT5_lS8_lS9_lS7_lT8_i, .Lfunc_end58-_ZL26rocblas_hemvn_kernel_lowerILb1ELi64ELi4ELi33ELi32ELi16EiPK19rocblas_complex_numIdEPKS3_PS1_EviT6_lT7_lT5_lS8_lS9_lS7_lT8_i
                                        ; -- End function
	.section	.AMDGPU.csdata,"",@progbits
; Kernel info:
; codeLenInByte = 9776
; NumSgprs: 50
; NumVgprs: 188
; NumAgprs: 0
; TotalNumVgprs: 188
; ScratchSize: 0
; MemoryBound: 0
; FloatMode: 240
; IeeeMode: 1
; LDSByteSize: 19200 bytes/workgroup (compile time only)
; SGPRBlocks: 6
; VGPRBlocks: 23
; NumSGPRsForWavesPerEU: 50
; NumVGPRsForWavesPerEU: 188
; AccumOffset: 188
; Occupancy: 2
; WaveLimiterHint : 1
; COMPUTE_PGM_RSRC2:SCRATCH_EN: 0
; COMPUTE_PGM_RSRC2:USER_SGPR: 6
; COMPUTE_PGM_RSRC2:TRAP_HANDLER: 0
; COMPUTE_PGM_RSRC2:TGID_X_EN: 1
; COMPUTE_PGM_RSRC2:TGID_Y_EN: 0
; COMPUTE_PGM_RSRC2:TGID_Z_EN: 1
; COMPUTE_PGM_RSRC2:TIDIG_COMP_CNT: 1
; COMPUTE_PGM_RSRC3_GFX90A:ACCUM_OFFSET: 46
; COMPUTE_PGM_RSRC3_GFX90A:TG_SPLIT: 0
	.section	.text._ZL36rocblas_hemvn_kernel_lower_block_sumILi64EiPK19rocblas_complex_numIdEPKPS1_S1_EviT1_lS7_lT2_lT0_lPT3_i,"axG",@progbits,_ZL36rocblas_hemvn_kernel_lower_block_sumILi64EiPK19rocblas_complex_numIdEPKPS1_S1_EviT1_lS7_lT2_lT0_lPT3_i,comdat
	.globl	_ZL36rocblas_hemvn_kernel_lower_block_sumILi64EiPK19rocblas_complex_numIdEPKPS1_S1_EviT1_lS7_lT2_lT0_lPT3_i ; -- Begin function _ZL36rocblas_hemvn_kernel_lower_block_sumILi64EiPK19rocblas_complex_numIdEPKPS1_S1_EviT1_lS7_lT2_lT0_lPT3_i
	.p2align	8
	.type	_ZL36rocblas_hemvn_kernel_lower_block_sumILi64EiPK19rocblas_complex_numIdEPKPS1_S1_EviT1_lS7_lT2_lT0_lPT3_i,@function
_ZL36rocblas_hemvn_kernel_lower_block_sumILi64EiPK19rocblas_complex_numIdEPKPS1_S1_EviT1_lS7_lT2_lT0_lPT3_i: ; @_ZL36rocblas_hemvn_kernel_lower_block_sumILi64EiPK19rocblas_complex_numIdEPKPS1_S1_EviT1_lS7_lT2_lT0_lPT3_i
; %bb.0:
	s_load_dwordx8 s[20:27], s[4:5], 0x8
	s_mov_b32 s16, s7
	s_waitcnt lgkmcnt(0)
	s_mul_i32 s0, s7, s23
	s_mul_hi_u32 s1, s7, s22
	s_add_i32 s1, s1, s0
	s_mul_i32 s0, s7, s22
	s_lshl_b64 s[0:1], s[0:1], 4
	s_add_u32 s0, s20, s0
	s_addc_u32 s1, s21, s1
	s_load_dwordx4 s[12:15], s[0:1], 0x0
	s_mul_i32 s0, s7, s27
	s_mul_hi_u32 s1, s7, s26
	s_add_i32 s1, s1, s0
	s_mul_i32 s0, s7, s26
	s_lshl_b64 s[0:1], s[0:1], 4
	s_add_u32 s0, s24, s0
	s_addc_u32 s1, s25, s1
	s_load_dwordx4 s[8:11], s[0:1], 0x0
	s_waitcnt lgkmcnt(0)
	v_cmp_neq_f64_e64 s[0:1], s[12:13], 0
	v_cmp_neq_f64_e64 s[2:3], s[14:15], 0
	s_or_b64 s[0:1], s[0:1], s[2:3]
	s_mov_b64 s[2:3], -1
	s_and_b64 vcc, exec, s[0:1]
	s_cbranch_vccnz .LBB59_2
; %bb.1:
	v_cmp_neq_f64_e64 s[2:3], s[8:9], 1.0
	v_cmp_neq_f64_e64 s[18:19], s[10:11], 0
	s_or_b64 s[2:3], s[2:3], s[18:19]
.LBB59_2:
	s_andn2_b64 vcc, exec, s[2:3]
	s_cbranch_vccnz .LBB59_22
; %bb.3:
	s_load_dwordx4 s[20:23], s[4:5], 0x28
	s_load_dword s24, s[4:5], 0x38
	s_load_dword s18, s[4:5], 0x0
	s_mov_b32 s17, 0
	s_lshl_b64 s[2:3], s[16:17], 3
	s_xor_b64 s[0:1], s[0:1], -1
	s_waitcnt lgkmcnt(0)
	s_add_u32 s2, s20, s2
	s_addc_u32 s3, s21, s3
	s_load_dwordx2 s[2:3], s[2:3], 0x0
	s_lshl_b64 s[20:21], s[22:23], 4
	v_lshl_or_b32 v8, s6, 6, v0
	s_waitcnt lgkmcnt(0)
	s_add_u32 s7, s2, s20
	s_addc_u32 s17, s3, s21
	s_andn2_b64 vcc, exec, s[0:1]
	v_cmp_gt_i32_e64 s[0:1], s18, v8
	s_cbranch_vccnz .LBB59_8
; %bb.4:
	s_mov_b64 s[20:21], 0
	s_mov_b64 s[2:3], 0
                                        ; implicit-def: $vgpr2_vgpr3
                                        ; implicit-def: $vgpr4_vgpr5
	s_and_saveexec_b64 s[22:23], s[0:1]
	s_cbranch_execz .LBB59_9
; %bb.5:
	v_cmp_neq_f64_e64 s[0:1], s[8:9], 0
	v_cmp_neq_f64_e64 s[2:3], s[10:11], 0
	v_pk_mov_b32 v[2:3], 0, 0
	v_mul_lo_u32 v4, v8, s24
	s_or_b64 s[0:1], s[0:1], s[2:3]
	v_ashrrev_i32_e32 v5, 31, v4
	s_andn2_b64 vcc, exec, s[0:1]
	v_pk_mov_b32 v[0:1], v[2:3], v[2:3] op_sel:[0,1]
	s_cbranch_vccnz .LBB59_7
; %bb.6:
	v_lshlrev_b64 v[0:1], 4, v[4:5]
	v_mov_b32_e32 v2, s17
	v_add_co_u32_e32 v0, vcc, s7, v0
	v_addc_co_u32_e32 v1, vcc, v2, v1, vcc
	global_load_dwordx4 v[10:13], v[0:1], off
	s_waitcnt vmcnt(0)
	v_mul_f64 v[0:1], s[10:11], v[12:13]
	v_mul_f64 v[2:3], s[8:9], v[12:13]
	v_fma_f64 v[0:1], s[8:9], v[10:11], -v[0:1]
	v_fmac_f64_e32 v[2:3], s[10:11], v[10:11]
.LBB59_7:
	s_mov_b64 s[2:3], exec
	s_or_b64 exec, exec, s[22:23]
	s_and_b64 vcc, exec, s[20:21]
	s_cbranch_vccnz .LBB59_10
	s_branch .LBB59_20
.LBB59_8:
	s_mov_b64 s[2:3], 0
                                        ; implicit-def: $vgpr2_vgpr3
                                        ; implicit-def: $vgpr4_vgpr5
	s_cbranch_execnz .LBB59_10
	s_branch .LBB59_20
.LBB59_9:
	s_or_b64 exec, exec, s[22:23]
	s_and_b64 vcc, exec, s[20:21]
	s_cbranch_vccz .LBB59_20
.LBB59_10:
	v_cmp_gt_i32_e32 vcc, s18, v8
                                        ; implicit-def: $vgpr2_vgpr3
                                        ; implicit-def: $vgpr4_vgpr5
	s_and_saveexec_b64 s[0:1], vcc
	s_cbranch_execz .LBB59_19
; %bb.11:
	s_load_dword s20, s[4:5], 0x58
	v_pk_mov_b32 v[0:1], 0, 0
	v_pk_mov_b32 v[6:7], v[0:1], v[0:1] op_sel:[0,1]
	s_waitcnt lgkmcnt(0)
	s_cmp_ge_i32 s6, s20
	s_cbranch_scc1 .LBB59_14
; %bb.12:
	s_ashr_i32 s19, s18, 31
	s_mul_i32 s21, s6, s18
	s_load_dwordx2 s[4:5], s[4:5], 0x48
	v_add_u32_e32 v0, s21, v8
	s_mul_hi_u32 s21, s18, s16
	s_mul_i32 s22, s19, s16
	s_add_i32 s21, s21, s22
	s_mul_i32 s16, s18, s16
	s_mul_i32 s21, s21, s20
	s_mul_hi_u32 s22, s16, s20
	s_add_i32 s23, s22, s21
	s_mul_i32 s22, s16, s20
	s_lshl_b64 s[22:23], s[22:23], 4
	v_ashrrev_i32_e32 v1, 31, v0
	s_waitcnt lgkmcnt(0)
	s_add_u32 s4, s4, s22
	v_lshlrev_b64 v[0:1], 4, v[0:1]
	s_addc_u32 s5, s5, s23
	v_mov_b32_e32 v2, s5
	v_add_co_u32_e32 v0, vcc, s4, v0
	v_addc_co_u32_e32 v1, vcc, v2, v1, vcc
	v_add_co_u32_e32 v2, vcc, 8, v0
	v_addc_co_u32_e32 v3, vcc, 0, v1, vcc
	s_lshl_b64 s[4:5], s[18:19], 4
	v_pk_mov_b32 v[0:1], 0, 0
	v_mov_b32_e32 v4, s5
	v_pk_mov_b32 v[6:7], v[0:1], v[0:1] op_sel:[0,1]
.LBB59_13:                              ; =>This Inner Loop Header: Depth=1
	global_load_dwordx4 v[10:13], v[2:3], off offset:-8
	s_add_i32 s6, s6, 1
	v_add_co_u32_e32 v2, vcc, s4, v2
	v_addc_co_u32_e32 v3, vcc, v3, v4, vcc
	s_cmp_ge_i32 s6, s20
	s_waitcnt vmcnt(0)
	v_add_f64 v[6:7], v[6:7], v[10:11]
	v_add_f64 v[0:1], v[0:1], v[12:13]
	s_cbranch_scc0 .LBB59_13
.LBB59_14:
	v_cmp_neq_f64_e64 s[18:19], s[8:9], 0
	v_cmp_neq_f64_e64 s[20:21], s[10:11], 0
	s_or_b64 s[18:19], s[18:19], s[20:21]
	v_mul_f64 v[10:11], s[14:15], v[0:1]
	v_mul_f64 v[2:3], s[12:13], v[0:1]
	v_mul_lo_u32 v4, v8, s24
	s_mov_b64 s[4:5], 0
	s_andn2_b64 vcc, exec, s[18:19]
	v_fma_f64 v[0:1], s[12:13], v[6:7], -v[10:11]
	v_fmac_f64_e32 v[2:3], s[14:15], v[6:7]
	v_ashrrev_i32_e32 v5, 31, v4
	s_cbranch_vccnz .LBB59_16
; %bb.15:
	s_mov_b64 s[4:5], -1
.LBB59_16:
	s_andn2_b64 vcc, exec, s[4:5]
	s_cbranch_vccnz .LBB59_18
; %bb.17:
	v_lshlrev_b64 v[6:7], 4, v[4:5]
	v_mov_b32_e32 v8, s17
	v_add_co_u32_e32 v6, vcc, s7, v6
	v_addc_co_u32_e32 v7, vcc, v8, v7, vcc
	global_load_dwordx4 v[6:9], v[6:7], off
	s_waitcnt vmcnt(0)
	v_mul_f64 v[10:11], s[10:11], v[8:9]
	v_mul_f64 v[8:9], s[8:9], v[8:9]
	v_fma_f64 v[10:11], s[8:9], v[6:7], -v[10:11]
	v_fmac_f64_e32 v[8:9], s[10:11], v[6:7]
	v_add_f64 v[0:1], v[0:1], v[10:11]
	v_add_f64 v[2:3], v[2:3], v[8:9]
.LBB59_18:
	s_or_b64 s[2:3], s[2:3], exec
.LBB59_19:
	s_or_b64 exec, exec, s[0:1]
.LBB59_20:
	s_and_saveexec_b64 s[0:1], s[2:3]
	s_cbranch_execz .LBB59_22
; %bb.21:
	v_lshlrev_b64 v[4:5], 4, v[4:5]
	v_mov_b32_e32 v6, s17
	v_add_co_u32_e32 v4, vcc, s7, v4
	v_addc_co_u32_e32 v5, vcc, v6, v5, vcc
	global_store_dwordx4 v[4:5], v[0:3], off
.LBB59_22:
	s_endpgm
	.section	.rodata,"a",@progbits
	.p2align	6, 0x0
	.amdhsa_kernel _ZL36rocblas_hemvn_kernel_lower_block_sumILi64EiPK19rocblas_complex_numIdEPKPS1_S1_EviT1_lS7_lT2_lT0_lPT3_i
		.amdhsa_group_segment_fixed_size 0
		.amdhsa_private_segment_fixed_size 0
		.amdhsa_kernarg_size 344
		.amdhsa_user_sgpr_count 6
		.amdhsa_user_sgpr_private_segment_buffer 1
		.amdhsa_user_sgpr_dispatch_ptr 0
		.amdhsa_user_sgpr_queue_ptr 0
		.amdhsa_user_sgpr_kernarg_segment_ptr 1
		.amdhsa_user_sgpr_dispatch_id 0
		.amdhsa_user_sgpr_flat_scratch_init 0
		.amdhsa_user_sgpr_kernarg_preload_length 0
		.amdhsa_user_sgpr_kernarg_preload_offset 0
		.amdhsa_user_sgpr_private_segment_size 0
		.amdhsa_uses_dynamic_stack 0
		.amdhsa_system_sgpr_private_segment_wavefront_offset 0
		.amdhsa_system_sgpr_workgroup_id_x 1
		.amdhsa_system_sgpr_workgroup_id_y 0
		.amdhsa_system_sgpr_workgroup_id_z 1
		.amdhsa_system_sgpr_workgroup_info 0
		.amdhsa_system_vgpr_workitem_id 0
		.amdhsa_next_free_vgpr 14
		.amdhsa_next_free_sgpr 28
		.amdhsa_accum_offset 16
		.amdhsa_reserve_vcc 1
		.amdhsa_reserve_flat_scratch 0
		.amdhsa_float_round_mode_32 0
		.amdhsa_float_round_mode_16_64 0
		.amdhsa_float_denorm_mode_32 3
		.amdhsa_float_denorm_mode_16_64 3
		.amdhsa_dx10_clamp 1
		.amdhsa_ieee_mode 1
		.amdhsa_fp16_overflow 0
		.amdhsa_tg_split 0
		.amdhsa_exception_fp_ieee_invalid_op 0
		.amdhsa_exception_fp_denorm_src 0
		.amdhsa_exception_fp_ieee_div_zero 0
		.amdhsa_exception_fp_ieee_overflow 0
		.amdhsa_exception_fp_ieee_underflow 0
		.amdhsa_exception_fp_ieee_inexact 0
		.amdhsa_exception_int_div_zero 0
	.end_amdhsa_kernel
	.section	.text._ZL36rocblas_hemvn_kernel_lower_block_sumILi64EiPK19rocblas_complex_numIdEPKPS1_S1_EviT1_lS7_lT2_lT0_lPT3_i,"axG",@progbits,_ZL36rocblas_hemvn_kernel_lower_block_sumILi64EiPK19rocblas_complex_numIdEPKPS1_S1_EviT1_lS7_lT2_lT0_lPT3_i,comdat
.Lfunc_end59:
	.size	_ZL36rocblas_hemvn_kernel_lower_block_sumILi64EiPK19rocblas_complex_numIdEPKPS1_S1_EviT1_lS7_lT2_lT0_lPT3_i, .Lfunc_end59-_ZL36rocblas_hemvn_kernel_lower_block_sumILi64EiPK19rocblas_complex_numIdEPKPS1_S1_EviT1_lS7_lT2_lT0_lPT3_i
                                        ; -- End function
	.section	.AMDGPU.csdata,"",@progbits
; Kernel info:
; codeLenInByte = 852
; NumSgprs: 32
; NumVgprs: 14
; NumAgprs: 0
; TotalNumVgprs: 14
; ScratchSize: 0
; MemoryBound: 0
; FloatMode: 240
; IeeeMode: 1
; LDSByteSize: 0 bytes/workgroup (compile time only)
; SGPRBlocks: 3
; VGPRBlocks: 1
; NumSGPRsForWavesPerEU: 32
; NumVGPRsForWavesPerEU: 14
; AccumOffset: 16
; Occupancy: 8
; WaveLimiterHint : 1
; COMPUTE_PGM_RSRC2:SCRATCH_EN: 0
; COMPUTE_PGM_RSRC2:USER_SGPR: 6
; COMPUTE_PGM_RSRC2:TRAP_HANDLER: 0
; COMPUTE_PGM_RSRC2:TGID_X_EN: 1
; COMPUTE_PGM_RSRC2:TGID_Y_EN: 0
; COMPUTE_PGM_RSRC2:TGID_Z_EN: 1
; COMPUTE_PGM_RSRC2:TIDIG_COMP_CNT: 0
; COMPUTE_PGM_RSRC3_GFX90A:ACCUM_OFFSET: 3
; COMPUTE_PGM_RSRC3_GFX90A:TG_SPLIT: 0
	.section	.text._ZL26rocblas_hemvn_kernel_lowerILb1ELi64ELi4ELi33ELi32ELi16El19rocblas_complex_numIdEPKPKS1_PS1_EviT6_lT7_lT5_lS8_lS9_lS7_lT8_i,"axG",@progbits,_ZL26rocblas_hemvn_kernel_lowerILb1ELi64ELi4ELi33ELi32ELi16El19rocblas_complex_numIdEPKPKS1_PS1_EviT6_lT7_lT5_lS8_lS9_lS7_lT8_i,comdat
	.globl	_ZL26rocblas_hemvn_kernel_lowerILb1ELi64ELi4ELi33ELi32ELi16El19rocblas_complex_numIdEPKPKS1_PS1_EviT6_lT7_lT5_lS8_lS9_lS7_lT8_i ; -- Begin function _ZL26rocblas_hemvn_kernel_lowerILb1ELi64ELi4ELi33ELi32ELi16El19rocblas_complex_numIdEPKPKS1_PS1_EviT6_lT7_lT5_lS8_lS9_lS7_lT8_i
	.p2align	8
	.type	_ZL26rocblas_hemvn_kernel_lowerILb1ELi64ELi4ELi33ELi32ELi16El19rocblas_complex_numIdEPKPKS1_PS1_EviT6_lT7_lT5_lS8_lS9_lS7_lT8_i,@function
_ZL26rocblas_hemvn_kernel_lowerILb1ELi64ELi4ELi33ELi32ELi16El19rocblas_complex_numIdEPKPKS1_PS1_EviT6_lT7_lT5_lS8_lS9_lS7_lT8_i: ; @_ZL26rocblas_hemvn_kernel_lowerILb1ELi64ELi4ELi33ELi32ELi16El19rocblas_complex_numIdEPKPKS1_PS1_EviT6_lT7_lT5_lS8_lS9_lS7_lT8_i
; %bb.0:
	s_load_dwordx2 s[0:1], s[4:5], 0x94
	s_add_u32 s14, s4, 0x88
	s_addc_u32 s15, s5, 0
	s_waitcnt lgkmcnt(0)
	s_lshr_b32 s2, s0, 16
	s_and_b32 s0, s0, 0xffff
	s_and_b32 s1, s1, 0xffff
	s_mul_i32 s0, s2, s0
	s_mul_i32 s0, s0, s1
	s_cmpk_lg_i32 s0, 0x100
	s_cbranch_scc1 .LBB60_139
; %bb.1:
	s_load_dwordx4 s[16:19], s[4:5], 0x8
	s_load_dwordx4 s[0:3], s[4:5], 0x20
	s_load_dwordx2 s[24:25], s[4:5], 0x30
	s_mov_b32 s26, s7
	s_mov_b64 s[8:9], 0
	s_waitcnt lgkmcnt(0)
	v_cmp_neq_f64_e64 s[10:11], s[16:17], 0
	v_cmp_neq_f64_e64 s[12:13], s[18:19], 0
	s_or_b64 s[16:17], s[10:11], s[12:13]
	s_and_b64 vcc, exec, s[16:17]
	s_cbranch_vccnz .LBB60_3
; %bb.2:
	s_load_dwordx4 s[8:11], s[4:5], 0x60
	s_mov_b64 s[12:13], 0
	s_waitcnt lgkmcnt(0)
	v_cmp_neq_f64_e64 s[8:9], s[8:9], 1.0
	v_cmp_neq_f64_e64 s[10:11], s[10:11], 0
	s_or_b64 s[8:9], s[8:9], s[10:11]
	s_cbranch_execz .LBB60_4
	s_branch .LBB60_5
.LBB60_3:
	s_mov_b64 s[12:13], -1
.LBB60_4:
	s_mov_b32 s27, 0
	s_lshl_b64 s[8:9], s[26:27], 3
	s_add_u32 s0, s0, s8
	s_addc_u32 s1, s1, s9
	s_load_dwordx2 s[0:1], s[0:1], 0x0
	s_lshl_b64 s[2:3], s[2:3], 4
	s_mov_b64 s[8:9], -1
	s_waitcnt lgkmcnt(0)
	s_add_u32 s12, s0, s2
	s_addc_u32 s13, s1, s3
.LBB60_5:
	s_andn2_b64 vcc, exec, s[8:9]
	s_cbranch_vccnz .LBB60_139
; %bb.6:
	s_load_dwordx4 s[8:11], s[4:5], 0x40
	s_load_dwordx2 s[22:23], s[4:5], 0x50
	v_cndmask_b32_e64 v1, 0, 1, s[16:17]
	v_cmp_ne_u32_e64 s[0:1], 1, v1
	s_andn2_b64 vcc, exec, s[16:17]
	s_mov_b64 s[2:3], 0
	s_cbranch_vccnz .LBB60_8
; %bb.7:
	s_mov_b32 s27, 0
	s_lshl_b64 s[2:3], s[26:27], 3
	s_waitcnt lgkmcnt(0)
	s_add_u32 s2, s8, s2
	s_addc_u32 s3, s9, s3
	s_load_dwordx2 s[2:3], s[2:3], 0x0
	s_lshl_b64 s[8:9], s[10:11], 4
	s_waitcnt lgkmcnt(0)
	s_add_u32 s2, s2, s8
	s_addc_u32 s3, s3, s9
.LBB60_8:
	s_and_b64 vcc, exec, s[0:1]
	s_cbranch_vccnz .LBB60_139
; %bb.9:
	s_load_dword s27, s[14:15], 0x0
	s_load_dword s7, s[4:5], 0x0
	v_and_b32_e32 v42, 0x3ff, v0
	s_lshl_b32 s30, s6, 6
	v_add_u32_e32 v148, s30, v42
	s_waitcnt lgkmcnt(0)
	s_add_i32 s0, s27, -1
	s_ashr_i32 s33, s7, 31
	s_lshr_b32 s1, s33, 26
	s_add_i32 s1, s7, s1
	s_andn2_b32 s1, s1, 63
	s_sub_i32 s1, s7, s1
	s_cmp_eq_u32 s6, s0
	v_ashrrev_i32_e32 v149, 31, v148
	v_bfe_u32 v154, v0, 10, 10
	s_cselect_b32 s28, s1, 0
	v_mul_lo_u32 v2, v149, s22
	v_mul_lo_u32 v3, v148, s23
	v_mad_u64_u32 v[0:1], s[0:1], v148, s22, 0
	v_add3_u32 v1, v1, v3, v2
	v_lshlrev_b64 v[0:1], 4, v[0:1]
	v_mov_b32_e32 v2, s3
	v_add_co_u32_e32 v36, vcc, s2, v0
	v_addc_co_u32_e32 v37, vcc, v2, v1, vcc
	v_cmp_ne_u32_e64 s[0:1], 0, v154
	v_cmp_eq_u32_e64 s[2:3], 0, v154
	s_and_saveexec_b64 s[8:9], s[2:3]
	s_cbranch_execz .LBB60_14
; %bb.10:
	s_cmp_lg_u32 s28, 0
	s_cselect_b64 s[10:11], -1, 0
	v_cmp_le_i32_e32 vcc, s28, v42
	v_mov_b32_e32 v0, 0x4700
	s_and_b64 s[10:11], s[10:11], vcc
	v_lshl_add_u32 v0, v42, 4, v0
	s_and_saveexec_b64 s[14:15], s[10:11]
	s_xor_b64 s[10:11], exec, s[14:15]
	s_cbranch_execz .LBB60_12
; %bb.11:
	v_mov_b32_e32 v2, 0
	v_mov_b32_e32 v3, v2
	;; [unrolled: 1-line block ×4, first 2 shown]
	ds_write_b128 v0, v[2:5]
                                        ; implicit-def: $vgpr0
.LBB60_12:
	s_andn2_saveexec_b64 s[10:11], s[10:11]
	s_cbranch_execz .LBB60_14
; %bb.13:
	flat_load_dwordx4 v[2:5], v[36:37]
	s_waitcnt vmcnt(0) lgkmcnt(0)
	ds_write2_b64 v0, v[2:3], v[4:5] offset1:1
.LBB60_14:
	s_or_b64 exec, exec, s[8:9]
	s_ashr_i32 s31, s30, 31
	v_lshl_add_u32 v43, v154, 6, v42
	s_lshl_b64 s[8:9], s[30:31], 4
	v_and_b32_e32 v4, 31, v42
	v_lshrrev_b32_e32 v10, 5, v43
	s_add_u32 s10, s12, s8
	v_mov_b32_e32 v5, 0
	s_addc_u32 s11, s13, s9
	v_mad_u64_u32 v[0:1], s[8:9], v10, s24, v[4:5]
	v_mov_b32_e32 v2, v1
	v_mad_u64_u32 v[2:3], s[8:9], v10, s25, v[2:3]
	s_mul_i32 s8, s30, s25
	s_mul_hi_u32 s9, s30, s24
	s_add_i32 s8, s9, s8
	s_mul_i32 s9, s31, s24
	s_add_i32 s9, s8, s9
	s_mul_i32 s8, s30, s24
	s_lshl_b64 s[34:35], s[8:9], 4
	v_mov_b32_e32 v1, v2
	s_add_u32 s8, s34, s10
	v_lshlrev_b64 v[38:39], 4, v[0:1]
	s_addc_u32 s9, s35, s11
	v_mov_b32_e32 v0, s9
	v_add_co_u32_e32 v6, vcc, s8, v38
	s_cmp_lg_u32 s28, 0
	v_addc_co_u32_e32 v7, vcc, v0, v39, vcc
	s_cselect_b64 s[36:37], -1, 0
	s_cmp_eq_u32 s28, 0
	s_cselect_b64 s[38:39], -1, 0
	s_and_b64 vcc, exec, s[36:37]
	s_cbranch_vccnz .LBB60_16
; %bb.15:
	flat_load_dwordx4 v[0:3], v[6:7]
	v_mul_u32_u24_e32 v5, 33, v10
	s_lshl_b64 s[8:9], s[24:25], 7
	v_add_lshl_u32 v5, v5, v4, 4
	v_mov_b32_e32 v11, s9
	v_add_co_u32_e32 v8, vcc, s8, v6
	v_addc_co_u32_e32 v9, vcc, v7, v11, vcc
	v_add_u32_e32 v12, 0x1080, v5
	s_mul_i32 s10, s25, 0x180
	s_waitcnt vmcnt(0) lgkmcnt(0)
	ds_write2_b64 v5, v[0:1], v[2:3] offset1:1
	flat_load_dwordx4 v[0:3], v[8:9]
	v_add_co_u32_e32 v8, vcc, s8, v8
	v_addc_co_u32_e32 v9, vcc, v9, v11, vcc
	v_add_u32_e32 v11, 0x2100, v5
	v_add_u32_e32 v5, 0x3180, v5
	s_waitcnt vmcnt(0) lgkmcnt(0)
	ds_write2_b64 v12, v[0:1], v[2:3] offset1:1
	flat_load_dwordx4 v[0:3], v[8:9]
	v_mov_b32_e32 v8, 0x180
	v_mad_u64_u32 v[8:9], s[8:9], s24, v8, v[6:7]
	v_add_u32_e32 v9, s10, v9
	s_waitcnt vmcnt(0) lgkmcnt(0)
	ds_write2_b64 v11, v[0:1], v[2:3] offset1:1
	flat_load_dwordx4 v[0:3], v[8:9]
	s_waitcnt vmcnt(0) lgkmcnt(0)
	ds_write2_b64 v5, v[0:1], v[2:3] offset1:1
	s_cbranch_execz .LBB60_17
	s_branch .LBB60_34
.LBB60_16:
.LBB60_17:
	v_lshlrev_b32_e32 v2, 4, v4
	v_sub_co_u32_e32 v0, vcc, v6, v2
	s_ashr_i32 s29, s28, 31
	v_subbrev_co_u32_e32 v1, vcc, 0, v7, vcc
	s_lshl_b64 s[10:11], s[28:29], 4
	v_mov_b32_e32 v3, s11
	v_add_co_u32_e32 v0, vcc, s10, v0
	v_addc_co_u32_e32 v1, vcc, v1, v3, vcc
	v_add_co_u32_e32 v0, vcc, -16, v0
	v_addc_co_u32_e32 v1, vcc, -1, v1, vcc
	v_cmp_gt_i32_e32 vcc, s28, v4
	v_mul_u32_u24_e32 v3, 33, v10
	v_cndmask_b32_e32 v1, v1, v7, vcc
	v_cndmask_b32_e32 v0, v0, v6, vcc
	v_cmp_le_i32_e64 s[8:9], s28, v10
	v_add_lshl_u32 v3, v3, v4, 4
	s_and_saveexec_b64 s[12:13], s[8:9]
	s_xor_b64 s[8:9], exec, s[12:13]
	s_cbranch_execz .LBB60_19
; %bb.18:
	v_mov_b32_e32 v12, 0
	v_mov_b32_e32 v13, v12
	v_mov_b32_e32 v14, v12
	v_mov_b32_e32 v15, v12
	ds_write_b128 v3, v[12:15]
.LBB60_19:
	s_andn2_saveexec_b64 s[8:9], s[8:9]
	s_cbranch_execz .LBB60_21
; %bb.20:
	flat_load_dwordx4 v[12:15], v[0:1]
	s_waitcnt vmcnt(0) lgkmcnt(0)
	ds_write2_b64 v3, v[12:13], v[14:15] offset1:1
.LBB60_21:
	s_or_b64 exec, exec, s[8:9]
	v_add_u32_e32 v5, 8, v10
	v_cmp_le_i32_e64 s[8:9], s28, v5
	s_and_saveexec_b64 s[12:13], s[8:9]
	s_xor_b64 s[8:9], exec, s[12:13]
	s_cbranch_execz .LBB60_23
; %bb.22:
	v_mul_u32_u24_e32 v5, 33, v5
	v_mov_b32_e32 v12, 0
	v_add_lshl_u32 v5, v5, v4, 4
	v_mov_b32_e32 v13, v12
	v_mov_b32_e32 v14, v12
	;; [unrolled: 1-line block ×3, first 2 shown]
	ds_write_b128 v5, v[12:15]
.LBB60_23:
	s_andn2_saveexec_b64 s[12:13], s[8:9]
	s_cbranch_execz .LBB60_25
; %bb.24:
	s_lshl_b64 s[8:9], s[24:25], 7
	v_mov_b32_e32 v5, s9
	v_add_co_u32_e64 v8, s[8:9], s8, v0
	v_addc_co_u32_e64 v9, s[8:9], v1, v5, s[8:9]
	flat_load_dwordx4 v[12:15], v[8:9]
	v_add_u32_e32 v5, 0x1080, v3
	s_waitcnt vmcnt(0) lgkmcnt(0)
	ds_write2_b64 v5, v[12:13], v[14:15] offset1:1
.LBB60_25:
	s_or_b64 exec, exec, s[12:13]
	v_add_u32_e32 v5, 16, v10
	v_cmp_le_i32_e64 s[8:9], s28, v5
	s_and_saveexec_b64 s[12:13], s[8:9]
	s_xor_b64 s[8:9], exec, s[12:13]
	s_cbranch_execz .LBB60_27
; %bb.26:
	v_mov_b32_e32 v12, 0
	v_mov_b32_e32 v13, v12
	;; [unrolled: 1-line block ×4, first 2 shown]
	ds_write_b128 v3, v[12:15] offset:8448
.LBB60_27:
	s_andn2_saveexec_b64 s[12:13], s[8:9]
	s_cbranch_execz .LBB60_29
; %bb.28:
	s_lshl_b64 s[8:9], s[24:25], 8
	v_mov_b32_e32 v5, s9
	v_add_co_u32_e64 v8, s[8:9], s8, v0
	v_addc_co_u32_e64 v9, s[8:9], v1, v5, s[8:9]
	flat_load_dwordx4 v[12:15], v[8:9]
	v_add_u32_e32 v5, 0x2100, v3
	s_waitcnt vmcnt(0) lgkmcnt(0)
	ds_write2_b64 v5, v[12:13], v[14:15] offset1:1
.LBB60_29:
	s_or_b64 exec, exec, s[12:13]
	v_add_u32_e32 v5, 24, v10
	v_cmp_le_i32_e64 s[8:9], s28, v5
	s_and_saveexec_b64 s[12:13], s[8:9]
	s_xor_b64 s[8:9], exec, s[12:13]
	s_cbranch_execz .LBB60_31
; %bb.30:
	v_mov_b32_e32 v12, 0
	v_mov_b32_e32 v13, v12
	v_mov_b32_e32 v14, v12
	v_mov_b32_e32 v15, v12
	ds_write_b128 v3, v[12:15] offset:12672
                                        ; implicit-def: $vgpr3
.LBB60_31:
	s_andn2_saveexec_b64 s[8:9], s[8:9]
	s_cbranch_execz .LBB60_33
; %bb.32:
	v_mov_b32_e32 v5, 0x180
	v_mad_u64_u32 v[8:9], s[12:13], s24, v5, v[0:1]
	s_mul_i32 s12, s25, 0x180
	v_add_u32_e32 v9, s12, v9
	flat_load_dwordx4 v[12:15], v[8:9]
	v_add_u32_e32 v3, 0x3180, v3
	s_waitcnt vmcnt(0) lgkmcnt(0)
	ds_write2_b64 v3, v[12:13], v[14:15] offset1:1
.LBB60_33:
	s_or_b64 exec, exec, s[8:9]
	v_add_co_u32_e64 v0, s[8:9], v0, v2
	v_addc_co_u32_e64 v1, s[8:9], 0, v1, s[8:9]
	v_mov_b32_e32 v2, s11
	v_subrev_co_u32_e64 v0, s[8:9], s10, v0
	v_subb_co_u32_e64 v1, s[8:9], v1, v2, s[8:9]
	v_add_co_u32_e64 v0, s[8:9], 16, v0
	v_addc_co_u32_e64 v1, s[8:9], 0, v1, s[8:9]
	v_cndmask_b32_e32 v7, v1, v7, vcc
	v_cndmask_b32_e32 v6, v0, v6, vcc
.LBB60_34:
	v_lshlrev_b32_e32 v12, 2, v10
	v_cmp_ge_u32_e64 s[8:9], v12, v4
	s_waitcnt lgkmcnt(0)
	s_barrier
	s_and_saveexec_b64 s[10:11], s[8:9]
	s_xor_b64 s[10:11], exec, s[10:11]
	s_cbranch_execz .LBB60_38
; %bb.35:
	v_cmp_eq_u32_e32 vcc, v12, v4
	s_and_saveexec_b64 s[12:13], vcc
	s_cbranch_execz .LBB60_37
; %bb.36:
	v_mul_u32_u24_e32 v0, 34, v4
	v_lshlrev_b32_e32 v2, 4, v0
	v_mov_b32_e32 v0, 0
	v_mov_b32_e32 v1, v0
	ds_write_b64 v2, v[0:1] offset:8
.LBB60_37:
	s_or_b64 exec, exec, s[12:13]
.LBB60_38:
	s_or_saveexec_b64 s[10:11], s[10:11]
	v_mul_u32_u24_e32 v44, 33, v4
	v_add_lshl_u32 v5, v12, v44, 4
	s_xor_b64 exec, exec, s[10:11]
	s_cbranch_execz .LBB60_40
; %bb.39:
	v_mul_u32_u24_e32 v0, 0x84, v10
	v_add_lshl_u32 v0, v0, v4, 4
	ds_read_b128 v[0:3], v0
	s_waitcnt lgkmcnt(0)
	v_xor_b32_e32 v3, 0x80000000, v3
	ds_write_b128 v5, v[0:3]
.LBB60_40:
	s_or_b64 exec, exec, s[10:11]
	v_or_b32_e32 v13, 1, v12
	v_cmp_ge_u32_e64 s[10:11], v13, v4
	s_and_saveexec_b64 s[12:13], s[10:11]
	s_xor_b64 s[12:13], exec, s[12:13]
	s_cbranch_execz .LBB60_44
; %bb.41:
	v_cmp_eq_u32_e32 vcc, v13, v4
	s_and_saveexec_b64 s[14:15], vcc
	s_cbranch_execz .LBB60_43
; %bb.42:
	v_mul_u32_u24_e32 v0, 34, v4
	v_lshlrev_b32_e32 v2, 4, v0
	v_mov_b32_e32 v0, 0
	v_mov_b32_e32 v1, v0
	ds_write_b64 v2, v[0:1] offset:8
.LBB60_43:
	s_or_b64 exec, exec, s[14:15]
.LBB60_44:
	s_or_saveexec_b64 s[12:13], s[12:13]
	v_mul_u32_u24_e32 v0, 33, v13
	s_xor_b64 exec, exec, s[12:13]
	s_cbranch_execz .LBB60_46
; %bb.45:
	v_add_lshl_u32 v1, v0, v4, 4
	ds_read_b128 v[14:17], v1
	s_waitcnt lgkmcnt(0)
	v_xor_b32_e32 v17, 0x80000000, v17
	ds_write_b128 v5, v[14:17] offset:16
.LBB60_46:
	s_or_b64 exec, exec, s[12:13]
	v_or_b32_e32 v14, 2, v12
	v_cmp_ge_u32_e64 s[12:13], v14, v4
	s_and_saveexec_b64 s[14:15], s[12:13]
	s_xor_b64 s[14:15], exec, s[14:15]
	s_cbranch_execz .LBB60_50
; %bb.47:
	v_cmp_eq_u32_e32 vcc, v14, v4
	s_and_saveexec_b64 s[16:17], vcc
	s_cbranch_execz .LBB60_49
; %bb.48:
	v_mul_u32_u24_e32 v1, 34, v4
	v_mov_b32_e32 v2, 0
	v_lshlrev_b32_e32 v1, 4, v1
	v_mov_b32_e32 v3, v2
	ds_write_b64 v1, v[2:3] offset:8
.LBB60_49:
	s_or_b64 exec, exec, s[16:17]
.LBB60_50:
	s_andn2_saveexec_b64 s[14:15], s[14:15]
	s_cbranch_execz .LBB60_52
; %bb.51:
	v_mul_u32_u24_e32 v1, 33, v14
	v_add_lshl_u32 v1, v1, v4, 4
	ds_read_b128 v[16:19], v1
	s_waitcnt lgkmcnt(0)
	v_xor_b32_e32 v19, 0x80000000, v19
	ds_write_b128 v5, v[16:19] offset:32
.LBB60_52:
	s_or_b64 exec, exec, s[14:15]
	v_or_b32_e32 v15, 3, v12
	v_cmp_ge_u32_e64 s[14:15], v15, v4
	s_and_saveexec_b64 s[16:17], s[14:15]
	s_xor_b64 s[16:17], exec, s[16:17]
	s_cbranch_execz .LBB60_56
; %bb.53:
	v_cmp_eq_u32_e32 vcc, v15, v4
	s_and_saveexec_b64 s[18:19], vcc
	s_cbranch_execz .LBB60_55
; %bb.54:
	v_mul_u32_u24_e32 v1, 34, v4
	v_mov_b32_e32 v2, 0
	v_lshlrev_b32_e32 v1, 4, v1
	v_mov_b32_e32 v3, v2
	ds_write_b64 v1, v[2:3] offset:8
.LBB60_55:
	s_or_b64 exec, exec, s[18:19]
.LBB60_56:
	s_andn2_saveexec_b64 s[16:17], s[16:17]
	s_cbranch_execz .LBB60_58
; %bb.57:
	v_mul_u32_u24_e32 v1, 33, v15
	v_add_lshl_u32 v1, v1, v4, 4
	ds_read_b128 v[16:19], v1
	s_waitcnt lgkmcnt(0)
	v_xor_b32_e32 v19, 0x80000000, v19
	ds_write_b128 v5, v[16:19] offset:48
.LBB60_58:
	s_or_b64 exec, exec, s[16:17]
	v_mul_u32_u24_e32 v1, 0x84, v10
	v_lshlrev_b32_e32 v17, 4, v12
	s_waitcnt lgkmcnt(0)
	s_barrier
	v_add_lshl_u32 v16, v1, v4, 4
	ds_read_b128 v[18:21], v17 offset:18176
	ds_read_b128 v[22:25], v17 offset:18192
	ds_read_b128 v[26:29], v16
	ds_read_b128 v[30:33], v17 offset:18208
	ds_read_b128 v[46:49], v17 offset:18224
	v_add_lshl_u32 v11, v0, v4, 4
	ds_read_b128 v[0:3], v11
	s_waitcnt lgkmcnt(3)
	v_mul_f64 v[8:9], v[20:21], v[28:29]
	v_fma_f64 v[8:9], v[18:19], v[26:27], -v[8:9]
	v_mul_f64 v[18:19], v[18:19], v[28:29]
	v_fmac_f64_e32 v[18:19], v[20:21], v[26:27]
	v_add_f64 v[26:27], v[18:19], 0
	s_waitcnt lgkmcnt(0)
	v_mul_f64 v[18:19], v[24:25], v[2:3]
	v_fma_f64 v[28:29], v[22:23], v[0:1], -v[18:19]
	v_mul_f64 v[2:3], v[22:23], v[2:3]
	ds_read_b128 v[18:21], v11 offset:528
	v_fmac_f64_e32 v[2:3], v[24:25], v[0:1]
	v_add_f64 v[22:23], v[26:27], v[2:3]
	ds_read_b128 v[0:3], v11 offset:1056
	v_add_f64 v[8:9], v[8:9], 0
	s_waitcnt lgkmcnt(1)
	v_mul_f64 v[24:25], v[32:33], v[20:21]
	v_mul_f64 v[20:21], v[30:31], v[20:21]
	v_fmac_f64_e32 v[20:21], v[32:33], v[18:19]
	v_add_f64 v[8:9], v[8:9], v[28:29]
	v_fma_f64 v[24:25], v[30:31], v[18:19], -v[24:25]
	v_add_f64 v[18:19], v[22:23], v[20:21]
	s_waitcnt lgkmcnt(0)
	v_mul_f64 v[20:21], v[48:49], v[2:3]
	v_mul_f64 v[2:3], v[46:47], v[2:3]
	v_add_f64 v[8:9], v[8:9], v[24:25]
	v_fma_f64 v[20:21], v[46:47], v[0:1], -v[20:21]
	v_fmac_f64_e32 v[2:3], v[48:49], v[0:1]
	v_add_f64 v[0:1], v[8:9], v[20:21]
	v_add_f64 v[2:3], v[18:19], v[2:3]
	v_add_lshl_u32 v45, v10, v44, 4
	s_barrier
	ds_write_b128 v45, v[0:3]
	v_pk_mov_b32 v[0:1], 0, 0
	v_cmp_gt_u32_e64 s[20:21], 32, v43
	v_pk_mov_b32 v[2:3], v[0:1], v[0:1] op_sel:[0,1]
	s_waitcnt lgkmcnt(0)
	s_barrier
	s_and_saveexec_b64 s[16:17], s[20:21]
	s_cbranch_execz .LBB60_60
; %bb.59:
	v_lshlrev_b32_e32 v30, 4, v44
	ds_read_b128 v[0:3], v30
	ds_read_b128 v[18:21], v30 offset:16
	ds_read_b128 v[22:25], v30 offset:32
	;; [unrolled: 1-line block ×3, first 2 shown]
	s_waitcnt lgkmcnt(2)
	v_add_f64 v[0:1], v[18:19], v[0:1]
	v_add_f64 v[8:9], v[20:21], v[2:3]
	s_waitcnt lgkmcnt(1)
	v_add_f64 v[18:19], v[0:1], v[22:23]
	ds_read_b128 v[0:3], v30 offset:64
	v_add_f64 v[8:9], v[8:9], v[24:25]
	s_waitcnt lgkmcnt(1)
	v_add_f64 v[22:23], v[18:19], v[26:27]
	ds_read_b128 v[18:21], v30 offset:80
	;; [unrolled: 4-line block ×3, first 2 shown]
	v_add_f64 v[8:9], v[8:9], v[2:3]
	ds_read_b128 v[0:3], v30 offset:112
	s_waitcnt lgkmcnt(2)
	v_add_f64 v[18:19], v[26:27], v[18:19]
	v_add_f64 v[8:9], v[8:9], v[20:21]
	s_waitcnt lgkmcnt(1)
	v_add_f64 v[18:19], v[18:19], v[22:23]
	v_add_f64 v[8:9], v[8:9], v[24:25]
	;; [unrolled: 3-line block ×3, first 2 shown]
.LBB60_60:
	s_or_b64 exec, exec, s[16:17]
	s_lshl_b64 s[16:17], s[24:25], 9
	v_mov_b32_e32 v9, s17
	v_add_co_u32_e32 v8, vcc, s16, v6
	v_addc_co_u32_e32 v9, vcc, v7, v9, vcc
	v_add_co_u32_e32 v6, vcc, 0x200, v8
	v_cndmask_b32_e64 v7, 0, 1, s[38:39]
	s_mov_b64 s[18:19], vcc
	v_cmp_ne_u32_e64 s[16:17], 1, v7
	s_andn2_b64 vcc, exec, s[38:39]
	v_addc_co_u32_e64 v7, s[18:19], 0, v9, s[18:19]
	s_barrier
	s_cbranch_vccnz .LBB60_62
; %bb.61:
	flat_load_dwordx4 v[18:21], v[6:7]
	v_mul_u32_u24_e32 v22, 33, v10
	s_lshl_b64 s[18:19], s[24:25], 7
	v_add_lshl_u32 v24, v22, v4, 4
	v_mov_b32_e32 v25, s19
	v_add_co_u32_e32 v22, vcc, s18, v8
	v_addc_co_u32_e32 v23, vcc, v9, v25, vcc
	v_add_u32_e32 v26, 0x1080, v24
	s_mul_i32 s29, s25, 0x180
	s_waitcnt vmcnt(0) lgkmcnt(0)
	ds_write2_b64 v24, v[18:19], v[20:21] offset1:1
	flat_load_dwordx4 v[18:21], v[22:23] offset:512
	v_add_co_u32_e32 v22, vcc, s18, v22
	v_addc_co_u32_e32 v23, vcc, v23, v25, vcc
	s_waitcnt vmcnt(0) lgkmcnt(0)
	ds_write2_b64 v26, v[18:19], v[20:21] offset1:1
	flat_load_dwordx4 v[18:21], v[22:23] offset:512
	v_mov_b32_e32 v22, 0x180
	v_mad_u64_u32 v[8:9], s[18:19], s24, v22, v[8:9]
	v_add_u32_e32 v22, 0x2100, v24
	v_add_u32_e32 v9, s29, v9
	s_waitcnt vmcnt(0) lgkmcnt(0)
	ds_write2_b64 v22, v[18:19], v[20:21] offset1:1
	flat_load_dwordx4 v[18:21], v[8:9] offset:512
	v_add_u32_e32 v8, 0x3180, v24
	s_waitcnt vmcnt(0) lgkmcnt(0)
	ds_write2_b64 v8, v[18:19], v[20:21] offset1:1
	s_cbranch_execz .LBB60_63
	s_branch .LBB60_80
.LBB60_62:
.LBB60_63:
	v_or_b32_e32 v8, 32, v4
	v_lshlrev_b32_e32 v9, 4, v8
	v_sub_co_u32_e32 v9, vcc, v6, v9
	s_ashr_i32 s29, s28, 31
	v_subbrev_co_u32_e32 v18, vcc, 0, v7, vcc
	s_lshl_b64 s[38:39], s[28:29], 4
	v_mov_b32_e32 v19, s39
	v_add_co_u32_e32 v9, vcc, s38, v9
	v_addc_co_u32_e32 v18, vcc, v18, v19, vcc
	v_add_co_u32_e32 v19, vcc, -16, v9
	v_addc_co_u32_e32 v9, vcc, -1, v18, vcc
	v_cmp_gt_i32_e64 s[18:19], s28, v8
	s_sub_i32 s29, s28, 32
	v_mul_u32_u24_e32 v18, 33, v10
	v_cndmask_b32_e64 v9, v9, v7, s[18:19]
	v_cndmask_b32_e64 v8, v19, v6, s[18:19]
	v_cmp_le_i32_e32 vcc, s29, v10
	v_add_lshl_u32 v18, v18, v4, 4
	s_and_saveexec_b64 s[40:41], vcc
	s_xor_b64 s[40:41], exec, s[40:41]
	s_cbranch_execz .LBB60_65
; %bb.64:
	v_mov_b32_e32 v20, 0
	v_mov_b32_e32 v21, v20
	;; [unrolled: 1-line block ×4, first 2 shown]
	ds_write_b128 v18, v[20:23]
.LBB60_65:
	s_andn2_saveexec_b64 s[40:41], s[40:41]
	s_cbranch_execz .LBB60_67
; %bb.66:
	flat_load_dwordx4 v[20:23], v[8:9]
	s_waitcnt vmcnt(0) lgkmcnt(0)
	ds_write2_b64 v18, v[20:21], v[22:23] offset1:1
.LBB60_67:
	s_or_b64 exec, exec, s[40:41]
	v_add_u32_e32 v19, 8, v10
	v_cmp_le_i32_e32 vcc, s29, v19
	s_and_saveexec_b64 s[40:41], vcc
	s_xor_b64 s[40:41], exec, s[40:41]
	s_cbranch_execz .LBB60_69
; %bb.68:
	v_mul_u32_u24_e32 v19, 33, v19
	v_mov_b32_e32 v20, 0
	v_add_lshl_u32 v19, v19, v4, 4
	v_mov_b32_e32 v21, v20
	v_mov_b32_e32 v22, v20
	;; [unrolled: 1-line block ×3, first 2 shown]
	ds_write_b128 v19, v[20:23]
.LBB60_69:
	s_andn2_saveexec_b64 s[40:41], s[40:41]
	s_cbranch_execz .LBB60_71
; %bb.70:
	s_lshl_b64 s[42:43], s[24:25], 7
	v_mov_b32_e32 v19, s43
	v_add_co_u32_e32 v20, vcc, s42, v8
	v_addc_co_u32_e32 v21, vcc, v9, v19, vcc
	flat_load_dwordx4 v[20:23], v[20:21]
	v_add_u32_e32 v19, 0x1080, v18
	s_waitcnt vmcnt(0) lgkmcnt(0)
	ds_write2_b64 v19, v[20:21], v[22:23] offset1:1
.LBB60_71:
	s_or_b64 exec, exec, s[40:41]
	v_add_u32_e32 v19, 16, v10
	v_cmp_le_i32_e32 vcc, s29, v19
	s_and_saveexec_b64 s[40:41], vcc
	s_xor_b64 s[40:41], exec, s[40:41]
	s_cbranch_execz .LBB60_73
; %bb.72:
	v_mov_b32_e32 v20, 0
	v_mov_b32_e32 v21, v20
	;; [unrolled: 1-line block ×4, first 2 shown]
	ds_write_b128 v18, v[20:23] offset:8448
.LBB60_73:
	s_andn2_saveexec_b64 s[40:41], s[40:41]
	s_cbranch_execz .LBB60_75
; %bb.74:
	s_lshl_b64 s[42:43], s[24:25], 8
	v_mov_b32_e32 v19, s43
	v_add_co_u32_e32 v20, vcc, s42, v8
	v_addc_co_u32_e32 v21, vcc, v9, v19, vcc
	flat_load_dwordx4 v[20:23], v[20:21]
	v_add_u32_e32 v19, 0x2100, v18
	s_waitcnt vmcnt(0) lgkmcnt(0)
	ds_write2_b64 v19, v[20:21], v[22:23] offset1:1
.LBB60_75:
	s_or_b64 exec, exec, s[40:41]
	v_add_u32_e32 v19, 24, v10
	v_cmp_le_i32_e32 vcc, s29, v19
	s_and_saveexec_b64 s[40:41], vcc
	s_xor_b64 s[40:41], exec, s[40:41]
	s_cbranch_execz .LBB60_77
; %bb.76:
	v_mov_b32_e32 v20, 0
	v_mov_b32_e32 v21, v20
	;; [unrolled: 1-line block ×4, first 2 shown]
	ds_write_b128 v18, v[20:23] offset:12672
                                        ; implicit-def: $vgpr18
.LBB60_77:
	s_andn2_saveexec_b64 s[40:41], s[40:41]
	s_cbranch_execz .LBB60_79
; %bb.78:
	v_mov_b32_e32 v19, 0x180
	v_mad_u64_u32 v[20:21], s[42:43], s24, v19, v[8:9]
	s_mul_i32 s29, s25, 0x180
	v_add_u32_e32 v21, s29, v21
	flat_load_dwordx4 v[20:23], v[20:21]
	v_add_u32_e32 v18, 0x3180, v18
	s_waitcnt vmcnt(0) lgkmcnt(0)
	ds_write2_b64 v18, v[20:21], v[22:23] offset1:1
.LBB60_79:
	s_or_b64 exec, exec, s[40:41]
	v_lshlrev_b32_e32 v18, 4, v4
	v_add_co_u32_e32 v8, vcc, v8, v18
	v_addc_co_u32_e32 v9, vcc, 0, v9, vcc
	v_mov_b32_e32 v18, s39
	v_subrev_co_u32_e32 v8, vcc, s38, v8
	v_subb_co_u32_e32 v9, vcc, v9, v18, vcc
	v_add_co_u32_e32 v8, vcc, 0x210, v8
	v_addc_co_u32_e32 v9, vcc, 0, v9, vcc
	v_cndmask_b32_e64 v7, v9, v7, s[18:19]
	v_cndmask_b32_e64 v6, v8, v6, s[18:19]
.LBB60_80:
	v_add_u32_e32 v8, 0x4700, v17
	s_lshl_b64 s[18:19], s[24:25], 5
	s_waitcnt lgkmcnt(0)
	s_barrier
	s_and_saveexec_b64 s[38:39], s[8:9]
	s_xor_b64 s[8:9], exec, s[38:39]
	s_cbranch_execnz .LBB60_93
; %bb.81:
	s_andn2_saveexec_b64 s[8:9], s[8:9]
	s_cbranch_execnz .LBB60_96
.LBB60_82:
	s_or_b64 exec, exec, s[8:9]
	s_and_saveexec_b64 s[8:9], s[10:11]
	s_xor_b64 s[8:9], exec, s[8:9]
	s_cbranch_execnz .LBB60_97
.LBB60_83:
	s_andn2_saveexec_b64 s[8:9], s[8:9]
	s_cbranch_execnz .LBB60_100
.LBB60_84:
	s_or_b64 exec, exec, s[8:9]
	s_and_saveexec_b64 s[8:9], s[12:13]
	s_xor_b64 s[8:9], exec, s[8:9]
	s_cbranch_execnz .LBB60_101
.LBB60_85:
	s_andn2_saveexec_b64 s[8:9], s[8:9]
	s_cbranch_execnz .LBB60_104
.LBB60_86:
	s_or_b64 exec, exec, s[8:9]
	s_and_saveexec_b64 s[8:9], s[14:15]
	s_xor_b64 s[8:9], exec, s[8:9]
	s_cbranch_execnz .LBB60_105
.LBB60_87:
	s_andn2_saveexec_b64 s[8:9], s[8:9]
	s_cbranch_execz .LBB60_89
.LBB60_88:
	ds_read_b128 v[12:15], v11 offset:1056
	s_waitcnt lgkmcnt(0)
	v_xor_b32_e32 v15, 0x80000000, v15
	ds_write_b128 v5, v[12:15] offset:48
.LBB60_89:
	s_or_b64 exec, exec, s[8:9]
	s_waitcnt lgkmcnt(0)
	s_barrier
	ds_read_b128 v[12:15], v8 offset:512
	ds_read_b128 v[16:19], v16
	ds_read_b128 v[20:23], v8 offset:528
	ds_read_b128 v[24:27], v8 offset:544
	v_cmp_eq_u32_e64 s[8:9], 1, v10
	s_waitcnt lgkmcnt(2)
	v_mul_f64 v[28:29], v[14:15], v[18:19]
	v_fma_f64 v[40:41], v[12:13], v[16:17], -v[28:29]
	ds_read_b128 v[28:31], v8 offset:560
	ds_read_b128 v[32:35], v11
	v_mul_f64 v[12:13], v[12:13], v[18:19]
	v_fmac_f64_e32 v[12:13], v[14:15], v[16:17]
	v_add_f64 v[18:19], v[12:13], 0
	v_add_f64 v[16:17], v[40:41], 0
	s_waitcnt lgkmcnt(0)
	v_mul_f64 v[12:13], v[22:23], v[34:35]
	v_fma_f64 v[40:41], v[20:21], v[32:33], -v[12:13]
	v_mul_f64 v[20:21], v[20:21], v[34:35]
	ds_read_b128 v[12:15], v11 offset:528
	v_fmac_f64_e32 v[20:21], v[22:23], v[32:33]
	v_add_f64 v[22:23], v[16:17], v[40:41]
	v_add_f64 v[20:21], v[18:19], v[20:21]
	ds_read_b128 v[16:19], v11 offset:1056
	s_waitcnt lgkmcnt(1)
	v_mul_f64 v[32:33], v[26:27], v[14:15]
	v_mul_f64 v[14:15], v[24:25], v[14:15]
	v_fmac_f64_e32 v[14:15], v[26:27], v[12:13]
	v_fma_f64 v[32:33], v[24:25], v[12:13], -v[32:33]
	v_add_f64 v[14:15], v[20:21], v[14:15]
	s_waitcnt lgkmcnt(0)
	v_mul_f64 v[20:21], v[30:31], v[18:19]
	v_mul_f64 v[18:19], v[28:29], v[18:19]
	v_add_f64 v[12:13], v[22:23], v[32:33]
	v_fma_f64 v[20:21], v[28:29], v[16:17], -v[20:21]
	v_fmac_f64_e32 v[18:19], v[30:31], v[16:17]
	v_add_f64 v[12:13], v[12:13], v[20:21]
	v_add_f64 v[14:15], v[14:15], v[18:19]
	s_barrier
	ds_write_b128 v45, v[12:15]
	s_waitcnt lgkmcnt(0)
	s_barrier
	s_and_saveexec_b64 s[10:11], s[8:9]
	s_cbranch_execz .LBB60_91
; %bb.90:
	v_lshlrev_b32_e32 v9, 4, v44
	ds_read_b128 v[0:3], v9
	ds_read_b128 v[12:15], v9 offset:16
	ds_read_b128 v[16:19], v9 offset:32
	;; [unrolled: 1-line block ×3, first 2 shown]
	s_waitcnt lgkmcnt(2)
	v_add_f64 v[0:1], v[12:13], v[0:1]
	v_add_f64 v[12:13], v[14:15], v[2:3]
	s_waitcnt lgkmcnt(1)
	v_add_f64 v[14:15], v[0:1], v[16:17]
	ds_read_b128 v[0:3], v9 offset:64
	v_add_f64 v[12:13], v[12:13], v[18:19]
	s_waitcnt lgkmcnt(1)
	v_add_f64 v[16:17], v[14:15], v[20:21]
	v_add_f64 v[20:21], v[12:13], v[22:23]
	ds_read_b128 v[12:15], v9 offset:80
	s_waitcnt lgkmcnt(1)
	v_add_f64 v[22:23], v[16:17], v[0:1]
	ds_read_b128 v[16:19], v9 offset:96
	v_add_f64 v[20:21], v[20:21], v[2:3]
	ds_read_b128 v[0:3], v9 offset:112
	s_waitcnt lgkmcnt(2)
	v_add_f64 v[12:13], v[22:23], v[12:13]
	v_add_f64 v[14:15], v[20:21], v[14:15]
	s_waitcnt lgkmcnt(1)
	v_add_f64 v[12:13], v[12:13], v[16:17]
	v_add_f64 v[14:15], v[14:15], v[18:19]
	s_waitcnt lgkmcnt(0)
	v_add_f64 v[0:1], v[12:13], v[0:1]
	v_add_f64 v[2:3], v[14:15], v[2:3]
.LBB60_91:
	s_or_b64 exec, exec, s[10:11]
	s_lshl_b64 s[10:11], s[18:19], 4
	v_mov_b32_e32 v9, s11
	v_subrev_co_u32_e64 v40, s[10:11], s10, v6
	s_and_b64 vcc, exec, s[16:17]
	v_subb_co_u32_e64 v41, s[10:11], v7, v9, s[10:11]
	s_barrier
	s_cbranch_vccnz .LBB60_108
; %bb.92:
	flat_load_dwordx4 v[12:15], v[40:41]
	v_mad_u32_u24 v9, v10, 33, v4
	s_lshl_b64 s[10:11], s[24:25], 7
	v_lshlrev_b32_e32 v20, 4, v9
	v_mov_b32_e32 v11, s11
	v_add_co_u32_e32 v6, vcc, s10, v40
	v_addc_co_u32_e32 v7, vcc, v41, v11, vcc
	v_add_u32_e32 v16, 0x1080, v20
	s_mul_i32 s12, s25, 0x180
	s_waitcnt vmcnt(0) lgkmcnt(0)
	ds_write2_b64 v20, v[12:13], v[14:15] offset1:1
	flat_load_dwordx4 v[12:15], v[6:7]
	v_add_co_u32_e32 v6, vcc, s10, v6
	v_addc_co_u32_e32 v7, vcc, v7, v11, vcc
	v_add_u32_e32 v11, 0x2100, v20
	s_waitcnt vmcnt(0) lgkmcnt(0)
	ds_write2_b64 v16, v[12:13], v[14:15] offset1:1
	flat_load_dwordx4 v[12:15], v[6:7]
	v_mov_b32_e32 v6, 0x180
	v_mad_u64_u32 v[6:7], s[10:11], s24, v6, v[40:41]
	v_add_u32_e32 v7, s12, v7
	s_waitcnt vmcnt(0) lgkmcnt(0)
	ds_write2_b64 v11, v[12:13], v[14:15] offset1:1
	flat_load_dwordx4 v[16:19], v[6:7]
	v_add_u32_e32 v11, 8, v10
	v_add_u32_e32 v12, 16, v10
	v_add_u32_e32 v13, 24, v10
	v_add_u32_e32 v7, 0x108, v9
	v_add_u32_e32 v6, 0x210, v9
	v_add_u32_e32 v14, 0x318, v9
	v_add_u32_e32 v15, 0x3180, v20
	s_waitcnt vmcnt(0) lgkmcnt(0)
	ds_write2_b64 v15, v[16:17], v[18:19] offset1:1
	s_cbranch_execz .LBB60_109
	s_branch .LBB60_126
.LBB60_93:
	v_cmp_eq_u32_e32 vcc, v12, v4
	s_and_saveexec_b64 s[38:39], vcc
	s_cbranch_execz .LBB60_95
; %bb.94:
	v_mul_u32_u24_e32 v9, 34, v4
	v_mov_b32_e32 v18, 0
	v_lshlrev_b32_e32 v9, 4, v9
	v_mov_b32_e32 v19, v18
	ds_write_b64 v9, v[18:19] offset:8
.LBB60_95:
	s_or_b64 exec, exec, s[38:39]
	s_andn2_saveexec_b64 s[8:9], s[8:9]
	s_cbranch_execz .LBB60_82
.LBB60_96:
	ds_read_b128 v[18:21], v16
	s_waitcnt lgkmcnt(0)
	v_xor_b32_e32 v21, 0x80000000, v21
	ds_write_b128 v5, v[18:21]
	s_or_b64 exec, exec, s[8:9]
	s_and_saveexec_b64 s[8:9], s[10:11]
	s_xor_b64 s[8:9], exec, s[8:9]
	s_cbranch_execz .LBB60_83
.LBB60_97:
	v_cmp_eq_u32_e32 vcc, v13, v4
	s_and_saveexec_b64 s[10:11], vcc
	s_cbranch_execz .LBB60_99
; %bb.98:
	v_mul_u32_u24_e32 v9, 34, v4
	v_mov_b32_e32 v12, 0
	v_lshlrev_b32_e32 v9, 4, v9
	v_mov_b32_e32 v13, v12
	ds_write_b64 v9, v[12:13] offset:8
.LBB60_99:
	s_or_b64 exec, exec, s[10:11]
	s_andn2_saveexec_b64 s[8:9], s[8:9]
	s_cbranch_execz .LBB60_84
.LBB60_100:
	ds_read_b128 v[18:21], v11
	s_waitcnt lgkmcnt(0)
	v_xor_b32_e32 v21, 0x80000000, v21
	ds_write_b128 v5, v[18:21] offset:16
	s_or_b64 exec, exec, s[8:9]
	s_and_saveexec_b64 s[8:9], s[12:13]
	s_xor_b64 s[8:9], exec, s[8:9]
	s_cbranch_execz .LBB60_85
.LBB60_101:
	v_cmp_eq_u32_e32 vcc, v14, v4
	s_and_saveexec_b64 s[10:11], vcc
	s_cbranch_execz .LBB60_103
; %bb.102:
	v_mul_u32_u24_e32 v9, 34, v4
	v_mov_b32_e32 v12, 0
	v_lshlrev_b32_e32 v9, 4, v9
	v_mov_b32_e32 v13, v12
	ds_write_b64 v9, v[12:13] offset:8
.LBB60_103:
	s_or_b64 exec, exec, s[10:11]
	s_andn2_saveexec_b64 s[8:9], s[8:9]
	s_cbranch_execz .LBB60_86
.LBB60_104:
	ds_read_b128 v[18:21], v11 offset:528
	s_waitcnt lgkmcnt(0)
	v_xor_b32_e32 v21, 0x80000000, v21
	ds_write_b128 v5, v[18:21] offset:32
	s_or_b64 exec, exec, s[8:9]
	s_and_saveexec_b64 s[8:9], s[14:15]
	s_xor_b64 s[8:9], exec, s[8:9]
	s_cbranch_execz .LBB60_87
.LBB60_105:
	v_cmp_eq_u32_e32 vcc, v15, v4
	s_and_saveexec_b64 s[10:11], vcc
	s_cbranch_execz .LBB60_107
; %bb.106:
	v_mul_u32_u24_e32 v9, 34, v4
	v_mov_b32_e32 v12, 0
	v_lshlrev_b32_e32 v9, 4, v9
	v_mov_b32_e32 v13, v12
	ds_write_b64 v9, v[12:13] offset:8
.LBB60_107:
	s_or_b64 exec, exec, s[10:11]
	s_andn2_saveexec_b64 s[8:9], s[8:9]
	s_cbranch_execnz .LBB60_88
	s_branch .LBB60_89
.LBB60_108:
                                        ; implicit-def: $vgpr9
                                        ; implicit-def: $vgpr11
                                        ; implicit-def: $vgpr7
                                        ; implicit-def: $vgpr12
                                        ; implicit-def: $vgpr6
                                        ; implicit-def: $vgpr13
                                        ; implicit-def: $vgpr14
.LBB60_109:
	v_or_b32_e32 v6, 32, v4
	v_lshlrev_b32_e32 v7, 4, v6
	v_sub_co_u32_e32 v7, vcc, v40, v7
	s_ashr_i32 s29, s28, 31
	v_subbrev_co_u32_e32 v9, vcc, 0, v41, vcc
	s_lshl_b64 s[12:13], s[28:29], 4
	v_mov_b32_e32 v11, s13
	v_add_co_u32_e32 v7, vcc, s12, v7
	v_addc_co_u32_e32 v9, vcc, v9, v11, vcc
	v_add_co_u32_e32 v11, vcc, -16, v7
	v_addc_co_u32_e32 v7, vcc, -1, v9, vcc
	v_cmp_gt_i32_e64 s[10:11], s28, v6
	v_mad_u32_u24 v9, v10, 33, v4
	v_cndmask_b32_e64 v7, v7, v41, s[10:11]
	v_cndmask_b32_e64 v6, v11, v40, s[10:11]
	v_cmp_le_i32_e32 vcc, s28, v10
	v_lshlrev_b32_e32 v15, 4, v9
	s_and_saveexec_b64 s[14:15], vcc
	s_xor_b64 s[14:15], exec, s[14:15]
	s_cbranch_execz .LBB60_111
; %bb.110:
	v_mov_b32_e32 v16, 0
	v_mov_b32_e32 v17, v16
	;; [unrolled: 1-line block ×4, first 2 shown]
	ds_write_b128 v15, v[16:19]
.LBB60_111:
	s_andn2_saveexec_b64 s[14:15], s[14:15]
	s_cbranch_execz .LBB60_113
; %bb.112:
	flat_load_dwordx4 v[16:19], v[6:7]
	s_waitcnt vmcnt(0) lgkmcnt(0)
	ds_write2_b64 v15, v[16:17], v[18:19] offset1:1
.LBB60_113:
	s_or_b64 exec, exec, s[14:15]
	v_add_u32_e32 v11, 8, v10
	v_cmp_le_i32_e32 vcc, s28, v11
	s_and_saveexec_b64 s[14:15], vcc
	s_xor_b64 s[14:15], exec, s[14:15]
	s_cbranch_execz .LBB60_115
; %bb.114:
	v_mul_u32_u24_e32 v12, 33, v11
	v_mov_b32_e32 v16, 0
	v_add_lshl_u32 v12, v12, v4, 4
	v_mov_b32_e32 v17, v16
	v_mov_b32_e32 v18, v16
	v_mov_b32_e32 v19, v16
	ds_write_b128 v12, v[16:19]
.LBB60_115:
	s_andn2_saveexec_b64 s[14:15], s[14:15]
	s_cbranch_execz .LBB60_117
; %bb.116:
	s_lshl_b64 s[16:17], s[24:25], 7
	v_mov_b32_e32 v13, s17
	v_add_co_u32_e32 v12, vcc, s16, v6
	v_addc_co_u32_e32 v13, vcc, v7, v13, vcc
	flat_load_dwordx4 v[16:19], v[12:13]
	v_add_u32_e32 v12, 0x1080, v15
	s_waitcnt vmcnt(0) lgkmcnt(0)
	ds_write2_b64 v12, v[16:17], v[18:19] offset1:1
.LBB60_117:
	s_or_b64 exec, exec, s[14:15]
	v_add_u32_e32 v12, 16, v10
	v_cmp_le_i32_e32 vcc, s28, v12
	s_and_saveexec_b64 s[14:15], vcc
	s_xor_b64 s[14:15], exec, s[14:15]
	s_cbranch_execz .LBB60_119
; %bb.118:
	v_mul_u32_u24_e32 v13, 33, v12
	v_mov_b32_e32 v16, 0
	v_add_lshl_u32 v13, v13, v4, 4
	v_mov_b32_e32 v17, v16
	v_mov_b32_e32 v18, v16
	;; [unrolled: 1-line block ×3, first 2 shown]
	ds_write_b128 v13, v[16:19]
.LBB60_119:
	s_andn2_saveexec_b64 s[14:15], s[14:15]
	s_cbranch_execz .LBB60_121
; %bb.120:
	s_lshl_b64 s[16:17], s[24:25], 8
	v_mov_b32_e32 v13, s17
	v_add_co_u32_e32 v16, vcc, s16, v6
	v_addc_co_u32_e32 v17, vcc, v7, v13, vcc
	flat_load_dwordx4 v[16:19], v[16:17]
	v_add_u32_e32 v13, 0x2100, v15
	s_waitcnt vmcnt(0) lgkmcnt(0)
	ds_write2_b64 v13, v[16:17], v[18:19] offset1:1
.LBB60_121:
	s_or_b64 exec, exec, s[14:15]
	v_add_u32_e32 v13, 24, v10
	v_cmp_le_i32_e32 vcc, s28, v13
                                        ; implicit-def: $vgpr14
	s_and_saveexec_b64 s[14:15], vcc
	s_xor_b64 s[14:15], exec, s[14:15]
	s_cbranch_execz .LBB60_123
; %bb.122:
	v_mov_b32_e32 v16, 0
	v_add_u32_e32 v14, 0x318, v9
	v_mov_b32_e32 v17, v16
	v_mov_b32_e32 v18, v16
	;; [unrolled: 1-line block ×3, first 2 shown]
	ds_write_b128 v15, v[16:19] offset:12672
                                        ; implicit-def: $vgpr15
.LBB60_123:
	s_andn2_saveexec_b64 s[14:15], s[14:15]
	s_cbranch_execz .LBB60_125
; %bb.124:
	v_mov_b32_e32 v14, 0x180
	v_mad_u64_u32 v[16:17], s[16:17], s24, v14, v[6:7]
	s_mul_i32 s16, s25, 0x180
	v_add_u32_e32 v17, s16, v17
	flat_load_dwordx4 v[16:19], v[16:17]
	v_add_u32_e32 v14, 0x318, v9
	v_add_u32_e32 v15, 0x3180, v15
	s_waitcnt vmcnt(0) lgkmcnt(0)
	ds_write2_b64 v15, v[16:17], v[18:19] offset1:1
.LBB60_125:
	s_or_b64 exec, exec, s[14:15]
	v_lshlrev_b32_e32 v4, 4, v4
	v_add_co_u32_e32 v4, vcc, v6, v4
	v_addc_co_u32_e32 v6, vcc, 0, v7, vcc
	v_mov_b32_e32 v7, s13
	v_subrev_co_u32_e32 v4, vcc, s12, v4
	v_subb_co_u32_e32 v6, vcc, v6, v7, vcc
	v_add_co_u32_e32 v4, vcc, 0x210, v4
	v_addc_co_u32_e32 v6, vcc, 0, v6, vcc
	v_cndmask_b32_e64 v41, v6, v41, s[10:11]
	v_cndmask_b32_e64 v40, v4, v40, s[10:11]
	v_add_u32_e32 v7, 0x108, v9
	v_add_u32_e32 v6, 0x210, v9
.LBB60_126:
	v_lshlrev_b32_e32 v4, 4, v9
	v_lshlrev_b32_e32 v9, 4, v10
	s_waitcnt lgkmcnt(0)
	s_barrier
	ds_read_b128 v[46:49], v9 offset:18176
	ds_read_b128 v[50:53], v4
	v_lshlrev_b32_e32 v4, 4, v7
	v_lshlrev_b32_e32 v7, 4, v11
	ds_read_b128 v[54:57], v7 offset:18176
	ds_read_b128 v[58:61], v4
	v_lshlrev_b32_e32 v4, 4, v6
	v_lshlrev_b32_e32 v6, 4, v12
	ds_read_b128 v[62:65], v6 offset:18176
	ds_read_b128 v[66:69], v4
	v_lshlrev_b32_e32 v6, 4, v13
	s_waitcnt lgkmcnt(4)
	v_mul_f64 v[10:11], v[48:49], v[52:53]
	v_lshlrev_b32_e32 v4, 4, v14
	ds_read_b128 v[70:73], v6 offset:18176
	ds_read_b128 v[74:77], v4
	v_fma_f64 v[10:11], v[46:47], v[50:51], -v[10:11]
	s_waitcnt lgkmcnt(4)
	v_mul_f64 v[16:17], v[56:57], v[60:61]
	v_add_f64 v[10:11], v[10:11], 0
	v_fma_f64 v[16:17], v[54:55], v[58:59], -v[16:17]
	v_add_f64 v[6:7], v[10:11], v[16:17]
	s_waitcnt lgkmcnt(2)
	v_mul_f64 v[10:11], v[64:65], v[68:69]
	v_fma_f64 v[10:11], v[62:63], v[66:67], -v[10:11]
	v_add_f64 v[6:7], v[6:7], v[10:11]
	s_waitcnt lgkmcnt(0)
	v_mul_f64 v[10:11], v[72:73], v[76:77]
	v_fma_f64 v[10:11], v[70:71], v[74:75], -v[10:11]
	v_add_f64 v[78:79], v[6:7], v[10:11]
	ds_read_b128 v[28:31], v5
	ds_read_b128 v[20:23], v5 offset:16
	ds_read_b128 v[12:15], v5 offset:32
	;; [unrolled: 1-line block ×7, first 2 shown]
	v_mul_f64 v[46:47], v[46:47], v[52:53]
	v_fmac_f64_e32 v[46:47], v[48:49], v[50:51]
	v_mul_f64 v[48:49], v[54:55], v[60:61]
	v_add_f64 v[46:47], v[46:47], 0
	v_fmac_f64_e32 v[48:49], v[56:57], v[58:59]
	v_add_f64 v[46:47], v[46:47], v[48:49]
	v_mul_f64 v[48:49], v[62:63], v[68:69]
	v_fmac_f64_e32 v[48:49], v[64:65], v[66:67]
	v_add_f64 v[46:47], v[46:47], v[48:49]
	v_mul_f64 v[48:49], v[70:71], v[76:77]
	v_fmac_f64_e32 v[48:49], v[72:73], v[74:75]
	v_add_f64 v[80:81], v[46:47], v[48:49]
	s_waitcnt lgkmcnt(0)
	s_barrier
	ds_write_b128 v45, v[78:81]
	s_waitcnt lgkmcnt(0)
	s_barrier
	s_and_saveexec_b64 s[10:11], s[8:9]
	s_cbranch_execz .LBB60_128
; %bb.127:
	v_lshlrev_b32_e32 v62, 4, v44
	ds_read_b128 v[46:49], v62
	ds_read_b128 v[50:53], v62 offset:16
	ds_read_b128 v[54:57], v62 offset:32
	;; [unrolled: 1-line block ×3, first 2 shown]
	s_waitcnt lgkmcnt(3)
	v_add_f64 v[0:1], v[0:1], v[46:47]
	v_add_f64 v[2:3], v[2:3], v[48:49]
	s_waitcnt lgkmcnt(2)
	v_add_f64 v[0:1], v[0:1], v[50:51]
	v_add_f64 v[46:47], v[2:3], v[52:53]
	s_waitcnt lgkmcnt(1)
	v_add_f64 v[48:49], v[0:1], v[54:55]
	ds_read_b128 v[0:3], v62 offset:64
	v_add_f64 v[46:47], v[46:47], v[56:57]
	s_waitcnt lgkmcnt(1)
	v_add_f64 v[50:51], v[48:49], v[58:59]
	v_add_f64 v[54:55], v[46:47], v[60:61]
	ds_read_b128 v[46:49], v62 offset:80
	s_waitcnt lgkmcnt(1)
	v_add_f64 v[56:57], v[50:51], v[0:1]
	ds_read_b128 v[50:53], v62 offset:96
	v_add_f64 v[54:55], v[54:55], v[2:3]
	ds_read_b128 v[0:3], v62 offset:112
	s_waitcnt lgkmcnt(2)
	v_add_f64 v[46:47], v[56:57], v[46:47]
	v_add_f64 v[48:49], v[54:55], v[48:49]
	s_waitcnt lgkmcnt(1)
	v_add_f64 v[46:47], v[46:47], v[50:51]
	v_add_f64 v[48:49], v[48:49], v[52:53]
	;; [unrolled: 3-line block ×3, first 2 shown]
.LBB60_128:
	s_or_b64 exec, exec, s[10:11]
	v_mul_f64 v[46:47], v[30:31], v[34:35]
	v_mul_f64 v[30:31], v[30:31], v[32:33]
	v_fmac_f64_e32 v[46:47], v[28:29], v[32:33]
	v_fma_f64 v[28:29], v[28:29], v[34:35], -v[30:31]
	v_mul_f64 v[32:33], v[22:23], v[26:27]
	v_mul_f64 v[22:23], v[22:23], v[24:25]
	v_add_f64 v[30:31], v[46:47], 0
	v_add_f64 v[28:29], v[28:29], 0
	v_fmac_f64_e32 v[32:33], v[20:21], v[24:25]
	v_fma_f64 v[20:21], v[20:21], v[26:27], -v[22:23]
	v_mul_f64 v[24:25], v[14:15], v[18:19]
	v_mul_f64 v[14:15], v[14:15], v[16:17]
	v_add_f64 v[22:23], v[30:31], v[32:33]
	v_add_f64 v[20:21], v[28:29], v[20:21]
	;; [unrolled: 6-line block ×3, first 2 shown]
	v_fmac_f64_e32 v[16:17], v[4:5], v[8:9]
	v_fma_f64 v[6:7], v[4:5], v[10:11], -v[6:7]
	v_add_f64 v[4:5], v[14:15], v[16:17]
	v_add_f64 v[6:7], v[12:13], v[6:7]
	s_barrier
	ds_write_b128 v45, v[4:7]
	s_waitcnt lgkmcnt(0)
	s_barrier
	s_and_saveexec_b64 s[8:9], s[20:21]
	s_cbranch_execz .LBB60_130
; %bb.129:
	v_lshlrev_b32_e32 v20, 4, v44
	ds_read_b128 v[4:7], v20
	ds_read_b128 v[8:11], v20 offset:16
	ds_read_b128 v[12:15], v20 offset:32
	ds_read_b128 v[16:19], v20 offset:48
	s_waitcnt lgkmcnt(3)
	v_add_f64 v[0:1], v[0:1], v[4:5]
	v_add_f64 v[2:3], v[2:3], v[6:7]
	s_waitcnt lgkmcnt(2)
	v_add_f64 v[0:1], v[0:1], v[8:9]
	v_add_f64 v[4:5], v[2:3], v[10:11]
	s_waitcnt lgkmcnt(1)
	v_add_f64 v[6:7], v[0:1], v[12:13]
	ds_read_b128 v[0:3], v20 offset:64
	v_add_f64 v[4:5], v[4:5], v[14:15]
	s_waitcnt lgkmcnt(1)
	v_add_f64 v[8:9], v[6:7], v[16:17]
	v_add_f64 v[12:13], v[4:5], v[18:19]
	ds_read_b128 v[4:7], v20 offset:80
	s_waitcnt lgkmcnt(1)
	v_add_f64 v[14:15], v[8:9], v[0:1]
	ds_read_b128 v[8:11], v20 offset:96
	v_add_f64 v[12:13], v[12:13], v[2:3]
	ds_read_b128 v[0:3], v20 offset:112
	s_waitcnt lgkmcnt(2)
	v_add_f64 v[4:5], v[14:15], v[4:5]
	v_add_f64 v[6:7], v[12:13], v[6:7]
	s_waitcnt lgkmcnt(1)
	v_add_f64 v[4:5], v[4:5], v[8:9]
	v_add_f64 v[6:7], v[6:7], v[10:11]
	;; [unrolled: 3-line block ×3, first 2 shown]
.LBB60_130:
	s_or_b64 exec, exec, s[8:9]
	s_load_dwordx2 s[4:5], s[4:5], 0x78
	s_mul_hi_u32 s8, s7, s26
	s_mul_i32 s33, s33, s26
	s_add_i32 s8, s8, s33
	s_mul_i32 s10, s7, s26
	s_mul_i32 s8, s8, s27
	s_mul_hi_u32 s9, s10, s27
	s_add_i32 s9, s9, s8
	s_mul_i32 s8, s10, s27
	s_lshl_b64 s[8:9], s[8:9], 4
	s_waitcnt lgkmcnt(0)
	s_add_u32 s8, s4, s8
	s_mul_i32 s4, s6, s7
	s_addc_u32 s9, s5, s9
	s_ashr_i32 s5, s4, 31
	s_lshl_b64 s[4:5], s[4:5], 4
	s_add_u32 s7, s8, s4
	v_cmp_le_i32_e32 vcc, s28, v42
	s_addc_u32 s14, s9, s5
	s_and_b64 vcc, s[36:37], vcc
	s_cmp_lt_i32 s6, 1
	v_lshlrev_b32_e32 v155, 4, v42
	s_barrier
	s_cbranch_scc1 .LBB60_137
; %bb.131:
	s_mul_i32 s4, s30, s23
	s_mul_hi_u32 s5, s30, s22
	s_add_i32 s4, s5, s4
	s_mul_i32 s5, s31, s22
	s_add_i32 s5, s4, s5
	s_mul_i32 s4, s30, s22
	s_lshl_b64 s[4:5], s[4:5], 4
	v_mov_b32_e32 v4, s5
	v_subrev_co_u32_e64 v156, s[4:5], s4, v36
	v_subb_co_u32_e64 v157, s[4:5], v37, v4, s[4:5]
	v_mov_b32_e32 v4, s35
	v_subrev_co_u32_e64 v5, s[4:5], s34, v40
	v_subb_co_u32_e64 v4, s[4:5], v41, v4, s[4:5]
	v_lshlrev_b32_e32 v7, 2, v154
	v_sub_co_u32_e64 v8, s[4:5], v5, v38
	v_subb_co_u32_e64 v9, s[4:5], v4, v39, s[4:5]
	v_mad_u64_u32 v[4:5], s[4:5], v7, s24, 0
	v_mov_b32_e32 v6, v5
	v_mad_u64_u32 v[6:7], s[4:5], v7, s25, v[6:7]
	v_mov_b32_e32 v5, v6
	v_lshlrev_b64 v[4:5], 4, v[4:5]
	v_add_co_u32_e64 v4, s[4:5], v8, v4
	v_addc_co_u32_e64 v5, s[4:5], v9, v5, s[4:5]
	s_movk_i32 s4, 0xfe00
	v_add_co_u32_e64 v4, s[4:5], s4, v4
	v_addc_co_u32_e64 v5, s[4:5], -1, v5, s[4:5]
	s_ashr_i32 s29, s28, 31
	s_lshl_b64 s[4:5], s[28:29], 4
	v_mov_b32_e32 v6, s5
	v_add_co_u32_e64 v7, s[4:5], s4, v4
	v_addc_co_u32_e64 v6, s[4:5], v5, v6, s[4:5]
	v_add_co_u32_e64 v7, s[4:5], -16, v7
	v_addc_co_u32_e64 v6, s[4:5], -1, v6, s[4:5]
	v_add_co_u32_e64 v4, s[4:5], v4, v155
	v_addc_co_u32_e64 v5, s[4:5], 0, v5, s[4:5]
	v_cndmask_b32_e32 v8, v4, v7, vcc
	v_and_b32_e32 v4, 48, v42
	v_and_b32_e32 v10, 15, v42
	v_cndmask_b32_e32 v9, v5, v6, vcc
	v_lshlrev_b32_e32 v5, 4, v4
	s_movk_i32 s8, 0x430
	v_mad_u32_u24 v160, v10, s8, v5
	v_or_b32_e32 v5, 0xf0, v155
	v_mad_u32_u24 v161, v10, s8, v5
	v_lshlrev_b32_e32 v5, 2, v43
	v_and_b32_e32 v5, 0x7ffc0, v5
	v_mad_u32_u24 v162, v10, s8, v5
	v_mov_b32_e32 v5, 0x4300
	v_lshl_add_u32 v163, v154, 6, v5
	s_movk_i32 s9, 0x10c0
	v_and_b32_e32 v5, 0x1fff0, v43
	v_mad_u32_u24 v164, v154, s9, v155
	v_mad_u32_u24 v165, v10, s8, v5
	s_mul_i32 s8, s25, 0xd0
	s_mul_hi_u32 s9, s24, 0xd0
	s_lshl_b64 s[10:11], s[24:25], 4
	s_add_i32 s15, s9, s8
	v_mov_b32_e32 v151, 0
	v_add_u32_e32 v158, 0x4300, v155
	v_add_u32_e32 v159, 0x4700, v155
	v_cmp_gt_u32_e64 s[4:5], 64, v43
	s_mul_i32 s16, s24, 0xd0
	v_or_b32_e32 v166, v4, v10
	s_mov_b32 s17, 0
	v_mov_b32_e32 v167, s11
	v_mov_b32_e32 v168, s15
	s_branch .LBB60_133
.LBB60_132:                             ;   in Loop: Header=BB60_133 Depth=1
	s_or_b64 exec, exec, s[12:13]
	v_mul_f64 v[132:133], v[6:7], v[22:23]
	v_fma_f64 v[132:133], v[4:5], v[20:21], -v[132:133]
	v_mul_f64 v[4:5], v[4:5], v[22:23]
	v_mul_f64 v[22:23], v[10:11], v[42:43]
	v_add_f64 v[0:1], v[0:1], v[132:133]
	v_fma_f64 v[22:23], v[8:9], v[40:41], -v[22:23]
	v_add_f64 v[0:1], v[0:1], v[22:23]
	v_mul_f64 v[22:23], v[14:15], v[46:47]
	v_fma_f64 v[22:23], v[12:13], v[44:45], -v[22:23]
	v_add_f64 v[0:1], v[0:1], v[22:23]
	v_mul_f64 v[22:23], v[18:19], v[50:51]
	v_fmac_f64_e32 v[4:5], v[6:7], v[20:21]
	v_fma_f64 v[22:23], v[16:17], v[48:49], -v[22:23]
	v_add_f64 v[2:3], v[2:3], v[4:5]
	v_mul_f64 v[4:5], v[26:27], v[70:71]
	v_add_f64 v[0:1], v[0:1], v[22:23]
	v_fma_f64 v[4:5], v[24:25], v[68:69], -v[4:5]
	v_add_f64 v[0:1], v[0:1], v[4:5]
	v_mul_f64 v[4:5], v[34:35], v[82:83]
	v_fma_f64 v[4:5], v[32:33], v[80:81], -v[4:5]
	v_add_f64 v[0:1], v[0:1], v[4:5]
	v_mul_f64 v[4:5], v[30:31], v[78:79]
	;; [unrolled: 3-line block ×4, first 2 shown]
	v_mul_f64 v[8:9], v[8:9], v[42:43]
	v_fma_f64 v[4:5], v[52:53], v[100:101], -v[4:5]
	v_mul_f64 v[12:13], v[12:13], v[46:47]
	v_fmac_f64_e32 v[8:9], v[10:11], v[40:41]
	v_add_f64 v[0:1], v[0:1], v[4:5]
	v_mul_f64 v[4:5], v[62:63], v[118:119]
	v_mul_f64 v[16:17], v[16:17], v[50:51]
	v_add_f64 v[2:3], v[2:3], v[8:9]
	v_fmac_f64_e32 v[12:13], v[14:15], v[44:45]
	v_fma_f64 v[4:5], v[60:61], v[116:117], -v[4:5]
	v_add_f64 v[2:3], v[2:3], v[12:13]
	v_fmac_f64_e32 v[16:17], v[18:19], v[48:49]
	v_mul_f64 v[6:7], v[24:25], v[70:71]
	v_add_f64 v[0:1], v[0:1], v[4:5]
	v_mul_f64 v[4:5], v[58:59], v[114:115]
	v_add_f64 v[2:3], v[2:3], v[16:17]
	v_mul_f64 v[8:9], v[32:33], v[82:83]
	v_fmac_f64_e32 v[6:7], v[26:27], v[68:69]
	v_fma_f64 v[4:5], v[56:57], v[112:113], -v[4:5]
	v_mul_f64 v[10:11], v[28:29], v[78:79]
	v_add_f64 v[2:3], v[2:3], v[6:7]
	v_fmac_f64_e32 v[8:9], v[34:35], v[80:81]
	v_add_f64 v[0:1], v[0:1], v[4:5]
	v_mul_f64 v[4:5], v[66:67], v[110:111]
	v_mul_f64 v[12:13], v[36:37], v[74:75]
	v_add_f64 v[2:3], v[2:3], v[8:9]
	v_fmac_f64_e32 v[10:11], v[30:31], v[76:77]
	v_fma_f64 v[4:5], v[64:65], v[108:109], -v[4:5]
	v_add_f64 v[2:3], v[2:3], v[10:11]
	v_fmac_f64_e32 v[12:13], v[38:39], v[72:73]
	v_mul_f64 v[6:7], v[52:53], v[102:103]
	v_add_f64 v[0:1], v[0:1], v[4:5]
	v_mul_f64 v[4:5], v[90:91], v[106:107]
	v_add_f64 v[2:3], v[2:3], v[12:13]
	v_mul_f64 v[8:9], v[60:61], v[118:119]
	v_fmac_f64_e32 v[6:7], v[54:55], v[100:101]
	v_fma_f64 v[4:5], v[88:89], v[104:105], -v[4:5]
	v_mul_f64 v[10:11], v[56:57], v[114:115]
	v_add_f64 v[2:3], v[2:3], v[6:7]
	v_fmac_f64_e32 v[8:9], v[62:63], v[116:117]
	v_add_f64 v[0:1], v[0:1], v[4:5]
	v_mul_f64 v[4:5], v[94:95], v[122:123]
	v_mul_f64 v[12:13], v[64:65], v[110:111]
	v_add_f64 v[2:3], v[2:3], v[8:9]
	v_fmac_f64_e32 v[10:11], v[58:59], v[112:113]
	v_fma_f64 v[4:5], v[92:93], v[120:121], -v[4:5]
	v_add_f64 v[2:3], v[2:3], v[10:11]
	v_fmac_f64_e32 v[12:13], v[66:67], v[108:109]
	v_mul_f64 v[6:7], v[88:89], v[106:107]
	v_add_f64 v[0:1], v[0:1], v[4:5]
	v_mul_f64 v[4:5], v[86:87], v[126:127]
	v_add_f64 v[2:3], v[2:3], v[12:13]
	v_mul_f64 v[8:9], v[92:93], v[122:123]
	v_fma_f64 v[4:5], v[84:85], v[124:125], -v[4:5]
	v_fmac_f64_e32 v[6:7], v[90:91], v[104:105]
	v_mul_f64 v[10:11], v[84:85], v[126:127]
	v_add_f64 v[0:1], v[0:1], v[4:5]
	v_mul_f64 v[4:5], v[98:99], v[130:131]
	v_fmac_f64_e32 v[8:9], v[94:95], v[120:121]
	v_add_f64 v[2:3], v[2:3], v[6:7]
	v_fma_f64 v[4:5], v[96:97], v[128:129], -v[4:5]
	v_mul_f64 v[12:13], v[96:97], v[130:131]
	v_fmac_f64_e32 v[10:11], v[86:87], v[124:125]
	v_add_f64 v[2:3], v[2:3], v[8:9]
	v_add_f64 v[0:1], v[0:1], v[4:5]
	v_fmac_f64_e32 v[12:13], v[98:99], v[128:129]
	v_add_f64 v[2:3], v[2:3], v[10:11]
	s_add_i32 s17, s17, 64
	s_add_i32 s6, s6, -1
	v_mov_b32_e32 v4, s15
	v_add_co_u32_e64 v8, s[8:9], s16, v152
	v_add_f64 v[2:3], v[2:3], v[12:13]
	s_cmp_eq_u32 s6, 0
	v_addc_co_u32_e64 v9, s[8:9], v153, v4, s[8:9]
	s_barrier
	s_cbranch_scc1 .LBB60_137
.LBB60_133:                             ; =>This Inner Loop Header: Depth=1
	s_and_saveexec_b64 s[12:13], s[2:3]
	s_cbranch_execz .LBB60_135
; %bb.134:                              ;   in Loop: Header=BB60_133 Depth=1
	s_mul_i32 s8, s17, s23
	s_mul_hi_u32 s9, s17, s22
	s_add_i32 s9, s9, s8
	s_mul_i32 s8, s17, s22
	s_lshl_b64 s[8:9], s[8:9], 4
	v_mov_b32_e32 v5, s9
	v_add_co_u32_e64 v4, s[8:9], s8, v156
	v_addc_co_u32_e64 v5, s[8:9], v157, v5, s[8:9]
	flat_load_dwordx4 v[4:7], v[4:5]
	s_waitcnt vmcnt(0) lgkmcnt(0)
	ds_write2_b64 v158, v[4:5], v[6:7] offset1:1
.LBB60_135:                             ;   in Loop: Header=BB60_133 Depth=1
	s_or_b64 exec, exec, s[12:13]
	v_add_co_u32_e64 v12, s[8:9], s10, v8
	v_addc_co_u32_e64 v13, s[8:9], v9, v167, s[8:9]
	v_add_co_u32_e64 v16, s[8:9], s10, v12
	s_waitcnt lgkmcnt(0)
	s_barrier
	flat_load_dwordx4 v[4:7], v[8:9]
	v_addc_co_u32_e64 v17, s[8:9], v13, v167, s[8:9]
	flat_load_dwordx4 v[8:11], v[12:13]
	v_add_co_u32_e64 v28, s[8:9], s10, v16
	flat_load_dwordx4 v[12:15], v[16:17]
	v_addc_co_u32_e64 v29, s[8:9], v17, v167, s[8:9]
	flat_load_dwordx4 v[16:19], v[28:29]
	ds_read_b128 v[24:27], v159
	ds_read_b128 v[20:23], v163
	v_add_co_u32_e64 v36, s[8:9], s16, v28
	v_addc_co_u32_e64 v37, s[8:9], v29, v168, s[8:9]
	v_add_co_u32_e64 v38, s[8:9], s10, v36
	v_addc_co_u32_e64 v39, s[8:9], v37, v167, s[8:9]
	;; [unrolled: 2-line block ×3, first 2 shown]
	s_waitcnt vmcnt(0) lgkmcnt(0)
	v_mul_f64 v[28:29], v[6:7], v[26:27]
	v_mul_f64 v[30:31], v[6:7], v[24:25]
	v_fmac_f64_e32 v[28:29], v[4:5], v[24:25]
	v_fma_f64 v[30:31], v[4:5], v[26:27], -v[30:31]
	v_mul_f64 v[32:33], v[10:11], v[26:27]
	v_mul_f64 v[34:35], v[10:11], v[24:25]
	ds_write_b128 v164, v[28:31]
	v_fmac_f64_e32 v[32:33], v[8:9], v[24:25]
	v_fma_f64 v[34:35], v[8:9], v[26:27], -v[34:35]
	v_mul_f64 v[28:29], v[14:15], v[26:27]
	v_mul_f64 v[30:31], v[14:15], v[24:25]
	ds_read_b128 v[40:43], v163 offset:16
	ds_write_b128 v164, v[32:35] offset:1072
	v_fmac_f64_e32 v[28:29], v[12:13], v[24:25]
	v_fma_f64 v[30:31], v[12:13], v[26:27], -v[30:31]
	v_mul_f64 v[32:33], v[18:19], v[26:27]
	v_mul_f64 v[34:35], v[18:19], v[24:25]
	ds_read_b128 v[44:47], v163 offset:32
	ds_write_b128 v164, v[28:31] offset:2144
	v_fmac_f64_e32 v[32:33], v[16:17], v[24:25]
	v_fma_f64 v[34:35], v[16:17], v[26:27], -v[34:35]
	ds_read_b128 v[48:51], v163 offset:48
	ds_write_b128 v164, v[32:35] offset:3216
	s_waitcnt lgkmcnt(0)
	s_barrier
	ds_read_b128 v[128:131], v162
	ds_read_b128 v[124:127], v162 offset:16
	ds_read_b128 v[120:123], v162 offset:32
	ds_read_b128 v[104:107], v162 offset:48
	s_waitcnt lgkmcnt(0)
	s_barrier
	flat_load_dwordx4 v[24:27], v[36:37]
	flat_load_dwordx4 v[32:35], v[38:39]
	;; [unrolled: 1-line block ×3, first 2 shown]
	v_add_co_u32_e64 v52, s[8:9], s10, v52
	v_addc_co_u32_e64 v53, s[8:9], v53, v167, s[8:9]
	flat_load_dwordx4 v[36:39], v[52:53]
	v_add_co_u32_e64 v88, s[8:9], s16, v52
	v_addc_co_u32_e64 v89, s[8:9], v53, v168, s[8:9]
	ds_read_b128 v[52:55], v159
	ds_read_b128 v[68:71], v163 offset:256
	v_add_co_u32_e64 v90, s[8:9], s10, v88
	v_addc_co_u32_e64 v91, s[8:9], v89, v167, s[8:9]
	v_add_co_u32_e64 v92, s[8:9], s10, v90
	v_addc_co_u32_e64 v93, s[8:9], v91, v167, s[8:9]
	v_add_f64 v[128:129], v[128:129], 0
	v_add_f64 v[130:131], v[130:131], 0
	;; [unrolled: 1-line block ×6, first 2 shown]
	s_waitcnt vmcnt(0) lgkmcnt(0)
	v_mul_f64 v[56:57], v[26:27], v[54:55]
	v_mul_f64 v[58:59], v[26:27], v[52:53]
	;; [unrolled: 1-line block ×4, first 2 shown]
	v_fmac_f64_e32 v[56:57], v[24:25], v[52:53]
	v_fma_f64 v[58:59], v[24:25], v[54:55], -v[58:59]
	v_mul_f64 v[64:65], v[30:31], v[54:55]
	v_mul_f64 v[66:67], v[30:31], v[52:53]
	v_fmac_f64_e32 v[60:61], v[32:33], v[52:53]
	v_fma_f64 v[62:63], v[32:33], v[54:55], -v[62:63]
	ds_write_b128 v164, v[56:59]
	v_mul_f64 v[84:85], v[38:39], v[54:55]
	v_mul_f64 v[72:73], v[38:39], v[52:53]
	v_fmac_f64_e32 v[64:65], v[28:29], v[52:53]
	v_fma_f64 v[66:67], v[28:29], v[54:55], -v[66:67]
	ds_read_b128 v[80:83], v163 offset:272
	ds_write_b128 v164, v[60:63] offset:1072
	v_fmac_f64_e32 v[84:85], v[36:37], v[52:53]
	v_fma_f64 v[86:87], v[36:37], v[54:55], -v[72:73]
	ds_read_b128 v[76:79], v163 offset:288
	ds_write_b128 v164, v[64:67] offset:2144
	ds_read_b128 v[72:75], v163 offset:304
	ds_write_b128 v164, v[84:87] offset:3216
	v_add_co_u32_e64 v84, s[8:9], s10, v92
	s_waitcnt lgkmcnt(0)
	s_barrier
	ds_read_b128 v[144:147], v162
	ds_read_b128 v[140:143], v162 offset:16
	ds_read_b128 v[136:139], v162 offset:32
	;; [unrolled: 1-line block ×3, first 2 shown]
	s_waitcnt lgkmcnt(0)
	s_barrier
	flat_load_dwordx4 v[52:55], v[88:89]
	flat_load_dwordx4 v[60:63], v[90:91]
	;; [unrolled: 1-line block ×3, first 2 shown]
	v_addc_co_u32_e64 v85, s[8:9], v93, v167, s[8:9]
	flat_load_dwordx4 v[64:67], v[84:85]
	v_add_co_u32_e64 v152, s[8:9], s16, v84
	v_addc_co_u32_e64 v153, s[8:9], v85, v168, s[8:9]
	ds_read_b128 v[84:87], v159
	ds_read_b128 v[100:103], v163 offset:512
	v_add_co_u32_e64 v186, s[8:9], s10, v152
	v_addc_co_u32_e64 v187, s[8:9], v153, v167, s[8:9]
	v_add_co_u32_e64 v188, s[8:9], s10, v186
	v_addc_co_u32_e64 v189, s[8:9], v187, v167, s[8:9]
	s_waitcnt vmcnt(0) lgkmcnt(0)
	v_mul_f64 v[88:89], v[54:55], v[86:87]
	v_mul_f64 v[90:91], v[54:55], v[84:85]
	;; [unrolled: 1-line block ×4, first 2 shown]
	v_fmac_f64_e32 v[88:89], v[52:53], v[84:85]
	v_fma_f64 v[90:91], v[52:53], v[86:87], -v[90:91]
	v_mul_f64 v[96:97], v[58:59], v[86:87]
	v_mul_f64 v[98:99], v[58:59], v[84:85]
	v_fmac_f64_e32 v[92:93], v[60:61], v[84:85]
	v_fma_f64 v[94:95], v[60:61], v[86:87], -v[94:95]
	ds_write_b128 v164, v[88:91]
	v_mul_f64 v[170:171], v[66:67], v[86:87]
	v_mul_f64 v[108:109], v[66:67], v[84:85]
	v_fmac_f64_e32 v[96:97], v[56:57], v[84:85]
	v_fma_f64 v[98:99], v[56:57], v[86:87], -v[98:99]
	ds_read_b128 v[116:119], v163 offset:528
	ds_write_b128 v164, v[92:95] offset:1072
	v_fmac_f64_e32 v[170:171], v[64:65], v[84:85]
	v_fma_f64 v[172:173], v[64:65], v[86:87], -v[108:109]
	ds_read_b128 v[112:115], v163 offset:544
	ds_write_b128 v164, v[96:99] offset:2144
	ds_read_b128 v[108:111], v163 offset:560
	ds_write_b128 v164, v[170:173] offset:3216
	s_waitcnt lgkmcnt(0)
	s_barrier
	ds_read_b128 v[170:173], v162
	ds_read_b128 v[174:177], v162 offset:16
	ds_read_b128 v[178:181], v162 offset:32
	;; [unrolled: 1-line block ×3, first 2 shown]
	s_waitcnt lgkmcnt(0)
	s_barrier
	flat_load_dwordx4 v[88:91], v[152:153]
	flat_load_dwordx4 v[92:95], v[186:187]
	;; [unrolled: 1-line block ×3, first 2 shown]
	v_add_co_u32_e64 v152, s[8:9], s10, v188
	v_addc_co_u32_e64 v153, s[8:9], v189, v167, s[8:9]
	flat_load_dwordx4 v[96:99], v[152:153]
	v_add_f64 v[186:187], v[120:121], v[104:105]
	v_add_f64 v[188:189], v[122:123], v[106:107]
	;; [unrolled: 1-line block ×10, first 2 shown]
	ds_read_b128 v[120:123], v159
	ds_read_b128 v[104:107], v163 offset:768
	v_add_f64 v[124:125], v[170:171], 0
	v_add_f64 v[126:127], v[172:173], 0
	;; [unrolled: 1-line block ×8, first 2 shown]
	s_waitcnt vmcnt(0) lgkmcnt(0)
	v_mul_f64 v[124:125], v[90:91], v[122:123]
	v_mul_f64 v[126:127], v[90:91], v[120:121]
	;; [unrolled: 1-line block ×4, first 2 shown]
	v_fma_f64 v[126:127], v[88:89], v[122:123], -v[126:127]
	v_fmac_f64_e32 v[124:125], v[88:89], v[120:121]
	v_mul_f64 v[140:141], v[86:87], v[122:123]
	v_mul_f64 v[142:143], v[86:87], v[120:121]
	;; [unrolled: 1-line block ×4, first 2 shown]
	v_fma_f64 v[130:131], v[92:93], v[122:123], -v[130:131]
	v_fmac_f64_e32 v[128:129], v[92:93], v[120:121]
	ds_write_b128 v164, v[124:127]
	v_fma_f64 v[142:143], v[84:85], v[122:123], -v[142:143]
	v_fma_f64 v[146:147], v[96:97], v[122:123], -v[146:147]
	v_fmac_f64_e32 v[140:141], v[84:85], v[120:121]
	v_fmac_f64_e32 v[144:145], v[96:97], v[120:121]
	ds_read_b128 v[120:123], v163 offset:784
	ds_write_b128 v164, v[128:131] offset:1072
	ds_read_b128 v[124:127], v163 offset:800
	ds_write_b128 v164, v[140:143] offset:2144
	;; [unrolled: 2-line block ×3, first 2 shown]
	s_waitcnt lgkmcnt(0)
	s_barrier
	ds_read_b128 v[140:143], v162
	ds_read_b128 v[144:147], v162 offset:16
	ds_read_b128 v[170:173], v162 offset:32
	;; [unrolled: 1-line block ×3, first 2 shown]
	s_waitcnt lgkmcnt(0)
	s_barrier
	ds_write_b128 v165, v[186:189]
	ds_write_b128 v165, v[132:135] offset:256
	ds_write_b128 v165, v[136:139] offset:512
	v_add_f64 v[132:133], v[140:141], 0
	v_add_f64 v[134:135], v[142:143], 0
	;; [unrolled: 1-line block ×8, first 2 shown]
	ds_write_b128 v165, v[132:135] offset:768
	s_waitcnt lgkmcnt(0)
	s_barrier
	s_and_saveexec_b64 s[12:13], s[4:5]
	s_cbranch_execz .LBB60_132
; %bb.136:                              ;   in Loop: Header=BB60_133 Depth=1
	ds_read_b128 v[132:135], v160
	ds_read_b128 v[136:139], v160 offset:16
	ds_read_b128 v[140:143], v160 offset:32
	;; [unrolled: 1-line block ×3, first 2 shown]
	v_add_u32_e32 v150, s17, v166
	s_waitcnt lgkmcnt(2)
	v_add_f64 v[132:133], v[136:137], v[132:133]
	v_add_f64 v[136:137], v[138:139], v[134:135]
	s_waitcnt lgkmcnt(1)
	v_add_f64 v[138:139], v[132:133], v[140:141]
	ds_read_b128 v[132:135], v160 offset:64
	v_add_f64 v[140:141], v[136:137], v[142:143]
	s_waitcnt lgkmcnt(1)
	v_add_f64 v[142:143], v[138:139], v[144:145]
	ds_read_b128 v[136:139], v160 offset:80
	;; [unrolled: 4-line block ×9, first 2 shown]
	v_add_f64 v[134:135], v[144:145], v[134:135]
	s_waitcnt lgkmcnt(1)
	v_add_f64 v[136:137], v[132:133], v[136:137]
	v_add_f64 v[144:145], v[134:135], v[138:139]
	ds_read_b128 v[132:135], v160 offset:208
	s_waitcnt lgkmcnt(1)
	v_add_f64 v[146:147], v[136:137], v[140:141]
	ds_read_b128 v[136:139], v160 offset:224
	v_add_f64 v[144:145], v[144:145], v[142:143]
	ds_read_b128 v[140:143], v161
	s_waitcnt lgkmcnt(2)
	v_add_f64 v[132:133], v[146:147], v[132:133]
	v_add_f64 v[134:135], v[144:145], v[134:135]
	s_waitcnt lgkmcnt(1)
	v_add_f64 v[132:133], v[132:133], v[136:137]
	v_lshlrev_b64 v[136:137], 4, v[150:151]
	v_add_f64 v[134:135], v[134:135], v[138:139]
	v_mov_b32_e32 v138, s14
	v_add_co_u32_e64 v136, s[8:9], s7, v136
	s_waitcnt lgkmcnt(0)
	v_add_f64 v[132:133], v[132:133], v[140:141]
	v_add_f64 v[134:135], v[134:135], v[142:143]
	v_addc_co_u32_e64 v137, s[8:9], v138, v137, s[8:9]
	global_store_dwordx4 v[136:137], v[132:135], off
	s_branch .LBB60_132
.LBB60_137:
	s_movk_i32 s2, 0x430
	s_or_b64 s[0:1], s[0:1], vcc
	v_mad_u32_u24 v4, v154, s2, v155
	s_xor_b64 s[0:1], s[0:1], -1
	ds_write_b128 v4, v[0:3]
	s_waitcnt lgkmcnt(0)
	s_barrier
	s_and_saveexec_b64 s[2:3], s[0:1]
	s_cbranch_execz .LBB60_139
; %bb.138:
	ds_read_b128 v[0:3], v155 offset:1072
	ds_read_b128 v[4:7], v155
	ds_read_b128 v[8:11], v155 offset:2144
	ds_read_b128 v[12:15], v155 offset:3216
	s_waitcnt lgkmcnt(2)
	v_add_f64 v[0:1], v[0:1], v[4:5]
	v_add_f64 v[2:3], v[2:3], v[6:7]
	v_lshlrev_b64 v[4:5], 4, v[148:149]
	s_waitcnt lgkmcnt(1)
	v_add_f64 v[0:1], v[0:1], v[8:9]
	v_add_f64 v[2:3], v[2:3], v[10:11]
	v_mov_b32_e32 v6, s14
	v_add_co_u32_e32 v4, vcc, s7, v4
	s_waitcnt lgkmcnt(0)
	v_add_f64 v[0:1], v[0:1], v[12:13]
	v_add_f64 v[2:3], v[2:3], v[14:15]
	v_addc_co_u32_e32 v5, vcc, v6, v5, vcc
	global_store_dwordx4 v[4:5], v[0:3], off
.LBB60_139:
	s_endpgm
	.section	.rodata,"a",@progbits
	.p2align	6, 0x0
	.amdhsa_kernel _ZL26rocblas_hemvn_kernel_lowerILb1ELi64ELi4ELi33ELi32ELi16El19rocblas_complex_numIdEPKPKS1_PS1_EviT6_lT7_lT5_lS8_lS9_lS7_lT8_i
		.amdhsa_group_segment_fixed_size 19200
		.amdhsa_private_segment_fixed_size 0
		.amdhsa_kernarg_size 392
		.amdhsa_user_sgpr_count 6
		.amdhsa_user_sgpr_private_segment_buffer 1
		.amdhsa_user_sgpr_dispatch_ptr 0
		.amdhsa_user_sgpr_queue_ptr 0
		.amdhsa_user_sgpr_kernarg_segment_ptr 1
		.amdhsa_user_sgpr_dispatch_id 0
		.amdhsa_user_sgpr_flat_scratch_init 0
		.amdhsa_user_sgpr_kernarg_preload_length 0
		.amdhsa_user_sgpr_kernarg_preload_offset 0
		.amdhsa_user_sgpr_private_segment_size 0
		.amdhsa_uses_dynamic_stack 0
		.amdhsa_system_sgpr_private_segment_wavefront_offset 0
		.amdhsa_system_sgpr_workgroup_id_x 1
		.amdhsa_system_sgpr_workgroup_id_y 0
		.amdhsa_system_sgpr_workgroup_id_z 1
		.amdhsa_system_sgpr_workgroup_info 0
		.amdhsa_system_vgpr_workitem_id 1
		.amdhsa_next_free_vgpr 190
		.amdhsa_next_free_sgpr 44
		.amdhsa_accum_offset 192
		.amdhsa_reserve_vcc 1
		.amdhsa_reserve_flat_scratch 0
		.amdhsa_float_round_mode_32 0
		.amdhsa_float_round_mode_16_64 0
		.amdhsa_float_denorm_mode_32 3
		.amdhsa_float_denorm_mode_16_64 3
		.amdhsa_dx10_clamp 1
		.amdhsa_ieee_mode 1
		.amdhsa_fp16_overflow 0
		.amdhsa_tg_split 0
		.amdhsa_exception_fp_ieee_invalid_op 0
		.amdhsa_exception_fp_denorm_src 0
		.amdhsa_exception_fp_ieee_div_zero 0
		.amdhsa_exception_fp_ieee_overflow 0
		.amdhsa_exception_fp_ieee_underflow 0
		.amdhsa_exception_fp_ieee_inexact 0
		.amdhsa_exception_int_div_zero 0
	.end_amdhsa_kernel
	.section	.text._ZL26rocblas_hemvn_kernel_lowerILb1ELi64ELi4ELi33ELi32ELi16El19rocblas_complex_numIdEPKPKS1_PS1_EviT6_lT7_lT5_lS8_lS9_lS7_lT8_i,"axG",@progbits,_ZL26rocblas_hemvn_kernel_lowerILb1ELi64ELi4ELi33ELi32ELi16El19rocblas_complex_numIdEPKPKS1_PS1_EviT6_lT7_lT5_lS8_lS9_lS7_lT8_i,comdat
.Lfunc_end60:
	.size	_ZL26rocblas_hemvn_kernel_lowerILb1ELi64ELi4ELi33ELi32ELi16El19rocblas_complex_numIdEPKPKS1_PS1_EviT6_lT7_lT5_lS8_lS9_lS7_lT8_i, .Lfunc_end60-_ZL26rocblas_hemvn_kernel_lowerILb1ELi64ELi4ELi33ELi32ELi16El19rocblas_complex_numIdEPKPKS1_PS1_EviT6_lT7_lT5_lS8_lS9_lS7_lT8_i
                                        ; -- End function
	.section	.AMDGPU.csdata,"",@progbits
; Kernel info:
; codeLenInByte = 9732
; NumSgprs: 48
; NumVgprs: 190
; NumAgprs: 0
; TotalNumVgprs: 190
; ScratchSize: 0
; MemoryBound: 0
; FloatMode: 240
; IeeeMode: 1
; LDSByteSize: 19200 bytes/workgroup (compile time only)
; SGPRBlocks: 5
; VGPRBlocks: 23
; NumSGPRsForWavesPerEU: 48
; NumVGPRsForWavesPerEU: 190
; AccumOffset: 192
; Occupancy: 2
; WaveLimiterHint : 0
; COMPUTE_PGM_RSRC2:SCRATCH_EN: 0
; COMPUTE_PGM_RSRC2:USER_SGPR: 6
; COMPUTE_PGM_RSRC2:TRAP_HANDLER: 0
; COMPUTE_PGM_RSRC2:TGID_X_EN: 1
; COMPUTE_PGM_RSRC2:TGID_Y_EN: 0
; COMPUTE_PGM_RSRC2:TGID_Z_EN: 1
; COMPUTE_PGM_RSRC2:TIDIG_COMP_CNT: 1
; COMPUTE_PGM_RSRC3_GFX90A:ACCUM_OFFSET: 47
; COMPUTE_PGM_RSRC3_GFX90A:TG_SPLIT: 0
	.section	.text._ZL36rocblas_hemvn_kernel_lower_block_sumILi64El19rocblas_complex_numIdEPKPS1_S1_EviT1_lS5_lT2_lT0_lPT3_i,"axG",@progbits,_ZL36rocblas_hemvn_kernel_lower_block_sumILi64El19rocblas_complex_numIdEPKPS1_S1_EviT1_lS5_lT2_lT0_lPT3_i,comdat
	.globl	_ZL36rocblas_hemvn_kernel_lower_block_sumILi64El19rocblas_complex_numIdEPKPS1_S1_EviT1_lS5_lT2_lT0_lPT3_i ; -- Begin function _ZL36rocblas_hemvn_kernel_lower_block_sumILi64El19rocblas_complex_numIdEPKPS1_S1_EviT1_lS5_lT2_lT0_lPT3_i
	.p2align	8
	.type	_ZL36rocblas_hemvn_kernel_lower_block_sumILi64El19rocblas_complex_numIdEPKPS1_S1_EviT1_lS5_lT2_lT0_lPT3_i,@function
_ZL36rocblas_hemvn_kernel_lower_block_sumILi64El19rocblas_complex_numIdEPKPS1_S1_EviT1_lS5_lT2_lT0_lPT3_i: ; @_ZL36rocblas_hemvn_kernel_lower_block_sumILi64El19rocblas_complex_numIdEPKPS1_S1_EviT1_lS5_lT2_lT0_lPT3_i
; %bb.0:
	s_load_dwordx4 s[12:15], s[4:5], 0x8
	s_load_dwordx4 s[8:11], s[4:5], 0x20
	s_mov_b32 s18, s7
	s_waitcnt lgkmcnt(0)
	v_cmp_neq_f64_e64 s[0:1], s[12:13], 0
	v_cmp_neq_f64_e64 s[2:3], s[14:15], 0
	s_or_b64 s[16:17], s[0:1], s[2:3]
	s_mov_b64 s[0:1], -1
	s_and_b64 vcc, exec, s[16:17]
	s_cbranch_vccnz .LBB61_2
; %bb.1:
	v_cmp_neq_f64_e64 s[0:1], s[8:9], 1.0
	v_cmp_neq_f64_e64 s[2:3], s[10:11], 0
	s_or_b64 s[0:1], s[0:1], s[2:3]
.LBB61_2:
	s_andn2_b64 vcc, exec, s[0:1]
	s_cbranch_vccnz .LBB61_22
; %bb.3:
	s_load_dwordx2 s[22:23], s[4:5], 0x38
	s_load_dword s20, s[4:5], 0x0
	s_load_dwordx4 s[0:3], s[4:5], 0x40
	s_mov_b32 s19, 0
	s_lshl_b64 s[24:25], s[18:19], 3
	s_xor_b64 s[16:17], s[16:17], -1
	s_waitcnt lgkmcnt(0)
	s_add_u32 s22, s22, s24
	s_addc_u32 s23, s23, s25
	s_load_dwordx2 s[22:23], s[22:23], 0x0
	s_lshl_b64 s[0:1], s[0:1], 4
	v_lshl_or_b32 v6, s6, 6, v0
	s_waitcnt lgkmcnt(0)
	s_add_u32 s7, s22, s0
	s_addc_u32 s19, s23, s1
	s_andn2_b64 vcc, exec, s[16:17]
	v_cmp_gt_i32_e64 s[0:1], s20, v6
	s_cbranch_vccnz .LBB61_8
; %bb.4:
	s_mov_b64 s[22:23], 0
	s_mov_b64 s[16:17], 0
                                        ; implicit-def: $vgpr2_vgpr3
                                        ; implicit-def: $vgpr4_vgpr5
	s_and_saveexec_b64 s[24:25], s[0:1]
	s_cbranch_execz .LBB61_9
; %bb.5:
	v_cmp_neq_f64_e64 s[0:1], s[8:9], 0
	v_cmp_neq_f64_e64 s[16:17], s[10:11], 0
	v_ashrrev_i32_e32 v0, 31, v6
	v_pk_mov_b32 v[2:3], 0, 0
	v_mul_lo_u32 v1, v6, s3
	v_mul_lo_u32 v0, v0, s2
	v_mad_u64_u32 v[4:5], s[26:27], v6, s2, 0
	s_or_b64 s[0:1], s[0:1], s[16:17]
	v_add3_u32 v5, v5, v1, v0
	s_andn2_b64 vcc, exec, s[0:1]
	v_pk_mov_b32 v[0:1], v[2:3], v[2:3] op_sel:[0,1]
	s_cbranch_vccnz .LBB61_7
; %bb.6:
	v_lshlrev_b64 v[0:1], 4, v[4:5]
	v_mov_b32_e32 v2, s19
	v_add_co_u32_e32 v0, vcc, s7, v0
	v_addc_co_u32_e32 v1, vcc, v2, v1, vcc
	global_load_dwordx4 v[8:11], v[0:1], off
	s_waitcnt vmcnt(0)
	v_mul_f64 v[0:1], s[10:11], v[10:11]
	v_mul_f64 v[2:3], s[8:9], v[10:11]
	v_fma_f64 v[0:1], s[8:9], v[8:9], -v[0:1]
	v_fmac_f64_e32 v[2:3], s[10:11], v[8:9]
.LBB61_7:
	s_mov_b64 s[16:17], exec
	s_or_b64 exec, exec, s[24:25]
	s_and_b64 vcc, exec, s[22:23]
	s_cbranch_vccnz .LBB61_10
	s_branch .LBB61_20
.LBB61_8:
	s_mov_b64 s[16:17], 0
                                        ; implicit-def: $vgpr2_vgpr3
                                        ; implicit-def: $vgpr4_vgpr5
	s_cbranch_execnz .LBB61_10
	s_branch .LBB61_20
.LBB61_9:
	s_or_b64 exec, exec, s[24:25]
	s_and_b64 vcc, exec, s[22:23]
	s_cbranch_vccz .LBB61_20
.LBB61_10:
	v_cmp_gt_i32_e32 vcc, s20, v6
                                        ; implicit-def: $vgpr2_vgpr3
                                        ; implicit-def: $vgpr4_vgpr5
	s_and_saveexec_b64 s[0:1], vcc
	s_cbranch_execz .LBB61_19
; %bb.11:
	s_load_dword s22, s[4:5], 0x68
	v_pk_mov_b32 v[0:1], 0, 0
	v_pk_mov_b32 v[4:5], v[0:1], v[0:1] op_sel:[0,1]
	s_waitcnt lgkmcnt(0)
	s_cmp_ge_i32 s6, s22
	s_cbranch_scc1 .LBB61_14
; %bb.12:
	s_ashr_i32 s21, s20, 31
	s_mul_i32 s23, s6, s20
	s_load_dwordx2 s[4:5], s[4:5], 0x58
	v_add_u32_e32 v0, s23, v6
	s_mul_hi_u32 s23, s20, s18
	s_mul_i32 s24, s21, s18
	s_add_i32 s23, s23, s24
	s_mul_i32 s18, s20, s18
	s_mul_i32 s23, s23, s22
	s_mul_hi_u32 s24, s18, s22
	s_add_i32 s25, s24, s23
	s_mul_i32 s24, s18, s22
	s_lshl_b64 s[24:25], s[24:25], 4
	v_ashrrev_i32_e32 v1, 31, v0
	s_waitcnt lgkmcnt(0)
	s_add_u32 s4, s4, s24
	v_lshlrev_b64 v[0:1], 4, v[0:1]
	s_addc_u32 s5, s5, s25
	v_mov_b32_e32 v2, s5
	v_add_co_u32_e32 v0, vcc, s4, v0
	v_addc_co_u32_e32 v1, vcc, v2, v1, vcc
	v_add_co_u32_e32 v2, vcc, 8, v0
	v_addc_co_u32_e32 v3, vcc, 0, v1, vcc
	s_lshl_b64 s[4:5], s[20:21], 4
	v_pk_mov_b32 v[0:1], 0, 0
	v_mov_b32_e32 v7, s5
	v_pk_mov_b32 v[4:5], v[0:1], v[0:1] op_sel:[0,1]
.LBB61_13:                              ; =>This Inner Loop Header: Depth=1
	global_load_dwordx4 v[8:11], v[2:3], off offset:-8
	s_add_i32 s6, s6, 1
	v_add_co_u32_e32 v2, vcc, s4, v2
	v_addc_co_u32_e32 v3, vcc, v3, v7, vcc
	s_cmp_ge_i32 s6, s22
	s_waitcnt vmcnt(0)
	v_add_f64 v[4:5], v[4:5], v[8:9]
	v_add_f64 v[0:1], v[0:1], v[10:11]
	s_cbranch_scc0 .LBB61_13
.LBB61_14:
	v_cmp_neq_f64_e64 s[20:21], s[8:9], 0
	v_cmp_neq_f64_e64 s[22:23], s[10:11], 0
	s_or_b64 s[20:21], s[20:21], s[22:23]
	v_mul_f64 v[8:9], s[14:15], v[0:1]
	v_mul_f64 v[2:3], s[12:13], v[0:1]
	v_ashrrev_i32_e32 v10, 31, v6
	s_mov_b64 s[4:5], 0
	s_andn2_b64 vcc, exec, s[20:21]
	v_fma_f64 v[0:1], s[12:13], v[4:5], -v[8:9]
	v_fmac_f64_e32 v[2:3], s[14:15], v[4:5]
	v_mul_lo_u32 v7, v6, s3
	v_mul_lo_u32 v8, v10, s2
	s_cbranch_vccz .LBB61_16
; %bb.15:
	v_mad_u64_u32 v[4:5], s[12:13], v6, s2, 0
	v_add3_u32 v5, v5, v7, v8
	s_andn2_b64 vcc, exec, s[4:5]
	s_cbranch_vccz .LBB61_17
	s_branch .LBB61_18
.LBB61_16:
                                        ; implicit-def: $vgpr4_vgpr5
.LBB61_17:
	v_mad_u64_u32 v[4:5], s[2:3], v6, s2, 0
	v_add3_u32 v5, v5, v7, v8
	v_lshlrev_b64 v[6:7], 4, v[4:5]
	v_mov_b32_e32 v8, s19
	v_add_co_u32_e32 v6, vcc, s7, v6
	v_addc_co_u32_e32 v7, vcc, v8, v7, vcc
	global_load_dwordx4 v[6:9], v[6:7], off
	s_waitcnt vmcnt(0)
	v_mul_f64 v[10:11], s[10:11], v[8:9]
	v_mul_f64 v[8:9], s[8:9], v[8:9]
	v_fma_f64 v[10:11], s[8:9], v[6:7], -v[10:11]
	v_fmac_f64_e32 v[8:9], s[10:11], v[6:7]
	v_add_f64 v[0:1], v[0:1], v[10:11]
	v_add_f64 v[2:3], v[2:3], v[8:9]
.LBB61_18:
	s_or_b64 s[16:17], s[16:17], exec
.LBB61_19:
	s_or_b64 exec, exec, s[0:1]
.LBB61_20:
	s_and_saveexec_b64 s[0:1], s[16:17]
	s_cbranch_execz .LBB61_22
; %bb.21:
	v_lshlrev_b64 v[4:5], 4, v[4:5]
	v_mov_b32_e32 v6, s19
	v_add_co_u32_e32 v4, vcc, s7, v4
	v_addc_co_u32_e32 v5, vcc, v6, v5, vcc
	global_store_dwordx4 v[4:5], v[0:3], off
.LBB61_22:
	s_endpgm
	.section	.rodata,"a",@progbits
	.p2align	6, 0x0
	.amdhsa_kernel _ZL36rocblas_hemvn_kernel_lower_block_sumILi64El19rocblas_complex_numIdEPKPS1_S1_EviT1_lS5_lT2_lT0_lPT3_i
		.amdhsa_group_segment_fixed_size 0
		.amdhsa_private_segment_fixed_size 0
		.amdhsa_kernarg_size 360
		.amdhsa_user_sgpr_count 6
		.amdhsa_user_sgpr_private_segment_buffer 1
		.amdhsa_user_sgpr_dispatch_ptr 0
		.amdhsa_user_sgpr_queue_ptr 0
		.amdhsa_user_sgpr_kernarg_segment_ptr 1
		.amdhsa_user_sgpr_dispatch_id 0
		.amdhsa_user_sgpr_flat_scratch_init 0
		.amdhsa_user_sgpr_kernarg_preload_length 0
		.amdhsa_user_sgpr_kernarg_preload_offset 0
		.amdhsa_user_sgpr_private_segment_size 0
		.amdhsa_uses_dynamic_stack 0
		.amdhsa_system_sgpr_private_segment_wavefront_offset 0
		.amdhsa_system_sgpr_workgroup_id_x 1
		.amdhsa_system_sgpr_workgroup_id_y 0
		.amdhsa_system_sgpr_workgroup_id_z 1
		.amdhsa_system_sgpr_workgroup_info 0
		.amdhsa_system_vgpr_workitem_id 0
		.amdhsa_next_free_vgpr 12
		.amdhsa_next_free_sgpr 28
		.amdhsa_accum_offset 12
		.amdhsa_reserve_vcc 1
		.amdhsa_reserve_flat_scratch 0
		.amdhsa_float_round_mode_32 0
		.amdhsa_float_round_mode_16_64 0
		.amdhsa_float_denorm_mode_32 3
		.amdhsa_float_denorm_mode_16_64 3
		.amdhsa_dx10_clamp 1
		.amdhsa_ieee_mode 1
		.amdhsa_fp16_overflow 0
		.amdhsa_tg_split 0
		.amdhsa_exception_fp_ieee_invalid_op 0
		.amdhsa_exception_fp_denorm_src 0
		.amdhsa_exception_fp_ieee_div_zero 0
		.amdhsa_exception_fp_ieee_overflow 0
		.amdhsa_exception_fp_ieee_underflow 0
		.amdhsa_exception_fp_ieee_inexact 0
		.amdhsa_exception_int_div_zero 0
	.end_amdhsa_kernel
	.section	.text._ZL36rocblas_hemvn_kernel_lower_block_sumILi64El19rocblas_complex_numIdEPKPS1_S1_EviT1_lS5_lT2_lT0_lPT3_i,"axG",@progbits,_ZL36rocblas_hemvn_kernel_lower_block_sumILi64El19rocblas_complex_numIdEPKPS1_S1_EviT1_lS5_lT2_lT0_lPT3_i,comdat
.Lfunc_end61:
	.size	_ZL36rocblas_hemvn_kernel_lower_block_sumILi64El19rocblas_complex_numIdEPKPS1_S1_EviT1_lS5_lT2_lT0_lPT3_i, .Lfunc_end61-_ZL36rocblas_hemvn_kernel_lower_block_sumILi64El19rocblas_complex_numIdEPKPS1_S1_EviT1_lS5_lT2_lT0_lPT3_i
                                        ; -- End function
	.section	.AMDGPU.csdata,"",@progbits
; Kernel info:
; codeLenInByte = 848
; NumSgprs: 32
; NumVgprs: 12
; NumAgprs: 0
; TotalNumVgprs: 12
; ScratchSize: 0
; MemoryBound: 0
; FloatMode: 240
; IeeeMode: 1
; LDSByteSize: 0 bytes/workgroup (compile time only)
; SGPRBlocks: 3
; VGPRBlocks: 1
; NumSGPRsForWavesPerEU: 32
; NumVGPRsForWavesPerEU: 12
; AccumOffset: 12
; Occupancy: 8
; WaveLimiterHint : 1
; COMPUTE_PGM_RSRC2:SCRATCH_EN: 0
; COMPUTE_PGM_RSRC2:USER_SGPR: 6
; COMPUTE_PGM_RSRC2:TRAP_HANDLER: 0
; COMPUTE_PGM_RSRC2:TGID_X_EN: 1
; COMPUTE_PGM_RSRC2:TGID_Y_EN: 0
; COMPUTE_PGM_RSRC2:TGID_Z_EN: 1
; COMPUTE_PGM_RSRC2:TIDIG_COMP_CNT: 0
; COMPUTE_PGM_RSRC3_GFX90A:ACCUM_OFFSET: 2
; COMPUTE_PGM_RSRC3_GFX90A:TG_SPLIT: 0
	.section	.text._ZL26rocblas_hemvn_kernel_lowerILb1ELi64ELi4ELi33ELi32ELi16Ei19rocblas_complex_numIdEPKPKS1_PS1_EviT6_lT7_lT5_lS8_lS9_lS7_lT8_i,"axG",@progbits,_ZL26rocblas_hemvn_kernel_lowerILb1ELi64ELi4ELi33ELi32ELi16Ei19rocblas_complex_numIdEPKPKS1_PS1_EviT6_lT7_lT5_lS8_lS9_lS7_lT8_i,comdat
	.globl	_ZL26rocblas_hemvn_kernel_lowerILb1ELi64ELi4ELi33ELi32ELi16Ei19rocblas_complex_numIdEPKPKS1_PS1_EviT6_lT7_lT5_lS8_lS9_lS7_lT8_i ; -- Begin function _ZL26rocblas_hemvn_kernel_lowerILb1ELi64ELi4ELi33ELi32ELi16Ei19rocblas_complex_numIdEPKPKS1_PS1_EviT6_lT7_lT5_lS8_lS9_lS7_lT8_i
	.p2align	8
	.type	_ZL26rocblas_hemvn_kernel_lowerILb1ELi64ELi4ELi33ELi32ELi16Ei19rocblas_complex_numIdEPKPKS1_PS1_EviT6_lT7_lT5_lS8_lS9_lS7_lT8_i,@function
_ZL26rocblas_hemvn_kernel_lowerILb1ELi64ELi4ELi33ELi32ELi16Ei19rocblas_complex_numIdEPKPKS1_PS1_EviT6_lT7_lT5_lS8_lS9_lS7_lT8_i: ; @_ZL26rocblas_hemvn_kernel_lowerILb1ELi64ELi4ELi33ELi32ELi16Ei19rocblas_complex_numIdEPKPKS1_PS1_EviT6_lT7_lT5_lS8_lS9_lS7_lT8_i
; %bb.0:
	s_load_dwordx2 s[0:1], s[4:5], 0x94
	s_add_u32 s2, s4, 0x88
	s_mov_b32 s22, s7
	s_addc_u32 s3, s5, 0
	s_waitcnt lgkmcnt(0)
	s_lshr_b32 s7, s0, 16
	s_and_b32 s0, s0, 0xffff
	s_and_b32 s1, s1, 0xffff
	s_mul_i32 s0, s7, s0
	s_mul_i32 s0, s0, s1
	s_cmpk_lg_i32 s0, 0x100
	s_cbranch_scc1 .LBB62_139
; %bb.1:
	s_load_dwordx4 s[8:11], s[4:5], 0x8
	s_mov_b64 s[0:1], 0
	s_waitcnt lgkmcnt(0)
	v_cmp_neq_f64_e64 s[8:9], s[8:9], 0
	v_cmp_neq_f64_e64 s[10:11], s[10:11], 0
	s_or_b64 s[10:11], s[8:9], s[10:11]
	s_and_b64 vcc, exec, s[10:11]
	s_cbranch_vccnz .LBB62_3
; %bb.2:
	s_load_dwordx4 s[12:15], s[4:5], 0x60
	s_mov_b64 s[8:9], 0
	s_waitcnt lgkmcnt(0)
	v_cmp_neq_f64_e64 s[0:1], s[12:13], 1.0
	v_cmp_neq_f64_e64 s[12:13], s[14:15], 0
	s_or_b64 s[0:1], s[0:1], s[12:13]
	s_cbranch_execz .LBB62_4
	s_branch .LBB62_5
.LBB62_3:
	s_mov_b64 s[8:9], -1
.LBB62_4:
	s_load_dwordx4 s[12:15], s[4:5], 0x20
	s_mov_b32 s23, 0
	s_lshl_b64 s[0:1], s[22:23], 3
	s_waitcnt lgkmcnt(0)
	s_add_u32 s0, s12, s0
	s_addc_u32 s1, s13, s1
	s_load_dwordx2 s[0:1], s[0:1], 0x0
	s_lshl_b64 s[8:9], s[14:15], 4
	s_waitcnt lgkmcnt(0)
	s_add_u32 s8, s0, s8
	s_addc_u32 s9, s1, s9
	s_mov_b64 s[0:1], -1
.LBB62_5:
	s_andn2_b64 vcc, exec, s[0:1]
	s_cbranch_vccnz .LBB62_139
; %bb.6:
	v_cndmask_b32_e64 v1, 0, 1, s[10:11]
	v_cmp_ne_u32_e64 s[0:1], 1, v1
	s_andn2_b64 vcc, exec, s[10:11]
	s_mov_b64 s[10:11], 0
	s_cbranch_vccnz .LBB62_8
; %bb.7:
	s_load_dwordx4 s[12:15], s[4:5], 0x40
	s_mov_b32 s23, 0
	s_lshl_b64 s[10:11], s[22:23], 3
	s_waitcnt lgkmcnt(0)
	s_add_u32 s10, s12, s10
	s_addc_u32 s11, s13, s11
	s_load_dwordx2 s[10:11], s[10:11], 0x0
	s_lshl_b64 s[12:13], s[14:15], 4
	s_waitcnt lgkmcnt(0)
	s_add_u32 s10, s10, s12
	s_addc_u32 s11, s11, s13
.LBB62_8:
	s_and_b64 vcc, exec, s[0:1]
	s_cbranch_vccnz .LBB62_139
; %bb.9:
	s_load_dword s33, s[2:3], 0x0
	s_load_dword s23, s[4:5], 0x0
	;; [unrolled: 1-line block ×3, first 2 shown]
	v_and_b32_e32 v42, 0x3ff, v0
	s_lshl_b32 s26, s6, 6
	v_add_u32_e32 v148, s26, v42
	s_waitcnt lgkmcnt(0)
	s_ashr_i32 s42, s23, 31
	s_lshr_b32 s1, s42, 26
	v_bfe_u32 v149, v0, 10, 10
	s_add_i32 s1, s23, s1
	v_mul_lo_u32 v0, v148, s7
	s_andn2_b32 s1, s1, 63
	v_ashrrev_i32_e32 v1, 31, v0
	s_add_i32 s0, s33, -1
	s_sub_i32 s1, s23, s1
	v_lshlrev_b64 v[0:1], 4, v[0:1]
	s_cmp_eq_u32 s6, s0
	v_mov_b32_e32 v2, s11
	v_add_co_u32_e32 v36, vcc, s10, v0
	s_cselect_b32 s24, s1, 0
	v_addc_co_u32_e32 v37, vcc, v2, v1, vcc
	v_cmp_ne_u32_e64 s[0:1], 0, v149
	v_cmp_eq_u32_e64 s[2:3], 0, v149
	s_and_saveexec_b64 s[10:11], s[2:3]
	s_cbranch_execz .LBB62_14
; %bb.10:
	s_cmp_lg_u32 s24, 0
	s_cselect_b64 s[12:13], -1, 0
	v_cmp_le_i32_e32 vcc, s24, v42
	v_mov_b32_e32 v0, 0x4700
	s_and_b64 s[12:13], s[12:13], vcc
	v_lshl_add_u32 v0, v42, 4, v0
	s_and_saveexec_b64 s[14:15], s[12:13]
	s_xor_b64 s[12:13], exec, s[14:15]
	s_cbranch_execz .LBB62_12
; %bb.11:
	v_mov_b32_e32 v2, 0
	v_mov_b32_e32 v3, v2
	;; [unrolled: 1-line block ×4, first 2 shown]
	ds_write_b128 v0, v[2:5]
                                        ; implicit-def: $vgpr0
.LBB62_12:
	s_andn2_saveexec_b64 s[12:13], s[12:13]
	s_cbranch_execz .LBB62_14
; %bb.13:
	flat_load_dwordx4 v[2:5], v[36:37]
	s_waitcnt vmcnt(0) lgkmcnt(0)
	ds_write2_b64 v0, v[2:3], v[4:5] offset1:1
.LBB62_14:
	s_or_b64 exec, exec, s[10:11]
	s_load_dword s28, s[4:5], 0x30
	s_ashr_i32 s27, s26, 31
	v_lshl_add_u32 v43, v149, 6, v42
	s_lshl_b64 s[10:11], s[26:27], 4
	v_and_b32_e32 v4, 31, v42
	v_lshrrev_b32_e32 v5, 5, v43
	s_add_u32 s10, s8, s10
	s_addc_u32 s11, s9, s11
	s_waitcnt lgkmcnt(0)
	v_mad_u64_u32 v[0:1], s[8:9], v5, s28, v[4:5]
	s_mul_i32 s8, s26, s28
	s_ashr_i32 s9, s8, 31
	s_lshl_b64 s[30:31], s[8:9], 4
	v_ashrrev_i32_e32 v1, 31, v0
	s_add_u32 s8, s30, s10
	v_lshlrev_b64 v[38:39], 4, v[0:1]
	s_addc_u32 s9, s31, s11
	v_mov_b32_e32 v0, s9
	v_add_co_u32_e32 v6, vcc, s8, v38
	s_cmp_lg_u32 s24, 0
	v_addc_co_u32_e32 v7, vcc, v0, v39, vcc
	s_cselect_b64 s[34:35], -1, 0
	s_cmp_eq_u32 s24, 0
	s_cselect_b64 s[36:37], -1, 0
	s_and_b64 vcc, exec, s[34:35]
	s_cbranch_vccnz .LBB62_16
; %bb.15:
	flat_load_dwordx4 v[0:3], v[6:7]
	s_lshl_b32 s8, s28, 3
	s_ashr_i32 s9, s8, 31
	v_mul_u32_u24_e32 v8, 33, v5
	s_lshl_b64 s[8:9], s[8:9], 4
	v_add_lshl_u32 v10, v8, v4, 4
	v_mov_b32_e32 v9, s9
	v_add_co_u32_e32 v8, vcc, s8, v6
	v_addc_co_u32_e32 v9, vcc, v7, v9, vcc
	s_ashr_i32 s29, s28, 31
	s_lshl_b64 s[8:9], s[28:29], 7
	v_add_u32_e32 v11, 0x1080, v10
	v_mov_b32_e32 v12, s9
	s_waitcnt vmcnt(0) lgkmcnt(0)
	ds_write2_b64 v10, v[0:1], v[2:3] offset1:1
	flat_load_dwordx4 v[0:3], v[8:9]
	v_add_co_u32_e32 v8, vcc, s8, v8
	v_addc_co_u32_e32 v9, vcc, v9, v12, vcc
	s_waitcnt vmcnt(0) lgkmcnt(0)
	ds_write2_b64 v11, v[0:1], v[2:3] offset1:1
	flat_load_dwordx4 v[0:3], v[8:9]
	v_add_u32_e32 v11, 0x2100, v10
	v_add_co_u32_e32 v8, vcc, s8, v8
	v_addc_co_u32_e32 v9, vcc, v9, v12, vcc
	s_waitcnt vmcnt(0) lgkmcnt(0)
	ds_write2_b64 v11, v[0:1], v[2:3] offset1:1
	flat_load_dwordx4 v[0:3], v[8:9]
	v_add_u32_e32 v8, 0x3180, v10
	s_waitcnt vmcnt(0) lgkmcnt(0)
	ds_write2_b64 v8, v[0:1], v[2:3] offset1:1
	s_cbranch_execz .LBB62_17
	s_branch .LBB62_34
.LBB62_16:
.LBB62_17:
	v_lshlrev_b32_e32 v2, 4, v4
	v_sub_co_u32_e32 v0, vcc, v6, v2
	s_ashr_i32 s25, s24, 31
	v_subbrev_co_u32_e32 v1, vcc, 0, v7, vcc
	s_lshl_b64 s[10:11], s[24:25], 4
	v_mov_b32_e32 v3, s11
	v_add_co_u32_e32 v0, vcc, s10, v0
	v_addc_co_u32_e32 v1, vcc, v1, v3, vcc
	v_add_co_u32_e32 v0, vcc, -16, v0
	v_addc_co_u32_e32 v1, vcc, -1, v1, vcc
	v_cmp_gt_i32_e32 vcc, s24, v4
	v_mul_u32_u24_e32 v3, 33, v5
	v_cndmask_b32_e32 v1, v1, v7, vcc
	v_cndmask_b32_e32 v0, v0, v6, vcc
	v_cmp_le_i32_e64 s[8:9], s24, v5
	v_add_lshl_u32 v3, v3, v4, 4
	s_and_saveexec_b64 s[12:13], s[8:9]
	s_xor_b64 s[8:9], exec, s[12:13]
	s_cbranch_execz .LBB62_19
; %bb.18:
	v_mov_b32_e32 v8, 0
	v_mov_b32_e32 v9, v8
	;; [unrolled: 1-line block ×4, first 2 shown]
	ds_write_b128 v3, v[8:11]
.LBB62_19:
	s_andn2_saveexec_b64 s[8:9], s[8:9]
	s_cbranch_execz .LBB62_21
; %bb.20:
	flat_load_dwordx4 v[8:11], v[0:1]
	s_waitcnt vmcnt(0) lgkmcnt(0)
	ds_write2_b64 v3, v[8:9], v[10:11] offset1:1
.LBB62_21:
	s_or_b64 exec, exec, s[8:9]
	v_add_u32_e32 v8, 8, v5
	v_cmp_le_i32_e64 s[8:9], s24, v8
	s_and_saveexec_b64 s[12:13], s[8:9]
	s_xor_b64 s[8:9], exec, s[12:13]
	s_cbranch_execz .LBB62_23
; %bb.22:
	v_mul_u32_u24_e32 v8, 33, v8
	v_add_lshl_u32 v12, v8, v4, 4
	v_mov_b32_e32 v8, 0
	v_mov_b32_e32 v9, v8
	;; [unrolled: 1-line block ×4, first 2 shown]
	ds_write_b128 v12, v[8:11]
.LBB62_23:
	s_andn2_saveexec_b64 s[12:13], s[8:9]
	s_cbranch_execz .LBB62_25
; %bb.24:
	s_lshl_b32 s8, s28, 3
	s_ashr_i32 s9, s8, 31
	s_lshl_b64 s[8:9], s[8:9], 4
	v_mov_b32_e32 v9, s9
	v_add_co_u32_e64 v8, s[8:9], s8, v0
	v_addc_co_u32_e64 v9, s[8:9], v1, v9, s[8:9]
	flat_load_dwordx4 v[8:11], v[8:9]
	v_add_u32_e32 v12, 0x1080, v3
	s_waitcnt vmcnt(0) lgkmcnt(0)
	ds_write2_b64 v12, v[8:9], v[10:11] offset1:1
.LBB62_25:
	s_or_b64 exec, exec, s[12:13]
	v_add_u32_e32 v8, 16, v5
	v_cmp_le_i32_e64 s[8:9], s24, v8
	s_and_saveexec_b64 s[12:13], s[8:9]
	s_xor_b64 s[8:9], exec, s[12:13]
	s_cbranch_execz .LBB62_27
; %bb.26:
	v_mul_u32_u24_e32 v8, 33, v8
	v_add_lshl_u32 v12, v8, v4, 4
	v_mov_b32_e32 v8, 0
	v_mov_b32_e32 v9, v8
	;; [unrolled: 1-line block ×4, first 2 shown]
	ds_write_b128 v12, v[8:11]
.LBB62_27:
	s_andn2_saveexec_b64 s[12:13], s[8:9]
	s_cbranch_execz .LBB62_29
; %bb.28:
	s_lshl_b32 s8, s28, 4
	s_ashr_i32 s9, s8, 31
	s_lshl_b64 s[8:9], s[8:9], 4
	v_mov_b32_e32 v9, s9
	v_add_co_u32_e64 v8, s[8:9], s8, v0
	v_addc_co_u32_e64 v9, s[8:9], v1, v9, s[8:9]
	flat_load_dwordx4 v[8:11], v[8:9]
	v_add_u32_e32 v12, 0x2100, v3
	s_waitcnt vmcnt(0) lgkmcnt(0)
	ds_write2_b64 v12, v[8:9], v[10:11] offset1:1
.LBB62_29:
	s_or_b64 exec, exec, s[12:13]
	v_add_u32_e32 v8, 24, v5
	v_cmp_le_i32_e64 s[8:9], s24, v8
	s_and_saveexec_b64 s[12:13], s[8:9]
	s_xor_b64 s[8:9], exec, s[12:13]
	s_cbranch_execz .LBB62_31
; %bb.30:
	v_mov_b32_e32 v8, 0
	v_mov_b32_e32 v9, v8
	;; [unrolled: 1-line block ×4, first 2 shown]
	ds_write_b128 v3, v[8:11] offset:12672
                                        ; implicit-def: $vgpr3
.LBB62_31:
	s_andn2_saveexec_b64 s[12:13], s[8:9]
	s_cbranch_execz .LBB62_33
; %bb.32:
	s_mul_i32 s8, s28, 24
	s_ashr_i32 s9, s8, 31
	s_lshl_b64 s[8:9], s[8:9], 4
	v_mov_b32_e32 v9, s9
	v_add_co_u32_e64 v8, s[8:9], s8, v0
	v_addc_co_u32_e64 v9, s[8:9], v1, v9, s[8:9]
	flat_load_dwordx4 v[8:11], v[8:9]
	v_add_u32_e32 v3, 0x3180, v3
	s_waitcnt vmcnt(0) lgkmcnt(0)
	ds_write2_b64 v3, v[8:9], v[10:11] offset1:1
.LBB62_33:
	s_or_b64 exec, exec, s[12:13]
	v_add_co_u32_e64 v0, s[8:9], v0, v2
	v_addc_co_u32_e64 v1, s[8:9], 0, v1, s[8:9]
	v_mov_b32_e32 v2, s11
	v_subrev_co_u32_e64 v0, s[8:9], s10, v0
	v_subb_co_u32_e64 v1, s[8:9], v1, v2, s[8:9]
	v_add_co_u32_e64 v0, s[8:9], 16, v0
	v_addc_co_u32_e64 v1, s[8:9], 0, v1, s[8:9]
	v_cndmask_b32_e32 v7, v1, v7, vcc
	v_cndmask_b32_e32 v6, v0, v6, vcc
.LBB62_34:
	v_lshlrev_b32_e32 v12, 2, v5
	v_cmp_ge_u32_e64 s[8:9], v12, v4
	s_waitcnt lgkmcnt(0)
	s_barrier
	s_and_saveexec_b64 s[10:11], s[8:9]
	s_xor_b64 s[10:11], exec, s[10:11]
	s_cbranch_execz .LBB62_38
; %bb.35:
	v_cmp_eq_u32_e32 vcc, v12, v4
	s_and_saveexec_b64 s[12:13], vcc
	s_cbranch_execz .LBB62_37
; %bb.36:
	v_mul_u32_u24_e32 v0, 34, v4
	v_lshlrev_b32_e32 v2, 4, v0
	v_mov_b32_e32 v0, 0
	v_mov_b32_e32 v1, v0
	ds_write_b64 v2, v[0:1] offset:8
.LBB62_37:
	s_or_b64 exec, exec, s[12:13]
.LBB62_38:
	s_or_saveexec_b64 s[10:11], s[10:11]
	v_mul_u32_u24_e32 v44, 33, v4
	v_add_lshl_u32 v10, v12, v44, 4
	s_xor_b64 exec, exec, s[10:11]
	s_cbranch_execz .LBB62_40
; %bb.39:
	v_mul_u32_u24_e32 v0, 0x84, v5
	v_add_lshl_u32 v0, v0, v4, 4
	ds_read_b128 v[0:3], v0
	s_waitcnt lgkmcnt(0)
	v_xor_b32_e32 v3, 0x80000000, v3
	ds_write_b128 v10, v[0:3]
.LBB62_40:
	s_or_b64 exec, exec, s[10:11]
	v_or_b32_e32 v13, 1, v12
	v_cmp_ge_u32_e64 s[10:11], v13, v4
	s_and_saveexec_b64 s[12:13], s[10:11]
	s_xor_b64 s[12:13], exec, s[12:13]
	s_cbranch_execz .LBB62_44
; %bb.41:
	v_cmp_eq_u32_e32 vcc, v13, v4
	s_and_saveexec_b64 s[14:15], vcc
	s_cbranch_execz .LBB62_43
; %bb.42:
	v_mul_u32_u24_e32 v0, 34, v4
	v_lshlrev_b32_e32 v2, 4, v0
	v_mov_b32_e32 v0, 0
	v_mov_b32_e32 v1, v0
	ds_write_b64 v2, v[0:1] offset:8
.LBB62_43:
	s_or_b64 exec, exec, s[14:15]
.LBB62_44:
	s_or_saveexec_b64 s[12:13], s[12:13]
	v_mul_u32_u24_e32 v0, 33, v13
	s_xor_b64 exec, exec, s[12:13]
	s_cbranch_execz .LBB62_46
; %bb.45:
	v_add_lshl_u32 v1, v0, v4, 4
	ds_read_b128 v[14:17], v1
	s_waitcnt lgkmcnt(0)
	v_xor_b32_e32 v17, 0x80000000, v17
	ds_write_b128 v10, v[14:17] offset:16
.LBB62_46:
	s_or_b64 exec, exec, s[12:13]
	v_or_b32_e32 v14, 2, v12
	v_cmp_ge_u32_e64 s[12:13], v14, v4
	s_and_saveexec_b64 s[14:15], s[12:13]
	s_xor_b64 s[14:15], exec, s[14:15]
	s_cbranch_execz .LBB62_50
; %bb.47:
	v_cmp_eq_u32_e32 vcc, v14, v4
	s_and_saveexec_b64 s[16:17], vcc
	s_cbranch_execz .LBB62_49
; %bb.48:
	v_mul_u32_u24_e32 v1, 34, v4
	v_mov_b32_e32 v2, 0
	v_lshlrev_b32_e32 v1, 4, v1
	v_mov_b32_e32 v3, v2
	ds_write_b64 v1, v[2:3] offset:8
.LBB62_49:
	s_or_b64 exec, exec, s[16:17]
.LBB62_50:
	s_andn2_saveexec_b64 s[14:15], s[14:15]
	s_cbranch_execz .LBB62_52
; %bb.51:
	v_mul_u32_u24_e32 v1, 33, v14
	v_add_lshl_u32 v1, v1, v4, 4
	ds_read_b128 v[16:19], v1
	s_waitcnt lgkmcnt(0)
	v_xor_b32_e32 v19, 0x80000000, v19
	ds_write_b128 v10, v[16:19] offset:32
.LBB62_52:
	s_or_b64 exec, exec, s[14:15]
	v_or_b32_e32 v15, 3, v12
	v_cmp_ge_u32_e64 s[14:15], v15, v4
	s_and_saveexec_b64 s[16:17], s[14:15]
	s_xor_b64 s[16:17], exec, s[16:17]
	s_cbranch_execz .LBB62_56
; %bb.53:
	v_cmp_eq_u32_e32 vcc, v15, v4
	s_and_saveexec_b64 s[18:19], vcc
	s_cbranch_execz .LBB62_55
; %bb.54:
	v_mul_u32_u24_e32 v1, 34, v4
	v_mov_b32_e32 v2, 0
	v_lshlrev_b32_e32 v1, 4, v1
	v_mov_b32_e32 v3, v2
	ds_write_b64 v1, v[2:3] offset:8
.LBB62_55:
	s_or_b64 exec, exec, s[18:19]
.LBB62_56:
	s_andn2_saveexec_b64 s[16:17], s[16:17]
	s_cbranch_execz .LBB62_58
; %bb.57:
	v_mul_u32_u24_e32 v1, 33, v15
	v_add_lshl_u32 v1, v1, v4, 4
	ds_read_b128 v[16:19], v1
	s_waitcnt lgkmcnt(0)
	v_xor_b32_e32 v19, 0x80000000, v19
	ds_write_b128 v10, v[16:19] offset:48
.LBB62_58:
	s_or_b64 exec, exec, s[16:17]
	v_mul_u32_u24_e32 v1, 0x84, v5
	v_lshlrev_b32_e32 v17, 4, v12
	s_waitcnt lgkmcnt(0)
	s_barrier
	v_add_lshl_u32 v16, v1, v4, 4
	ds_read_b128 v[18:21], v17 offset:18176
	ds_read_b128 v[22:25], v17 offset:18192
	ds_read_b128 v[26:29], v16
	ds_read_b128 v[30:33], v17 offset:18208
	ds_read_b128 v[46:49], v17 offset:18224
	v_add_lshl_u32 v11, v0, v4, 4
	ds_read_b128 v[0:3], v11
	s_waitcnt lgkmcnt(3)
	v_mul_f64 v[8:9], v[20:21], v[28:29]
	v_fma_f64 v[8:9], v[18:19], v[26:27], -v[8:9]
	v_mul_f64 v[18:19], v[18:19], v[28:29]
	v_fmac_f64_e32 v[18:19], v[20:21], v[26:27]
	v_add_f64 v[26:27], v[18:19], 0
	s_waitcnt lgkmcnt(0)
	v_mul_f64 v[18:19], v[24:25], v[2:3]
	v_fma_f64 v[28:29], v[22:23], v[0:1], -v[18:19]
	v_mul_f64 v[2:3], v[22:23], v[2:3]
	ds_read_b128 v[18:21], v11 offset:528
	v_fmac_f64_e32 v[2:3], v[24:25], v[0:1]
	v_add_f64 v[22:23], v[26:27], v[2:3]
	ds_read_b128 v[0:3], v11 offset:1056
	v_add_f64 v[8:9], v[8:9], 0
	s_waitcnt lgkmcnt(1)
	v_mul_f64 v[24:25], v[32:33], v[20:21]
	v_mul_f64 v[20:21], v[30:31], v[20:21]
	v_fmac_f64_e32 v[20:21], v[32:33], v[18:19]
	v_add_f64 v[8:9], v[8:9], v[28:29]
	v_fma_f64 v[24:25], v[30:31], v[18:19], -v[24:25]
	v_add_f64 v[18:19], v[22:23], v[20:21]
	s_waitcnt lgkmcnt(0)
	v_mul_f64 v[20:21], v[48:49], v[2:3]
	v_mul_f64 v[2:3], v[46:47], v[2:3]
	v_add_f64 v[8:9], v[8:9], v[24:25]
	v_fma_f64 v[20:21], v[46:47], v[0:1], -v[20:21]
	v_fmac_f64_e32 v[2:3], v[48:49], v[0:1]
	v_add_f64 v[0:1], v[8:9], v[20:21]
	v_add_f64 v[2:3], v[18:19], v[2:3]
	v_add_lshl_u32 v45, v5, v44, 4
	s_barrier
	ds_write_b128 v45, v[0:3]
	v_pk_mov_b32 v[0:1], 0, 0
	v_cmp_gt_u32_e64 s[20:21], 32, v43
	v_pk_mov_b32 v[2:3], v[0:1], v[0:1] op_sel:[0,1]
	s_waitcnt lgkmcnt(0)
	s_barrier
	s_and_saveexec_b64 s[16:17], s[20:21]
	s_cbranch_execz .LBB62_60
; %bb.59:
	v_lshlrev_b32_e32 v30, 4, v44
	ds_read_b128 v[0:3], v30
	ds_read_b128 v[18:21], v30 offset:16
	ds_read_b128 v[22:25], v30 offset:32
	;; [unrolled: 1-line block ×3, first 2 shown]
	s_waitcnt lgkmcnt(2)
	v_add_f64 v[0:1], v[18:19], v[0:1]
	v_add_f64 v[8:9], v[20:21], v[2:3]
	s_waitcnt lgkmcnt(1)
	v_add_f64 v[18:19], v[0:1], v[22:23]
	ds_read_b128 v[0:3], v30 offset:64
	v_add_f64 v[8:9], v[8:9], v[24:25]
	s_waitcnt lgkmcnt(1)
	v_add_f64 v[22:23], v[18:19], v[26:27]
	ds_read_b128 v[18:21], v30 offset:80
	;; [unrolled: 4-line block ×3, first 2 shown]
	v_add_f64 v[8:9], v[8:9], v[2:3]
	ds_read_b128 v[0:3], v30 offset:112
	s_waitcnt lgkmcnt(2)
	v_add_f64 v[18:19], v[26:27], v[18:19]
	v_add_f64 v[8:9], v[8:9], v[20:21]
	s_waitcnt lgkmcnt(1)
	v_add_f64 v[18:19], v[18:19], v[22:23]
	v_add_f64 v[8:9], v[8:9], v[24:25]
	;; [unrolled: 3-line block ×3, first 2 shown]
.LBB62_60:
	s_or_b64 exec, exec, s[16:17]
	s_lshl_b32 s16, s28, 5
	s_ashr_i32 s17, s16, 31
	s_lshl_b64 s[38:39], s[16:17], 4
	v_mov_b32_e32 v9, s39
	v_add_co_u32_e32 v8, vcc, s38, v6
	v_addc_co_u32_e32 v9, vcc, v7, v9, vcc
	v_add_co_u32_e32 v6, vcc, 0x200, v8
	v_cndmask_b32_e64 v7, 0, 1, s[36:37]
	s_mov_b64 s[18:19], vcc
	v_cmp_ne_u32_e64 s[16:17], 1, v7
	s_andn2_b64 vcc, exec, s[36:37]
	v_addc_co_u32_e64 v7, s[18:19], 0, v9, s[18:19]
	s_barrier
	s_cbranch_vccnz .LBB62_62
; %bb.61:
	flat_load_dwordx4 v[18:21], v[6:7]
	s_lshl_b32 s18, s28, 3
	s_ashr_i32 s19, s18, 31
	v_mul_u32_u24_e32 v22, 33, v5
	s_lshl_b64 s[18:19], s[18:19], 4
	v_add_lshl_u32 v22, v22, v4, 4
	v_mov_b32_e32 v23, s19
	v_add_co_u32_e32 v8, vcc, s18, v8
	v_addc_co_u32_e32 v9, vcc, v9, v23, vcc
	s_ashr_i32 s29, s28, 31
	s_lshl_b64 s[18:19], s[28:29], 7
	v_add_u32_e32 v23, 0x1080, v22
	v_mov_b32_e32 v24, s19
	s_waitcnt vmcnt(0) lgkmcnt(0)
	ds_write2_b64 v22, v[18:19], v[20:21] offset1:1
	flat_load_dwordx4 v[18:21], v[8:9] offset:512
	v_add_co_u32_e32 v8, vcc, s18, v8
	v_addc_co_u32_e32 v9, vcc, v9, v24, vcc
	s_waitcnt vmcnt(0) lgkmcnt(0)
	ds_write2_b64 v23, v[18:19], v[20:21] offset1:1
	flat_load_dwordx4 v[18:21], v[8:9] offset:512
	v_add_u32_e32 v23, 0x2100, v22
	v_add_co_u32_e32 v8, vcc, s18, v8
	v_addc_co_u32_e32 v9, vcc, v9, v24, vcc
	s_waitcnt vmcnt(0) lgkmcnt(0)
	ds_write2_b64 v23, v[18:19], v[20:21] offset1:1
	flat_load_dwordx4 v[18:21], v[8:9] offset:512
	v_add_u32_e32 v8, 0x3180, v22
	s_waitcnt vmcnt(0) lgkmcnt(0)
	ds_write2_b64 v8, v[18:19], v[20:21] offset1:1
	s_cbranch_execz .LBB62_63
	s_branch .LBB62_80
.LBB62_62:
.LBB62_63:
	v_or_b32_e32 v8, 32, v4
	v_lshlrev_b32_e32 v9, 4, v8
	v_sub_co_u32_e32 v9, vcc, v6, v9
	s_ashr_i32 s25, s24, 31
	v_subbrev_co_u32_e32 v18, vcc, 0, v7, vcc
	s_lshl_b64 s[36:37], s[24:25], 4
	v_mov_b32_e32 v19, s37
	v_add_co_u32_e32 v9, vcc, s36, v9
	v_addc_co_u32_e32 v18, vcc, v18, v19, vcc
	v_add_co_u32_e32 v19, vcc, -16, v9
	v_addc_co_u32_e32 v9, vcc, -1, v18, vcc
	v_cmp_gt_i32_e64 s[18:19], s24, v8
	s_sub_i32 s25, s24, 32
	v_mul_u32_u24_e32 v18, 33, v5
	v_cndmask_b32_e64 v9, v9, v7, s[18:19]
	v_cndmask_b32_e64 v8, v19, v6, s[18:19]
	v_cmp_le_i32_e32 vcc, s25, v5
	v_add_lshl_u32 v18, v18, v4, 4
	s_and_saveexec_b64 s[40:41], vcc
	s_xor_b64 s[40:41], exec, s[40:41]
	s_cbranch_execz .LBB62_65
; %bb.64:
	v_mov_b32_e32 v20, 0
	v_mov_b32_e32 v21, v20
	;; [unrolled: 1-line block ×4, first 2 shown]
	ds_write_b128 v18, v[20:23]
.LBB62_65:
	s_andn2_saveexec_b64 s[40:41], s[40:41]
	s_cbranch_execz .LBB62_67
; %bb.66:
	flat_load_dwordx4 v[20:23], v[8:9]
	s_waitcnt vmcnt(0) lgkmcnt(0)
	ds_write2_b64 v18, v[20:21], v[22:23] offset1:1
.LBB62_67:
	s_or_b64 exec, exec, s[40:41]
	v_add_u32_e32 v19, 8, v5
	v_cmp_le_i32_e32 vcc, s25, v19
	s_and_saveexec_b64 s[40:41], vcc
	s_xor_b64 s[40:41], exec, s[40:41]
	s_cbranch_execz .LBB62_69
; %bb.68:
	v_mul_u32_u24_e32 v19, 33, v19
	v_mov_b32_e32 v20, 0
	v_add_lshl_u32 v19, v19, v4, 4
	v_mov_b32_e32 v21, v20
	v_mov_b32_e32 v22, v20
	;; [unrolled: 1-line block ×3, first 2 shown]
	ds_write_b128 v19, v[20:23]
.LBB62_69:
	s_andn2_saveexec_b64 s[40:41], s[40:41]
	s_cbranch_execz .LBB62_71
; %bb.70:
	s_lshl_b32 s44, s28, 3
	s_ashr_i32 s45, s44, 31
	s_lshl_b64 s[44:45], s[44:45], 4
	v_mov_b32_e32 v19, s45
	v_add_co_u32_e32 v20, vcc, s44, v8
	v_addc_co_u32_e32 v21, vcc, v9, v19, vcc
	flat_load_dwordx4 v[20:23], v[20:21]
	v_add_u32_e32 v19, 0x1080, v18
	s_waitcnt vmcnt(0) lgkmcnt(0)
	ds_write2_b64 v19, v[20:21], v[22:23] offset1:1
.LBB62_71:
	s_or_b64 exec, exec, s[40:41]
	v_add_u32_e32 v19, 16, v5
	v_cmp_le_i32_e32 vcc, s25, v19
	s_and_saveexec_b64 s[40:41], vcc
	s_xor_b64 s[40:41], exec, s[40:41]
	s_cbranch_execz .LBB62_73
; %bb.72:
	v_mul_u32_u24_e32 v19, 33, v19
	v_mov_b32_e32 v20, 0
	v_add_lshl_u32 v19, v19, v4, 4
	v_mov_b32_e32 v21, v20
	v_mov_b32_e32 v22, v20
	;; [unrolled: 1-line block ×3, first 2 shown]
	ds_write_b128 v19, v[20:23]
.LBB62_73:
	s_andn2_saveexec_b64 s[40:41], s[40:41]
	s_cbranch_execz .LBB62_75
; %bb.74:
	s_lshl_b32 s44, s28, 4
	s_ashr_i32 s45, s44, 31
	s_lshl_b64 s[44:45], s[44:45], 4
	v_mov_b32_e32 v19, s45
	v_add_co_u32_e32 v20, vcc, s44, v8
	v_addc_co_u32_e32 v21, vcc, v9, v19, vcc
	flat_load_dwordx4 v[20:23], v[20:21]
	v_add_u32_e32 v19, 0x2100, v18
	s_waitcnt vmcnt(0) lgkmcnt(0)
	ds_write2_b64 v19, v[20:21], v[22:23] offset1:1
.LBB62_75:
	s_or_b64 exec, exec, s[40:41]
	v_add_u32_e32 v19, 24, v5
	v_cmp_le_i32_e32 vcc, s25, v19
	s_and_saveexec_b64 s[40:41], vcc
	s_xor_b64 s[40:41], exec, s[40:41]
	s_cbranch_execz .LBB62_77
; %bb.76:
	v_mov_b32_e32 v20, 0
	v_mov_b32_e32 v21, v20
	;; [unrolled: 1-line block ×4, first 2 shown]
	ds_write_b128 v18, v[20:23] offset:12672
                                        ; implicit-def: $vgpr18
.LBB62_77:
	s_andn2_saveexec_b64 s[40:41], s[40:41]
	s_cbranch_execz .LBB62_79
; %bb.78:
	s_mul_i32 s44, s28, 24
	s_ashr_i32 s45, s44, 31
	s_lshl_b64 s[44:45], s[44:45], 4
	v_mov_b32_e32 v19, s45
	v_add_co_u32_e32 v20, vcc, s44, v8
	v_addc_co_u32_e32 v21, vcc, v9, v19, vcc
	flat_load_dwordx4 v[20:23], v[20:21]
	v_add_u32_e32 v18, 0x3180, v18
	s_waitcnt vmcnt(0) lgkmcnt(0)
	ds_write2_b64 v18, v[20:21], v[22:23] offset1:1
.LBB62_79:
	s_or_b64 exec, exec, s[40:41]
	v_lshlrev_b32_e32 v18, 4, v4
	v_add_co_u32_e32 v8, vcc, v8, v18
	v_addc_co_u32_e32 v9, vcc, 0, v9, vcc
	v_mov_b32_e32 v18, s37
	v_subrev_co_u32_e32 v8, vcc, s36, v8
	v_subb_co_u32_e32 v9, vcc, v9, v18, vcc
	v_add_co_u32_e32 v8, vcc, 0x210, v8
	v_addc_co_u32_e32 v9, vcc, 0, v9, vcc
	v_cndmask_b32_e64 v7, v9, v7, s[18:19]
	v_cndmask_b32_e64 v6, v8, v6, s[18:19]
.LBB62_80:
	v_add_u32_e32 v8, 0x4700, v17
	s_waitcnt lgkmcnt(0)
	s_barrier
	s_and_saveexec_b64 s[18:19], s[8:9]
	s_xor_b64 s[8:9], exec, s[18:19]
	s_cbranch_execnz .LBB62_93
; %bb.81:
	s_andn2_saveexec_b64 s[8:9], s[8:9]
	s_cbranch_execnz .LBB62_96
.LBB62_82:
	s_or_b64 exec, exec, s[8:9]
	s_and_saveexec_b64 s[8:9], s[10:11]
	s_xor_b64 s[8:9], exec, s[8:9]
	s_cbranch_execnz .LBB62_97
.LBB62_83:
	s_andn2_saveexec_b64 s[8:9], s[8:9]
	s_cbranch_execnz .LBB62_100
.LBB62_84:
	s_or_b64 exec, exec, s[8:9]
	s_and_saveexec_b64 s[8:9], s[12:13]
	s_xor_b64 s[8:9], exec, s[8:9]
	s_cbranch_execnz .LBB62_101
.LBB62_85:
	s_andn2_saveexec_b64 s[8:9], s[8:9]
	s_cbranch_execnz .LBB62_104
.LBB62_86:
	s_or_b64 exec, exec, s[8:9]
	s_and_saveexec_b64 s[8:9], s[14:15]
	s_xor_b64 s[8:9], exec, s[8:9]
	s_cbranch_execnz .LBB62_105
.LBB62_87:
	s_andn2_saveexec_b64 s[8:9], s[8:9]
	s_cbranch_execz .LBB62_89
.LBB62_88:
	ds_read_b128 v[12:15], v11 offset:1056
	s_waitcnt lgkmcnt(0)
	v_xor_b32_e32 v15, 0x80000000, v15
	ds_write_b128 v10, v[12:15] offset:48
.LBB62_89:
	s_or_b64 exec, exec, s[8:9]
	s_waitcnt lgkmcnt(0)
	s_barrier
	ds_read_b128 v[12:15], v8 offset:512
	ds_read_b128 v[16:19], v16
	ds_read_b128 v[20:23], v8 offset:528
	ds_read_b128 v[24:27], v8 offset:544
	v_cmp_eq_u32_e64 s[8:9], 1, v5
	s_waitcnt lgkmcnt(2)
	v_mul_f64 v[28:29], v[14:15], v[18:19]
	v_fma_f64 v[40:41], v[12:13], v[16:17], -v[28:29]
	ds_read_b128 v[28:31], v8 offset:560
	ds_read_b128 v[32:35], v11
	v_mul_f64 v[12:13], v[12:13], v[18:19]
	v_fmac_f64_e32 v[12:13], v[14:15], v[16:17]
	v_add_f64 v[18:19], v[12:13], 0
	v_add_f64 v[16:17], v[40:41], 0
	s_waitcnt lgkmcnt(0)
	v_mul_f64 v[12:13], v[22:23], v[34:35]
	v_fma_f64 v[40:41], v[20:21], v[32:33], -v[12:13]
	v_mul_f64 v[20:21], v[20:21], v[34:35]
	ds_read_b128 v[12:15], v11 offset:528
	v_fmac_f64_e32 v[20:21], v[22:23], v[32:33]
	v_add_f64 v[22:23], v[16:17], v[40:41]
	v_add_f64 v[20:21], v[18:19], v[20:21]
	ds_read_b128 v[16:19], v11 offset:1056
	s_waitcnt lgkmcnt(1)
	v_mul_f64 v[32:33], v[26:27], v[14:15]
	v_mul_f64 v[14:15], v[24:25], v[14:15]
	v_fmac_f64_e32 v[14:15], v[26:27], v[12:13]
	v_fma_f64 v[32:33], v[24:25], v[12:13], -v[32:33]
	v_add_f64 v[14:15], v[20:21], v[14:15]
	s_waitcnt lgkmcnt(0)
	v_mul_f64 v[20:21], v[30:31], v[18:19]
	v_mul_f64 v[18:19], v[28:29], v[18:19]
	v_add_f64 v[12:13], v[22:23], v[32:33]
	v_fma_f64 v[20:21], v[28:29], v[16:17], -v[20:21]
	v_fmac_f64_e32 v[18:19], v[30:31], v[16:17]
	v_add_f64 v[12:13], v[12:13], v[20:21]
	v_add_f64 v[14:15], v[14:15], v[18:19]
	s_barrier
	ds_write_b128 v45, v[12:15]
	s_waitcnt lgkmcnt(0)
	s_barrier
	s_and_saveexec_b64 s[10:11], s[8:9]
	s_cbranch_execz .LBB62_91
; %bb.90:
	v_lshlrev_b32_e32 v9, 4, v44
	ds_read_b128 v[0:3], v9
	ds_read_b128 v[12:15], v9 offset:16
	ds_read_b128 v[16:19], v9 offset:32
	;; [unrolled: 1-line block ×3, first 2 shown]
	s_waitcnt lgkmcnt(2)
	v_add_f64 v[0:1], v[12:13], v[0:1]
	v_add_f64 v[12:13], v[14:15], v[2:3]
	s_waitcnt lgkmcnt(1)
	v_add_f64 v[14:15], v[0:1], v[16:17]
	ds_read_b128 v[0:3], v9 offset:64
	v_add_f64 v[12:13], v[12:13], v[18:19]
	s_waitcnt lgkmcnt(1)
	v_add_f64 v[16:17], v[14:15], v[20:21]
	v_add_f64 v[20:21], v[12:13], v[22:23]
	ds_read_b128 v[12:15], v9 offset:80
	s_waitcnt lgkmcnt(1)
	v_add_f64 v[22:23], v[16:17], v[0:1]
	ds_read_b128 v[16:19], v9 offset:96
	v_add_f64 v[20:21], v[20:21], v[2:3]
	ds_read_b128 v[0:3], v9 offset:112
	s_waitcnt lgkmcnt(2)
	v_add_f64 v[12:13], v[22:23], v[12:13]
	v_add_f64 v[14:15], v[20:21], v[14:15]
	s_waitcnt lgkmcnt(1)
	v_add_f64 v[12:13], v[12:13], v[16:17]
	v_add_f64 v[14:15], v[14:15], v[18:19]
	;; [unrolled: 3-line block ×3, first 2 shown]
.LBB62_91:
	s_or_b64 exec, exec, s[10:11]
	v_mov_b32_e32 v9, s39
	v_subrev_co_u32_e64 v40, s[10:11], s38, v6
	s_and_b64 vcc, exec, s[16:17]
	v_subb_co_u32_e64 v41, s[10:11], v7, v9, s[10:11]
	s_barrier
	s_cbranch_vccnz .LBB62_108
; %bb.92:
	flat_load_dwordx4 v[12:15], v[40:41]
	s_lshl_b32 s10, s28, 3
	s_ashr_i32 s11, s10, 31
	v_mad_u32_u24 v9, v5, 33, v4
	s_lshl_b64 s[10:11], s[10:11], 4
	v_lshlrev_b32_e32 v20, 4, v9
	v_mov_b32_e32 v7, s11
	v_add_co_u32_e32 v6, vcc, s10, v40
	v_addc_co_u32_e32 v7, vcc, v41, v7, vcc
	s_ashr_i32 s29, s28, 31
	s_lshl_b64 s[10:11], s[28:29], 7
	v_add_u32_e32 v11, 0x1080, v20
	v_mov_b32_e32 v16, s11
	s_waitcnt vmcnt(0) lgkmcnt(0)
	ds_write2_b64 v20, v[12:13], v[14:15] offset1:1
	flat_load_dwordx4 v[12:15], v[6:7]
	v_add_co_u32_e32 v6, vcc, s10, v6
	v_addc_co_u32_e32 v7, vcc, v7, v16, vcc
	s_waitcnt vmcnt(0) lgkmcnt(0)
	ds_write2_b64 v11, v[12:13], v[14:15] offset1:1
	flat_load_dwordx4 v[12:15], v[6:7]
	v_add_u32_e32 v11, 0x2100, v20
	v_add_co_u32_e32 v6, vcc, s10, v6
	v_addc_co_u32_e32 v7, vcc, v7, v16, vcc
	s_waitcnt vmcnt(0) lgkmcnt(0)
	ds_write2_b64 v11, v[12:13], v[14:15] offset1:1
	flat_load_dwordx4 v[16:19], v[6:7]
	v_add_u32_e32 v11, 8, v5
	v_add_u32_e32 v12, 16, v5
	;; [unrolled: 1-line block ×7, first 2 shown]
	s_waitcnt vmcnt(0) lgkmcnt(0)
	ds_write2_b64 v15, v[16:17], v[18:19] offset1:1
	s_cbranch_execz .LBB62_109
	s_branch .LBB62_126
.LBB62_93:
	v_cmp_eq_u32_e32 vcc, v12, v4
	s_and_saveexec_b64 s[18:19], vcc
	s_cbranch_execz .LBB62_95
; %bb.94:
	v_mul_u32_u24_e32 v9, 34, v4
	v_mov_b32_e32 v18, 0
	v_lshlrev_b32_e32 v9, 4, v9
	v_mov_b32_e32 v19, v18
	ds_write_b64 v9, v[18:19] offset:8
.LBB62_95:
	s_or_b64 exec, exec, s[18:19]
	s_andn2_saveexec_b64 s[8:9], s[8:9]
	s_cbranch_execz .LBB62_82
.LBB62_96:
	ds_read_b128 v[18:21], v16
	s_waitcnt lgkmcnt(0)
	v_xor_b32_e32 v21, 0x80000000, v21
	ds_write_b128 v10, v[18:21]
	s_or_b64 exec, exec, s[8:9]
	s_and_saveexec_b64 s[8:9], s[10:11]
	s_xor_b64 s[8:9], exec, s[8:9]
	s_cbranch_execz .LBB62_83
.LBB62_97:
	v_cmp_eq_u32_e32 vcc, v13, v4
	s_and_saveexec_b64 s[10:11], vcc
	s_cbranch_execz .LBB62_99
; %bb.98:
	v_mul_u32_u24_e32 v9, 34, v4
	v_mov_b32_e32 v12, 0
	v_lshlrev_b32_e32 v9, 4, v9
	v_mov_b32_e32 v13, v12
	ds_write_b64 v9, v[12:13] offset:8
.LBB62_99:
	s_or_b64 exec, exec, s[10:11]
	s_andn2_saveexec_b64 s[8:9], s[8:9]
	s_cbranch_execz .LBB62_84
.LBB62_100:
	ds_read_b128 v[18:21], v11
	s_waitcnt lgkmcnt(0)
	v_xor_b32_e32 v21, 0x80000000, v21
	ds_write_b128 v10, v[18:21] offset:16
	s_or_b64 exec, exec, s[8:9]
	s_and_saveexec_b64 s[8:9], s[12:13]
	s_xor_b64 s[8:9], exec, s[8:9]
	s_cbranch_execz .LBB62_85
.LBB62_101:
	v_cmp_eq_u32_e32 vcc, v14, v4
	s_and_saveexec_b64 s[10:11], vcc
	s_cbranch_execz .LBB62_103
; %bb.102:
	v_mul_u32_u24_e32 v9, 34, v4
	v_mov_b32_e32 v12, 0
	v_lshlrev_b32_e32 v9, 4, v9
	v_mov_b32_e32 v13, v12
	ds_write_b64 v9, v[12:13] offset:8
.LBB62_103:
	s_or_b64 exec, exec, s[10:11]
	s_andn2_saveexec_b64 s[8:9], s[8:9]
	s_cbranch_execz .LBB62_86
.LBB62_104:
	ds_read_b128 v[18:21], v11 offset:528
	s_waitcnt lgkmcnt(0)
	v_xor_b32_e32 v21, 0x80000000, v21
	ds_write_b128 v10, v[18:21] offset:32
	s_or_b64 exec, exec, s[8:9]
	s_and_saveexec_b64 s[8:9], s[14:15]
	s_xor_b64 s[8:9], exec, s[8:9]
	s_cbranch_execz .LBB62_87
.LBB62_105:
	v_cmp_eq_u32_e32 vcc, v15, v4
	s_and_saveexec_b64 s[10:11], vcc
	s_cbranch_execz .LBB62_107
; %bb.106:
	v_mul_u32_u24_e32 v9, 34, v4
	v_mov_b32_e32 v12, 0
	v_lshlrev_b32_e32 v9, 4, v9
	v_mov_b32_e32 v13, v12
	ds_write_b64 v9, v[12:13] offset:8
.LBB62_107:
	s_or_b64 exec, exec, s[10:11]
	s_andn2_saveexec_b64 s[8:9], s[8:9]
	s_cbranch_execnz .LBB62_88
	s_branch .LBB62_89
.LBB62_108:
                                        ; implicit-def: $vgpr9
                                        ; implicit-def: $vgpr11
                                        ; implicit-def: $vgpr7
                                        ; implicit-def: $vgpr12
                                        ; implicit-def: $vgpr6
                                        ; implicit-def: $vgpr13
                                        ; implicit-def: $vgpr14
.LBB62_109:
	v_or_b32_e32 v6, 32, v4
	v_lshlrev_b32_e32 v7, 4, v6
	v_sub_co_u32_e32 v7, vcc, v40, v7
	s_ashr_i32 s25, s24, 31
	v_subbrev_co_u32_e32 v9, vcc, 0, v41, vcc
	s_lshl_b64 s[12:13], s[24:25], 4
	v_mov_b32_e32 v11, s13
	v_add_co_u32_e32 v7, vcc, s12, v7
	v_addc_co_u32_e32 v9, vcc, v9, v11, vcc
	v_add_co_u32_e32 v11, vcc, -16, v7
	v_addc_co_u32_e32 v7, vcc, -1, v9, vcc
	v_cmp_gt_i32_e64 s[10:11], s24, v6
	v_mad_u32_u24 v9, v5, 33, v4
	v_cndmask_b32_e64 v7, v7, v41, s[10:11]
	v_cndmask_b32_e64 v6, v11, v40, s[10:11]
	v_cmp_le_i32_e32 vcc, s24, v5
	v_lshlrev_b32_e32 v15, 4, v9
	s_and_saveexec_b64 s[14:15], vcc
	s_xor_b64 s[14:15], exec, s[14:15]
	s_cbranch_execz .LBB62_111
; %bb.110:
	v_mov_b32_e32 v16, 0
	v_mov_b32_e32 v17, v16
	;; [unrolled: 1-line block ×4, first 2 shown]
	ds_write_b128 v15, v[16:19]
.LBB62_111:
	s_andn2_saveexec_b64 s[14:15], s[14:15]
	s_cbranch_execz .LBB62_113
; %bb.112:
	flat_load_dwordx4 v[16:19], v[6:7]
	s_waitcnt vmcnt(0) lgkmcnt(0)
	ds_write2_b64 v15, v[16:17], v[18:19] offset1:1
.LBB62_113:
	s_or_b64 exec, exec, s[14:15]
	v_add_u32_e32 v11, 8, v5
	v_cmp_le_i32_e32 vcc, s24, v11
	s_and_saveexec_b64 s[14:15], vcc
	s_xor_b64 s[14:15], exec, s[14:15]
	s_cbranch_execz .LBB62_115
; %bb.114:
	v_mul_u32_u24_e32 v12, 33, v11
	v_mov_b32_e32 v16, 0
	v_add_lshl_u32 v12, v12, v4, 4
	v_mov_b32_e32 v17, v16
	v_mov_b32_e32 v18, v16
	;; [unrolled: 1-line block ×3, first 2 shown]
	ds_write_b128 v12, v[16:19]
.LBB62_115:
	s_andn2_saveexec_b64 s[14:15], s[14:15]
	s_cbranch_execz .LBB62_117
; %bb.116:
	s_lshl_b32 s16, s28, 3
	s_ashr_i32 s17, s16, 31
	s_lshl_b64 s[16:17], s[16:17], 4
	v_mov_b32_e32 v13, s17
	v_add_co_u32_e32 v12, vcc, s16, v6
	v_addc_co_u32_e32 v13, vcc, v7, v13, vcc
	flat_load_dwordx4 v[16:19], v[12:13]
	v_add_u32_e32 v12, 0x1080, v15
	s_waitcnt vmcnt(0) lgkmcnt(0)
	ds_write2_b64 v12, v[16:17], v[18:19] offset1:1
.LBB62_117:
	s_or_b64 exec, exec, s[14:15]
	v_add_u32_e32 v12, 16, v5
	v_cmp_le_i32_e32 vcc, s24, v12
	s_and_saveexec_b64 s[14:15], vcc
	s_xor_b64 s[14:15], exec, s[14:15]
	s_cbranch_execz .LBB62_119
; %bb.118:
	v_mul_u32_u24_e32 v13, 33, v12
	v_mov_b32_e32 v16, 0
	v_add_lshl_u32 v13, v13, v4, 4
	v_mov_b32_e32 v17, v16
	v_mov_b32_e32 v18, v16
	;; [unrolled: 1-line block ×3, first 2 shown]
	ds_write_b128 v13, v[16:19]
.LBB62_119:
	s_andn2_saveexec_b64 s[14:15], s[14:15]
	s_cbranch_execz .LBB62_121
; %bb.120:
	s_lshl_b32 s16, s28, 4
	s_ashr_i32 s17, s16, 31
	s_lshl_b64 s[16:17], s[16:17], 4
	v_mov_b32_e32 v13, s17
	v_add_co_u32_e32 v16, vcc, s16, v6
	v_addc_co_u32_e32 v17, vcc, v7, v13, vcc
	flat_load_dwordx4 v[16:19], v[16:17]
	v_add_u32_e32 v13, 0x2100, v15
	s_waitcnt vmcnt(0) lgkmcnt(0)
	ds_write2_b64 v13, v[16:17], v[18:19] offset1:1
.LBB62_121:
	s_or_b64 exec, exec, s[14:15]
	v_add_u32_e32 v13, 24, v5
	v_cmp_le_i32_e32 vcc, s24, v13
                                        ; implicit-def: $vgpr14
	s_and_saveexec_b64 s[14:15], vcc
	s_xor_b64 s[14:15], exec, s[14:15]
	s_cbranch_execz .LBB62_123
; %bb.122:
	v_mad_u32_u24 v14, v13, 33, v4
	v_mov_b32_e32 v16, 0
	v_lshlrev_b32_e32 v15, 4, v14
	v_mov_b32_e32 v17, v16
	v_mov_b32_e32 v18, v16
	;; [unrolled: 1-line block ×3, first 2 shown]
	ds_write_b128 v15, v[16:19]
                                        ; implicit-def: $vgpr15
.LBB62_123:
	s_andn2_saveexec_b64 s[14:15], s[14:15]
	s_cbranch_execz .LBB62_125
; %bb.124:
	s_mul_i32 s16, s28, 24
	s_ashr_i32 s17, s16, 31
	s_lshl_b64 s[16:17], s[16:17], 4
	v_mov_b32_e32 v14, s17
	v_add_co_u32_e32 v16, vcc, s16, v6
	v_addc_co_u32_e32 v17, vcc, v7, v14, vcc
	flat_load_dwordx4 v[16:19], v[16:17]
	v_add_u32_e32 v14, 0x318, v9
	v_add_u32_e32 v15, 0x3180, v15
	s_waitcnt vmcnt(0) lgkmcnt(0)
	ds_write2_b64 v15, v[16:17], v[18:19] offset1:1
.LBB62_125:
	s_or_b64 exec, exec, s[14:15]
	v_lshlrev_b32_e32 v4, 4, v4
	v_add_co_u32_e32 v4, vcc, v6, v4
	v_addc_co_u32_e32 v6, vcc, 0, v7, vcc
	v_mov_b32_e32 v7, s13
	v_subrev_co_u32_e32 v4, vcc, s12, v4
	v_subb_co_u32_e32 v6, vcc, v6, v7, vcc
	v_add_co_u32_e32 v4, vcc, 0x210, v4
	v_addc_co_u32_e32 v6, vcc, 0, v6, vcc
	v_cndmask_b32_e64 v41, v6, v41, s[10:11]
	v_cndmask_b32_e64 v40, v4, v40, s[10:11]
	v_add_u32_e32 v7, 0x108, v9
	v_add_u32_e32 v6, 0x210, v9
.LBB62_126:
	v_lshlrev_b32_e32 v5, 4, v5
	s_waitcnt lgkmcnt(0)
	s_barrier
	v_lshlrev_b32_e32 v4, 4, v9
	ds_read_b128 v[46:49], v5 offset:18176
	ds_read_b128 v[50:53], v4
	v_lshlrev_b32_e32 v5, 4, v11
	v_lshlrev_b32_e32 v4, 4, v7
	ds_read_b128 v[54:57], v5 offset:18176
	ds_read_b128 v[58:61], v4
	v_lshlrev_b32_e32 v7, 4, v12
	;; [unrolled: 4-line block ×3, first 2 shown]
	v_lshlrev_b32_e32 v6, 4, v14
	ds_read_b128 v[70:73], v7 offset:18176
	ds_read_b128 v[74:77], v6
	s_waitcnt lgkmcnt(6)
	v_mul_f64 v[4:5], v[48:49], v[52:53]
	v_fma_f64 v[4:5], v[46:47], v[50:51], -v[4:5]
	s_waitcnt lgkmcnt(4)
	v_mul_f64 v[16:17], v[56:57], v[60:61]
	v_add_f64 v[4:5], v[4:5], 0
	v_fma_f64 v[16:17], v[54:55], v[58:59], -v[16:17]
	s_waitcnt lgkmcnt(2)
	v_mul_f64 v[6:7], v[64:65], v[68:69]
	v_add_f64 v[4:5], v[4:5], v[16:17]
	v_fma_f64 v[6:7], v[62:63], v[66:67], -v[6:7]
	v_add_f64 v[4:5], v[4:5], v[6:7]
	s_waitcnt lgkmcnt(0)
	v_mul_f64 v[6:7], v[72:73], v[76:77]
	v_fma_f64 v[6:7], v[70:71], v[74:75], -v[6:7]
	v_add_f64 v[78:79], v[4:5], v[6:7]
	ds_read_b128 v[28:31], v10
	ds_read_b128 v[20:23], v10 offset:16
	ds_read_b128 v[12:15], v10 offset:32
	;; [unrolled: 1-line block ×7, first 2 shown]
	v_mul_f64 v[46:47], v[46:47], v[52:53]
	v_fmac_f64_e32 v[46:47], v[48:49], v[50:51]
	v_mul_f64 v[48:49], v[54:55], v[60:61]
	v_add_f64 v[46:47], v[46:47], 0
	v_fmac_f64_e32 v[48:49], v[56:57], v[58:59]
	v_add_f64 v[46:47], v[46:47], v[48:49]
	v_mul_f64 v[48:49], v[62:63], v[68:69]
	v_fmac_f64_e32 v[48:49], v[64:65], v[66:67]
	v_add_f64 v[46:47], v[46:47], v[48:49]
	v_mul_f64 v[48:49], v[70:71], v[76:77]
	v_fmac_f64_e32 v[48:49], v[72:73], v[74:75]
	v_add_f64 v[80:81], v[46:47], v[48:49]
	s_waitcnt lgkmcnt(0)
	s_barrier
	ds_write_b128 v45, v[78:81]
	s_waitcnt lgkmcnt(0)
	s_barrier
	s_and_saveexec_b64 s[10:11], s[8:9]
	s_cbranch_execz .LBB62_128
; %bb.127:
	v_lshlrev_b32_e32 v62, 4, v44
	ds_read_b128 v[46:49], v62
	ds_read_b128 v[50:53], v62 offset:16
	ds_read_b128 v[54:57], v62 offset:32
	;; [unrolled: 1-line block ×3, first 2 shown]
	s_waitcnt lgkmcnt(3)
	v_add_f64 v[0:1], v[0:1], v[46:47]
	v_add_f64 v[2:3], v[2:3], v[48:49]
	s_waitcnt lgkmcnt(2)
	v_add_f64 v[0:1], v[0:1], v[50:51]
	v_add_f64 v[46:47], v[2:3], v[52:53]
	s_waitcnt lgkmcnt(1)
	v_add_f64 v[48:49], v[0:1], v[54:55]
	ds_read_b128 v[0:3], v62 offset:64
	v_add_f64 v[46:47], v[46:47], v[56:57]
	s_waitcnt lgkmcnt(1)
	v_add_f64 v[50:51], v[48:49], v[58:59]
	v_add_f64 v[54:55], v[46:47], v[60:61]
	ds_read_b128 v[46:49], v62 offset:80
	s_waitcnt lgkmcnt(1)
	v_add_f64 v[56:57], v[50:51], v[0:1]
	ds_read_b128 v[50:53], v62 offset:96
	v_add_f64 v[54:55], v[54:55], v[2:3]
	ds_read_b128 v[0:3], v62 offset:112
	s_waitcnt lgkmcnt(2)
	v_add_f64 v[46:47], v[56:57], v[46:47]
	v_add_f64 v[48:49], v[54:55], v[48:49]
	s_waitcnt lgkmcnt(1)
	v_add_f64 v[46:47], v[46:47], v[50:51]
	v_add_f64 v[48:49], v[48:49], v[52:53]
	s_waitcnt lgkmcnt(0)
	v_add_f64 v[0:1], v[46:47], v[0:1]
	v_add_f64 v[2:3], v[48:49], v[2:3]
.LBB62_128:
	s_or_b64 exec, exec, s[10:11]
	v_mul_f64 v[46:47], v[30:31], v[34:35]
	v_mul_f64 v[30:31], v[30:31], v[32:33]
	v_fmac_f64_e32 v[46:47], v[28:29], v[32:33]
	v_fma_f64 v[28:29], v[28:29], v[34:35], -v[30:31]
	v_mul_f64 v[32:33], v[22:23], v[26:27]
	v_mul_f64 v[22:23], v[22:23], v[24:25]
	v_add_f64 v[30:31], v[46:47], 0
	v_add_f64 v[28:29], v[28:29], 0
	v_fmac_f64_e32 v[32:33], v[20:21], v[24:25]
	v_fma_f64 v[20:21], v[20:21], v[26:27], -v[22:23]
	v_mul_f64 v[24:25], v[14:15], v[18:19]
	v_mul_f64 v[14:15], v[14:15], v[16:17]
	v_add_f64 v[22:23], v[30:31], v[32:33]
	v_add_f64 v[20:21], v[28:29], v[20:21]
	;; [unrolled: 6-line block ×3, first 2 shown]
	v_fmac_f64_e32 v[16:17], v[4:5], v[8:9]
	v_fma_f64 v[6:7], v[4:5], v[10:11], -v[6:7]
	v_add_f64 v[4:5], v[14:15], v[16:17]
	v_add_f64 v[6:7], v[12:13], v[6:7]
	s_barrier
	ds_write_b128 v45, v[4:7]
	s_waitcnt lgkmcnt(0)
	s_barrier
	s_and_saveexec_b64 s[8:9], s[20:21]
	s_cbranch_execz .LBB62_130
; %bb.129:
	v_lshlrev_b32_e32 v20, 4, v44
	ds_read_b128 v[4:7], v20
	ds_read_b128 v[8:11], v20 offset:16
	ds_read_b128 v[12:15], v20 offset:32
	ds_read_b128 v[16:19], v20 offset:48
	s_waitcnt lgkmcnt(3)
	v_add_f64 v[0:1], v[0:1], v[4:5]
	v_add_f64 v[2:3], v[2:3], v[6:7]
	s_waitcnt lgkmcnt(2)
	v_add_f64 v[0:1], v[0:1], v[8:9]
	v_add_f64 v[4:5], v[2:3], v[10:11]
	s_waitcnt lgkmcnt(1)
	v_add_f64 v[6:7], v[0:1], v[12:13]
	ds_read_b128 v[0:3], v20 offset:64
	v_add_f64 v[4:5], v[4:5], v[14:15]
	s_waitcnt lgkmcnt(1)
	v_add_f64 v[8:9], v[6:7], v[16:17]
	v_add_f64 v[12:13], v[4:5], v[18:19]
	ds_read_b128 v[4:7], v20 offset:80
	s_waitcnt lgkmcnt(1)
	v_add_f64 v[14:15], v[8:9], v[0:1]
	ds_read_b128 v[8:11], v20 offset:96
	v_add_f64 v[12:13], v[12:13], v[2:3]
	ds_read_b128 v[0:3], v20 offset:112
	s_waitcnt lgkmcnt(2)
	v_add_f64 v[4:5], v[14:15], v[4:5]
	v_add_f64 v[6:7], v[12:13], v[6:7]
	s_waitcnt lgkmcnt(1)
	v_add_f64 v[4:5], v[4:5], v[8:9]
	v_add_f64 v[6:7], v[6:7], v[10:11]
	s_waitcnt lgkmcnt(0)
	v_add_f64 v[0:1], v[4:5], v[0:1]
	v_add_f64 v[2:3], v[6:7], v[2:3]
.LBB62_130:
	s_or_b64 exec, exec, s[8:9]
	s_load_dwordx2 s[4:5], s[4:5], 0x78
	s_mul_hi_u32 s8, s23, s22
	s_mul_i32 s42, s42, s22
	s_add_i32 s8, s8, s42
	s_mul_i32 s10, s23, s22
	s_mul_i32 s8, s8, s33
	s_mul_hi_u32 s9, s10, s33
	s_add_i32 s9, s9, s8
	s_mul_i32 s8, s10, s33
	s_lshl_b64 s[8:9], s[8:9], 4
	s_waitcnt lgkmcnt(0)
	s_add_u32 s8, s4, s8
	s_mul_i32 s4, s6, s23
	s_addc_u32 s9, s5, s9
	s_ashr_i32 s5, s4, 31
	s_lshl_b64 s[4:5], s[4:5], 4
	s_add_u32 s16, s8, s4
	v_cmp_le_i32_e32 vcc, s24, v42
	s_addc_u32 s17, s9, s5
	s_and_b64 vcc, s[34:35], vcc
	s_cmp_lt_i32 s6, 1
	v_lshlrev_b32_e32 v154, 4, v42
	s_barrier
	s_cbranch_scc1 .LBB62_137
; %bb.131:
	s_mul_i32 s4, s26, s7
	s_ashr_i32 s5, s4, 31
	s_lshl_b64 s[4:5], s[4:5], 4
	v_mov_b32_e32 v4, s5
	v_subrev_co_u32_e64 v155, s[4:5], s4, v36
	v_subb_co_u32_e64 v156, s[4:5], v37, v4, s[4:5]
	v_mov_b32_e32 v4, s31
	v_subrev_co_u32_e64 v5, s[4:5], s30, v40
	v_subb_co_u32_e64 v4, s[4:5], v41, v4, s[4:5]
	v_sub_co_u32_e64 v7, s[4:5], v5, v38
	v_subb_co_u32_e64 v8, s[4:5], v4, v39, s[4:5]
	v_mul_lo_u32 v4, v149, s28
	v_lshl_add_u32 v4, v4, 2, v42
	v_ashrrev_i32_e32 v5, 31, v4
	v_lshlrev_b64 v[4:5], 4, v[4:5]
	v_add_co_u32_e64 v4, s[4:5], v7, v4
	v_addc_co_u32_e64 v5, s[4:5], v8, v5, s[4:5]
	s_movk_i32 s4, 0xfe00
	v_add_co_u32_e64 v4, s[4:5], s4, v4
	v_addc_co_u32_e64 v5, s[4:5], -1, v5, s[4:5]
	v_sub_co_u32_e64 v7, s[4:5], v4, v154
	v_subbrev_co_u32_e64 v8, s[4:5], 0, v5, s[4:5]
	s_ashr_i32 s25, s24, 31
	s_lshl_b64 s[4:5], s[24:25], 4
	v_mov_b32_e32 v9, s5
	v_add_co_u32_e64 v7, s[4:5], s4, v7
	v_addc_co_u32_e64 v8, s[4:5], v8, v9, s[4:5]
	v_add_co_u32_e64 v7, s[4:5], -16, v7
	v_addc_co_u32_e64 v8, s[4:5], -1, v8, s[4:5]
	v_cndmask_b32_e32 v9, v5, v8, vcc
	v_cndmask_b32_e32 v8, v4, v7, vcc
	v_and_b32_e32 v4, 48, v42
	v_and_b32_e32 v6, 15, v42
	v_lshlrev_b32_e32 v5, 4, v4
	s_movk_i32 s8, 0x430
	v_mad_u32_u24 v159, v6, s8, v5
	v_or_b32_e32 v5, 0xf0, v154
	v_mad_u32_u24 v160, v6, s8, v5
	v_lshlrev_b32_e32 v5, 2, v43
	v_and_b32_e32 v5, 0x7ffc0, v5
	v_mad_u32_u24 v161, v6, s8, v5
	s_ashr_i32 s29, s28, 31
	v_mov_b32_e32 v5, 0x4300
	v_lshl_add_u32 v162, v149, 6, v5
	s_movk_i32 s9, 0x10c0
	v_and_b32_e32 v5, 0x1fff0, v43
	s_lshl_b64 s[10:11], s[28:29], 4
	s_mul_hi_i32 s18, s28, 0xd0
	v_mov_b32_e32 v151, 0
	s_lshl_b32 s7, s7, 6
	v_add_u32_e32 v157, 0x4300, v154
	v_add_u32_e32 v158, 0x4700, v154
	v_cmp_gt_u32_e64 s[4:5], 64, v43
	v_mad_u32_u24 v163, v149, s9, v154
	v_mad_u32_u24 v164, v6, s8, v5
	s_mul_i32 s19, s28, 0xd0
	v_or_b32_e32 v150, v4, v6
	s_mov_b32 s12, 0
	v_mov_b32_e32 v165, s11
	v_mov_b32_e32 v166, s18
	s_branch .LBB62_133
.LBB62_132:                             ;   in Loop: Header=BB62_133 Depth=1
	s_or_b64 exec, exec, s[14:15]
	v_mul_f64 v[132:133], v[6:7], v[22:23]
	v_fma_f64 v[132:133], v[4:5], v[20:21], -v[132:133]
	v_mul_f64 v[4:5], v[4:5], v[22:23]
	v_mul_f64 v[22:23], v[10:11], v[42:43]
	v_add_f64 v[0:1], v[0:1], v[132:133]
	v_fma_f64 v[22:23], v[8:9], v[40:41], -v[22:23]
	v_add_f64 v[0:1], v[0:1], v[22:23]
	v_mul_f64 v[22:23], v[14:15], v[46:47]
	v_fma_f64 v[22:23], v[12:13], v[44:45], -v[22:23]
	v_add_f64 v[0:1], v[0:1], v[22:23]
	v_mul_f64 v[22:23], v[18:19], v[50:51]
	v_fmac_f64_e32 v[4:5], v[6:7], v[20:21]
	v_fma_f64 v[22:23], v[16:17], v[48:49], -v[22:23]
	v_add_f64 v[2:3], v[2:3], v[4:5]
	v_mul_f64 v[4:5], v[26:27], v[70:71]
	v_add_f64 v[0:1], v[0:1], v[22:23]
	v_fma_f64 v[4:5], v[24:25], v[68:69], -v[4:5]
	v_add_f64 v[0:1], v[0:1], v[4:5]
	v_mul_f64 v[4:5], v[34:35], v[82:83]
	v_fma_f64 v[4:5], v[32:33], v[80:81], -v[4:5]
	v_add_f64 v[0:1], v[0:1], v[4:5]
	v_mul_f64 v[4:5], v[30:31], v[78:79]
	;; [unrolled: 3-line block ×4, first 2 shown]
	v_mul_f64 v[8:9], v[8:9], v[42:43]
	v_fma_f64 v[4:5], v[52:53], v[100:101], -v[4:5]
	v_mul_f64 v[12:13], v[12:13], v[46:47]
	v_fmac_f64_e32 v[8:9], v[10:11], v[40:41]
	v_add_f64 v[0:1], v[0:1], v[4:5]
	v_mul_f64 v[4:5], v[62:63], v[118:119]
	v_mul_f64 v[16:17], v[16:17], v[50:51]
	v_add_f64 v[2:3], v[2:3], v[8:9]
	v_fmac_f64_e32 v[12:13], v[14:15], v[44:45]
	v_fma_f64 v[4:5], v[60:61], v[116:117], -v[4:5]
	v_add_f64 v[2:3], v[2:3], v[12:13]
	v_fmac_f64_e32 v[16:17], v[18:19], v[48:49]
	v_mul_f64 v[6:7], v[24:25], v[70:71]
	v_add_f64 v[0:1], v[0:1], v[4:5]
	v_mul_f64 v[4:5], v[58:59], v[114:115]
	v_add_f64 v[2:3], v[2:3], v[16:17]
	v_mul_f64 v[8:9], v[32:33], v[82:83]
	v_fmac_f64_e32 v[6:7], v[26:27], v[68:69]
	v_fma_f64 v[4:5], v[56:57], v[112:113], -v[4:5]
	v_mul_f64 v[10:11], v[28:29], v[78:79]
	v_add_f64 v[2:3], v[2:3], v[6:7]
	v_fmac_f64_e32 v[8:9], v[34:35], v[80:81]
	v_add_f64 v[0:1], v[0:1], v[4:5]
	v_mul_f64 v[4:5], v[66:67], v[110:111]
	v_mul_f64 v[12:13], v[36:37], v[74:75]
	v_add_f64 v[2:3], v[2:3], v[8:9]
	v_fmac_f64_e32 v[10:11], v[30:31], v[76:77]
	v_fma_f64 v[4:5], v[64:65], v[108:109], -v[4:5]
	v_add_f64 v[2:3], v[2:3], v[10:11]
	v_fmac_f64_e32 v[12:13], v[38:39], v[72:73]
	v_mul_f64 v[6:7], v[52:53], v[102:103]
	v_add_f64 v[0:1], v[0:1], v[4:5]
	v_mul_f64 v[4:5], v[90:91], v[106:107]
	v_add_f64 v[2:3], v[2:3], v[12:13]
	v_mul_f64 v[8:9], v[60:61], v[118:119]
	v_fmac_f64_e32 v[6:7], v[54:55], v[100:101]
	v_fma_f64 v[4:5], v[88:89], v[104:105], -v[4:5]
	v_mul_f64 v[10:11], v[56:57], v[114:115]
	v_add_f64 v[2:3], v[2:3], v[6:7]
	v_fmac_f64_e32 v[8:9], v[62:63], v[116:117]
	v_add_f64 v[0:1], v[0:1], v[4:5]
	v_mul_f64 v[4:5], v[94:95], v[122:123]
	v_mul_f64 v[12:13], v[64:65], v[110:111]
	v_add_f64 v[2:3], v[2:3], v[8:9]
	v_fmac_f64_e32 v[10:11], v[58:59], v[112:113]
	v_fma_f64 v[4:5], v[92:93], v[120:121], -v[4:5]
	v_add_f64 v[2:3], v[2:3], v[10:11]
	v_fmac_f64_e32 v[12:13], v[66:67], v[108:109]
	v_mul_f64 v[6:7], v[88:89], v[106:107]
	v_add_f64 v[0:1], v[0:1], v[4:5]
	v_mul_f64 v[4:5], v[86:87], v[126:127]
	v_add_f64 v[2:3], v[2:3], v[12:13]
	v_mul_f64 v[8:9], v[92:93], v[122:123]
	v_fma_f64 v[4:5], v[84:85], v[124:125], -v[4:5]
	v_fmac_f64_e32 v[6:7], v[90:91], v[104:105]
	v_mul_f64 v[10:11], v[84:85], v[126:127]
	v_add_f64 v[0:1], v[0:1], v[4:5]
	v_mul_f64 v[4:5], v[98:99], v[130:131]
	v_fmac_f64_e32 v[8:9], v[94:95], v[120:121]
	v_add_f64 v[2:3], v[2:3], v[6:7]
	v_fma_f64 v[4:5], v[96:97], v[128:129], -v[4:5]
	v_mul_f64 v[12:13], v[96:97], v[130:131]
	v_fmac_f64_e32 v[10:11], v[86:87], v[124:125]
	v_add_f64 v[2:3], v[2:3], v[8:9]
	v_add_f64 v[0:1], v[0:1], v[4:5]
	v_fmac_f64_e32 v[12:13], v[98:99], v[128:129]
	v_add_f64 v[2:3], v[2:3], v[10:11]
	s_add_i32 s6, s6, -1
	s_add_i32 s12, s12, s7
	v_mov_b32_e32 v4, s18
	v_add_co_u32_e64 v8, s[8:9], s19, v152
	v_add_f64 v[2:3], v[2:3], v[12:13]
	v_add_u32_e32 v150, 64, v150
	s_cmp_eq_u32 s6, 0
	v_addc_co_u32_e64 v9, s[8:9], v153, v4, s[8:9]
	s_barrier
	s_cbranch_scc1 .LBB62_137
.LBB62_133:                             ; =>This Inner Loop Header: Depth=1
	s_and_saveexec_b64 s[14:15], s[2:3]
	s_cbranch_execz .LBB62_135
; %bb.134:                              ;   in Loop: Header=BB62_133 Depth=1
	s_ashr_i32 s13, s12, 31
	s_lshl_b64 s[8:9], s[12:13], 4
	v_mov_b32_e32 v5, s9
	v_add_co_u32_e64 v4, s[8:9], s8, v155
	v_addc_co_u32_e64 v5, s[8:9], v156, v5, s[8:9]
	flat_load_dwordx4 v[4:7], v[4:5]
	s_waitcnt vmcnt(0) lgkmcnt(0)
	ds_write2_b64 v157, v[4:5], v[6:7] offset1:1
.LBB62_135:                             ;   in Loop: Header=BB62_133 Depth=1
	s_or_b64 exec, exec, s[14:15]
	v_add_co_u32_e64 v12, s[8:9], s10, v8
	v_addc_co_u32_e64 v13, s[8:9], v9, v165, s[8:9]
	v_add_co_u32_e64 v16, s[8:9], s10, v12
	s_waitcnt lgkmcnt(0)
	s_barrier
	flat_load_dwordx4 v[4:7], v[8:9]
	v_addc_co_u32_e64 v17, s[8:9], v13, v165, s[8:9]
	flat_load_dwordx4 v[8:11], v[12:13]
	v_add_co_u32_e64 v28, s[8:9], s10, v16
	flat_load_dwordx4 v[12:15], v[16:17]
	v_addc_co_u32_e64 v29, s[8:9], v17, v165, s[8:9]
	flat_load_dwordx4 v[16:19], v[28:29]
	ds_read_b128 v[24:27], v158
	ds_read_b128 v[20:23], v162
	v_add_co_u32_e64 v36, s[8:9], s19, v28
	v_addc_co_u32_e64 v37, s[8:9], v29, v166, s[8:9]
	v_add_co_u32_e64 v38, s[8:9], s10, v36
	v_addc_co_u32_e64 v39, s[8:9], v37, v165, s[8:9]
	;; [unrolled: 2-line block ×3, first 2 shown]
	s_waitcnt vmcnt(0) lgkmcnt(0)
	v_mul_f64 v[28:29], v[6:7], v[26:27]
	v_mul_f64 v[30:31], v[6:7], v[24:25]
	v_fmac_f64_e32 v[28:29], v[4:5], v[24:25]
	v_fma_f64 v[30:31], v[4:5], v[26:27], -v[30:31]
	v_mul_f64 v[32:33], v[10:11], v[26:27]
	v_mul_f64 v[34:35], v[10:11], v[24:25]
	ds_write_b128 v163, v[28:31]
	v_fmac_f64_e32 v[32:33], v[8:9], v[24:25]
	v_fma_f64 v[34:35], v[8:9], v[26:27], -v[34:35]
	v_mul_f64 v[28:29], v[14:15], v[26:27]
	v_mul_f64 v[30:31], v[14:15], v[24:25]
	ds_read_b128 v[40:43], v162 offset:16
	ds_write_b128 v163, v[32:35] offset:1072
	v_fmac_f64_e32 v[28:29], v[12:13], v[24:25]
	v_fma_f64 v[30:31], v[12:13], v[26:27], -v[30:31]
	v_mul_f64 v[32:33], v[18:19], v[26:27]
	v_mul_f64 v[34:35], v[18:19], v[24:25]
	ds_read_b128 v[44:47], v162 offset:32
	ds_write_b128 v163, v[28:31] offset:2144
	v_fmac_f64_e32 v[32:33], v[16:17], v[24:25]
	v_fma_f64 v[34:35], v[16:17], v[26:27], -v[34:35]
	ds_read_b128 v[48:51], v162 offset:48
	ds_write_b128 v163, v[32:35] offset:3216
	s_waitcnt lgkmcnt(0)
	s_barrier
	ds_read_b128 v[128:131], v161
	ds_read_b128 v[124:127], v161 offset:16
	ds_read_b128 v[120:123], v161 offset:32
	;; [unrolled: 1-line block ×3, first 2 shown]
	s_waitcnt lgkmcnt(0)
	s_barrier
	flat_load_dwordx4 v[24:27], v[36:37]
	flat_load_dwordx4 v[32:35], v[38:39]
	;; [unrolled: 1-line block ×3, first 2 shown]
	v_add_co_u32_e64 v52, s[8:9], s10, v52
	v_addc_co_u32_e64 v53, s[8:9], v53, v165, s[8:9]
	flat_load_dwordx4 v[36:39], v[52:53]
	v_add_co_u32_e64 v88, s[8:9], s19, v52
	v_addc_co_u32_e64 v89, s[8:9], v53, v166, s[8:9]
	ds_read_b128 v[52:55], v158
	ds_read_b128 v[68:71], v162 offset:256
	v_add_co_u32_e64 v90, s[8:9], s10, v88
	v_addc_co_u32_e64 v91, s[8:9], v89, v165, s[8:9]
	v_add_co_u32_e64 v92, s[8:9], s10, v90
	v_addc_co_u32_e64 v93, s[8:9], v91, v165, s[8:9]
	v_add_f64 v[128:129], v[128:129], 0
	v_add_f64 v[130:131], v[130:131], 0
	;; [unrolled: 1-line block ×6, first 2 shown]
	s_waitcnt vmcnt(0) lgkmcnt(0)
	v_mul_f64 v[56:57], v[26:27], v[54:55]
	v_mul_f64 v[58:59], v[26:27], v[52:53]
	;; [unrolled: 1-line block ×4, first 2 shown]
	v_fmac_f64_e32 v[56:57], v[24:25], v[52:53]
	v_fma_f64 v[58:59], v[24:25], v[54:55], -v[58:59]
	v_mul_f64 v[64:65], v[30:31], v[54:55]
	v_mul_f64 v[66:67], v[30:31], v[52:53]
	v_fmac_f64_e32 v[60:61], v[32:33], v[52:53]
	v_fma_f64 v[62:63], v[32:33], v[54:55], -v[62:63]
	ds_write_b128 v163, v[56:59]
	v_mul_f64 v[84:85], v[38:39], v[54:55]
	v_mul_f64 v[72:73], v[38:39], v[52:53]
	v_fmac_f64_e32 v[64:65], v[28:29], v[52:53]
	v_fma_f64 v[66:67], v[28:29], v[54:55], -v[66:67]
	ds_read_b128 v[80:83], v162 offset:272
	ds_write_b128 v163, v[60:63] offset:1072
	v_fmac_f64_e32 v[84:85], v[36:37], v[52:53]
	v_fma_f64 v[86:87], v[36:37], v[54:55], -v[72:73]
	ds_read_b128 v[76:79], v162 offset:288
	ds_write_b128 v163, v[64:67] offset:2144
	ds_read_b128 v[72:75], v162 offset:304
	ds_write_b128 v163, v[84:87] offset:3216
	v_add_co_u32_e64 v84, s[8:9], s10, v92
	s_waitcnt lgkmcnt(0)
	s_barrier
	ds_read_b128 v[144:147], v161
	ds_read_b128 v[140:143], v161 offset:16
	ds_read_b128 v[136:139], v161 offset:32
	;; [unrolled: 1-line block ×3, first 2 shown]
	s_waitcnt lgkmcnt(0)
	s_barrier
	flat_load_dwordx4 v[52:55], v[88:89]
	flat_load_dwordx4 v[60:63], v[90:91]
	;; [unrolled: 1-line block ×3, first 2 shown]
	v_addc_co_u32_e64 v85, s[8:9], v93, v165, s[8:9]
	flat_load_dwordx4 v[64:67], v[84:85]
	v_add_co_u32_e64 v152, s[8:9], s19, v84
	v_addc_co_u32_e64 v153, s[8:9], v85, v166, s[8:9]
	ds_read_b128 v[84:87], v158
	ds_read_b128 v[100:103], v162 offset:512
	v_add_co_u32_e64 v184, s[8:9], s10, v152
	v_addc_co_u32_e64 v185, s[8:9], v153, v165, s[8:9]
	v_add_co_u32_e64 v186, s[8:9], s10, v184
	v_addc_co_u32_e64 v187, s[8:9], v185, v165, s[8:9]
	s_waitcnt vmcnt(0) lgkmcnt(0)
	v_mul_f64 v[88:89], v[54:55], v[86:87]
	v_mul_f64 v[90:91], v[54:55], v[84:85]
	;; [unrolled: 1-line block ×4, first 2 shown]
	v_fmac_f64_e32 v[88:89], v[52:53], v[84:85]
	v_fma_f64 v[90:91], v[52:53], v[86:87], -v[90:91]
	v_mul_f64 v[96:97], v[58:59], v[86:87]
	v_mul_f64 v[98:99], v[58:59], v[84:85]
	v_fmac_f64_e32 v[92:93], v[60:61], v[84:85]
	v_fma_f64 v[94:95], v[60:61], v[86:87], -v[94:95]
	ds_write_b128 v163, v[88:91]
	v_mul_f64 v[168:169], v[66:67], v[86:87]
	v_mul_f64 v[108:109], v[66:67], v[84:85]
	v_fmac_f64_e32 v[96:97], v[56:57], v[84:85]
	v_fma_f64 v[98:99], v[56:57], v[86:87], -v[98:99]
	ds_read_b128 v[116:119], v162 offset:528
	ds_write_b128 v163, v[92:95] offset:1072
	v_fmac_f64_e32 v[168:169], v[64:65], v[84:85]
	v_fma_f64 v[170:171], v[64:65], v[86:87], -v[108:109]
	ds_read_b128 v[112:115], v162 offset:544
	ds_write_b128 v163, v[96:99] offset:2144
	ds_read_b128 v[108:111], v162 offset:560
	ds_write_b128 v163, v[168:171] offset:3216
	s_waitcnt lgkmcnt(0)
	s_barrier
	ds_read_b128 v[168:171], v161
	ds_read_b128 v[172:175], v161 offset:16
	ds_read_b128 v[176:179], v161 offset:32
	;; [unrolled: 1-line block ×3, first 2 shown]
	s_waitcnt lgkmcnt(0)
	s_barrier
	flat_load_dwordx4 v[88:91], v[152:153]
	flat_load_dwordx4 v[92:95], v[184:185]
	;; [unrolled: 1-line block ×3, first 2 shown]
	v_add_co_u32_e64 v152, s[8:9], s10, v186
	v_addc_co_u32_e64 v153, s[8:9], v187, v165, s[8:9]
	flat_load_dwordx4 v[96:99], v[152:153]
	v_add_f64 v[184:185], v[120:121], v[104:105]
	v_add_f64 v[186:187], v[122:123], v[106:107]
	;; [unrolled: 1-line block ×10, first 2 shown]
	ds_read_b128 v[120:123], v158
	ds_read_b128 v[104:107], v162 offset:768
	v_add_f64 v[124:125], v[168:169], 0
	v_add_f64 v[126:127], v[170:171], 0
	v_add_f64 v[124:125], v[124:125], v[172:173]
	v_add_f64 v[126:127], v[126:127], v[174:175]
	v_add_f64 v[124:125], v[124:125], v[176:177]
	v_add_f64 v[126:127], v[126:127], v[178:179]
	v_add_f64 v[136:137], v[124:125], v[180:181]
	v_add_f64 v[138:139], v[126:127], v[182:183]
	s_waitcnt vmcnt(0) lgkmcnt(0)
	v_mul_f64 v[124:125], v[90:91], v[122:123]
	v_mul_f64 v[126:127], v[90:91], v[120:121]
	;; [unrolled: 1-line block ×4, first 2 shown]
	v_fma_f64 v[126:127], v[88:89], v[122:123], -v[126:127]
	v_fmac_f64_e32 v[124:125], v[88:89], v[120:121]
	v_mul_f64 v[140:141], v[86:87], v[122:123]
	v_mul_f64 v[142:143], v[86:87], v[120:121]
	v_mul_f64 v[146:147], v[98:99], v[120:121]
	v_mul_f64 v[144:145], v[98:99], v[122:123]
	v_fma_f64 v[130:131], v[92:93], v[122:123], -v[130:131]
	v_fmac_f64_e32 v[128:129], v[92:93], v[120:121]
	ds_write_b128 v163, v[124:127]
	v_fma_f64 v[142:143], v[84:85], v[122:123], -v[142:143]
	v_fma_f64 v[146:147], v[96:97], v[122:123], -v[146:147]
	v_fmac_f64_e32 v[140:141], v[84:85], v[120:121]
	v_fmac_f64_e32 v[144:145], v[96:97], v[120:121]
	ds_read_b128 v[120:123], v162 offset:784
	ds_write_b128 v163, v[128:131] offset:1072
	ds_read_b128 v[124:127], v162 offset:800
	ds_write_b128 v163, v[140:143] offset:2144
	ds_read_b128 v[128:131], v162 offset:816
	ds_write_b128 v163, v[144:147] offset:3216
	s_waitcnt lgkmcnt(0)
	s_barrier
	ds_read_b128 v[140:143], v161
	ds_read_b128 v[144:147], v161 offset:16
	ds_read_b128 v[168:171], v161 offset:32
	;; [unrolled: 1-line block ×3, first 2 shown]
	s_waitcnt lgkmcnt(0)
	s_barrier
	ds_write_b128 v164, v[184:187]
	ds_write_b128 v164, v[132:135] offset:256
	ds_write_b128 v164, v[136:139] offset:512
	v_add_f64 v[132:133], v[140:141], 0
	v_add_f64 v[134:135], v[142:143], 0
	;; [unrolled: 1-line block ×8, first 2 shown]
	ds_write_b128 v164, v[132:135] offset:768
	s_waitcnt lgkmcnt(0)
	s_barrier
	s_and_saveexec_b64 s[14:15], s[4:5]
	s_cbranch_execz .LBB62_132
; %bb.136:                              ;   in Loop: Header=BB62_133 Depth=1
	ds_read_b128 v[132:135], v159
	ds_read_b128 v[136:139], v159 offset:16
	ds_read_b128 v[140:143], v159 offset:32
	;; [unrolled: 1-line block ×3, first 2 shown]
	s_waitcnt lgkmcnt(2)
	v_add_f64 v[132:133], v[136:137], v[132:133]
	v_add_f64 v[136:137], v[138:139], v[134:135]
	s_waitcnt lgkmcnt(1)
	v_add_f64 v[138:139], v[132:133], v[140:141]
	ds_read_b128 v[132:135], v159 offset:64
	v_add_f64 v[140:141], v[136:137], v[142:143]
	s_waitcnt lgkmcnt(1)
	v_add_f64 v[142:143], v[138:139], v[144:145]
	ds_read_b128 v[136:139], v159 offset:80
	;; [unrolled: 4-line block ×9, first 2 shown]
	v_add_f64 v[134:135], v[144:145], v[134:135]
	s_waitcnt lgkmcnt(1)
	v_add_f64 v[136:137], v[132:133], v[136:137]
	v_add_f64 v[144:145], v[134:135], v[138:139]
	ds_read_b128 v[132:135], v159 offset:208
	s_waitcnt lgkmcnt(1)
	v_add_f64 v[146:147], v[136:137], v[140:141]
	ds_read_b128 v[136:139], v159 offset:224
	v_add_f64 v[144:145], v[144:145], v[142:143]
	ds_read_b128 v[140:143], v160
	s_waitcnt lgkmcnt(2)
	v_add_f64 v[132:133], v[146:147], v[132:133]
	v_add_f64 v[134:135], v[144:145], v[134:135]
	s_waitcnt lgkmcnt(1)
	v_add_f64 v[132:133], v[132:133], v[136:137]
	v_lshlrev_b64 v[136:137], 4, v[150:151]
	v_add_f64 v[134:135], v[134:135], v[138:139]
	v_mov_b32_e32 v138, s17
	v_add_co_u32_e64 v136, s[8:9], s16, v136
	s_waitcnt lgkmcnt(0)
	v_add_f64 v[132:133], v[132:133], v[140:141]
	v_add_f64 v[134:135], v[134:135], v[142:143]
	v_addc_co_u32_e64 v137, s[8:9], v138, v137, s[8:9]
	global_store_dwordx4 v[136:137], v[132:135], off
	s_branch .LBB62_132
.LBB62_137:
	s_movk_i32 s2, 0x430
	s_or_b64 s[0:1], s[0:1], vcc
	v_mad_u32_u24 v4, v149, s2, v154
	s_xor_b64 s[0:1], s[0:1], -1
	ds_write_b128 v4, v[0:3]
	s_waitcnt lgkmcnt(0)
	s_barrier
	s_and_saveexec_b64 s[2:3], s[0:1]
	s_cbranch_execz .LBB62_139
; %bb.138:
	ds_read_b128 v[0:3], v154 offset:1072
	ds_read_b128 v[4:7], v154
	ds_read_b128 v[8:11], v154 offset:2144
	ds_read_b128 v[12:15], v154 offset:3216
	v_ashrrev_i32_e32 v149, 31, v148
	s_waitcnt lgkmcnt(2)
	v_add_f64 v[0:1], v[0:1], v[4:5]
	v_add_f64 v[2:3], v[2:3], v[6:7]
	v_lshlrev_b64 v[4:5], 4, v[148:149]
	s_waitcnt lgkmcnt(1)
	v_add_f64 v[0:1], v[0:1], v[8:9]
	v_add_f64 v[2:3], v[2:3], v[10:11]
	v_mov_b32_e32 v6, s17
	v_add_co_u32_e32 v4, vcc, s16, v4
	s_waitcnt lgkmcnt(0)
	v_add_f64 v[0:1], v[0:1], v[12:13]
	v_add_f64 v[2:3], v[2:3], v[14:15]
	v_addc_co_u32_e32 v5, vcc, v6, v5, vcc
	global_store_dwordx4 v[4:5], v[0:3], off
.LBB62_139:
	s_endpgm
	.section	.rodata,"a",@progbits
	.p2align	6, 0x0
	.amdhsa_kernel _ZL26rocblas_hemvn_kernel_lowerILb1ELi64ELi4ELi33ELi32ELi16Ei19rocblas_complex_numIdEPKPKS1_PS1_EviT6_lT7_lT5_lS8_lS9_lS7_lT8_i
		.amdhsa_group_segment_fixed_size 19200
		.amdhsa_private_segment_fixed_size 0
		.amdhsa_kernarg_size 392
		.amdhsa_user_sgpr_count 6
		.amdhsa_user_sgpr_private_segment_buffer 1
		.amdhsa_user_sgpr_dispatch_ptr 0
		.amdhsa_user_sgpr_queue_ptr 0
		.amdhsa_user_sgpr_kernarg_segment_ptr 1
		.amdhsa_user_sgpr_dispatch_id 0
		.amdhsa_user_sgpr_flat_scratch_init 0
		.amdhsa_user_sgpr_kernarg_preload_length 0
		.amdhsa_user_sgpr_kernarg_preload_offset 0
		.amdhsa_user_sgpr_private_segment_size 0
		.amdhsa_uses_dynamic_stack 0
		.amdhsa_system_sgpr_private_segment_wavefront_offset 0
		.amdhsa_system_sgpr_workgroup_id_x 1
		.amdhsa_system_sgpr_workgroup_id_y 0
		.amdhsa_system_sgpr_workgroup_id_z 1
		.amdhsa_system_sgpr_workgroup_info 0
		.amdhsa_system_vgpr_workitem_id 1
		.amdhsa_next_free_vgpr 188
		.amdhsa_next_free_sgpr 46
		.amdhsa_accum_offset 188
		.amdhsa_reserve_vcc 1
		.amdhsa_reserve_flat_scratch 0
		.amdhsa_float_round_mode_32 0
		.amdhsa_float_round_mode_16_64 0
		.amdhsa_float_denorm_mode_32 3
		.amdhsa_float_denorm_mode_16_64 3
		.amdhsa_dx10_clamp 1
		.amdhsa_ieee_mode 1
		.amdhsa_fp16_overflow 0
		.amdhsa_tg_split 0
		.amdhsa_exception_fp_ieee_invalid_op 0
		.amdhsa_exception_fp_denorm_src 0
		.amdhsa_exception_fp_ieee_div_zero 0
		.amdhsa_exception_fp_ieee_overflow 0
		.amdhsa_exception_fp_ieee_underflow 0
		.amdhsa_exception_fp_ieee_inexact 0
		.amdhsa_exception_int_div_zero 0
	.end_amdhsa_kernel
	.section	.text._ZL26rocblas_hemvn_kernel_lowerILb1ELi64ELi4ELi33ELi32ELi16Ei19rocblas_complex_numIdEPKPKS1_PS1_EviT6_lT7_lT5_lS8_lS9_lS7_lT8_i,"axG",@progbits,_ZL26rocblas_hemvn_kernel_lowerILb1ELi64ELi4ELi33ELi32ELi16Ei19rocblas_complex_numIdEPKPKS1_PS1_EviT6_lT7_lT5_lS8_lS9_lS7_lT8_i,comdat
.Lfunc_end62:
	.size	_ZL26rocblas_hemvn_kernel_lowerILb1ELi64ELi4ELi33ELi32ELi16Ei19rocblas_complex_numIdEPKPKS1_PS1_EviT6_lT7_lT5_lS8_lS9_lS7_lT8_i, .Lfunc_end62-_ZL26rocblas_hemvn_kernel_lowerILb1ELi64ELi4ELi33ELi32ELi16Ei19rocblas_complex_numIdEPKPKS1_PS1_EviT6_lT7_lT5_lS8_lS9_lS7_lT8_i
                                        ; -- End function
	.section	.AMDGPU.csdata,"",@progbits
; Kernel info:
; codeLenInByte = 9720
; NumSgprs: 50
; NumVgprs: 188
; NumAgprs: 0
; TotalNumVgprs: 188
; ScratchSize: 0
; MemoryBound: 0
; FloatMode: 240
; IeeeMode: 1
; LDSByteSize: 19200 bytes/workgroup (compile time only)
; SGPRBlocks: 6
; VGPRBlocks: 23
; NumSGPRsForWavesPerEU: 50
; NumVGPRsForWavesPerEU: 188
; AccumOffset: 188
; Occupancy: 2
; WaveLimiterHint : 1
; COMPUTE_PGM_RSRC2:SCRATCH_EN: 0
; COMPUTE_PGM_RSRC2:USER_SGPR: 6
; COMPUTE_PGM_RSRC2:TRAP_HANDLER: 0
; COMPUTE_PGM_RSRC2:TGID_X_EN: 1
; COMPUTE_PGM_RSRC2:TGID_Y_EN: 0
; COMPUTE_PGM_RSRC2:TGID_Z_EN: 1
; COMPUTE_PGM_RSRC2:TIDIG_COMP_CNT: 1
; COMPUTE_PGM_RSRC3_GFX90A:ACCUM_OFFSET: 46
; COMPUTE_PGM_RSRC3_GFX90A:TG_SPLIT: 0
	.section	.text._ZL36rocblas_hemvn_kernel_lower_block_sumILi64Ei19rocblas_complex_numIdEPKPS1_S1_EviT1_lS5_lT2_lT0_lPT3_i,"axG",@progbits,_ZL36rocblas_hemvn_kernel_lower_block_sumILi64Ei19rocblas_complex_numIdEPKPS1_S1_EviT1_lS5_lT2_lT0_lPT3_i,comdat
	.globl	_ZL36rocblas_hemvn_kernel_lower_block_sumILi64Ei19rocblas_complex_numIdEPKPS1_S1_EviT1_lS5_lT2_lT0_lPT3_i ; -- Begin function _ZL36rocblas_hemvn_kernel_lower_block_sumILi64Ei19rocblas_complex_numIdEPKPS1_S1_EviT1_lS5_lT2_lT0_lPT3_i
	.p2align	8
	.type	_ZL36rocblas_hemvn_kernel_lower_block_sumILi64Ei19rocblas_complex_numIdEPKPS1_S1_EviT1_lS5_lT2_lT0_lPT3_i,@function
_ZL36rocblas_hemvn_kernel_lower_block_sumILi64Ei19rocblas_complex_numIdEPKPS1_S1_EviT1_lS5_lT2_lT0_lPT3_i: ; @_ZL36rocblas_hemvn_kernel_lower_block_sumILi64Ei19rocblas_complex_numIdEPKPS1_S1_EviT1_lS5_lT2_lT0_lPT3_i
; %bb.0:
	s_load_dwordx4 s[12:15], s[4:5], 0x8
	s_load_dwordx4 s[8:11], s[4:5], 0x20
	s_mov_b32 s16, s7
	s_waitcnt lgkmcnt(0)
	v_cmp_neq_f64_e64 s[0:1], s[12:13], 0
	v_cmp_neq_f64_e64 s[2:3], s[14:15], 0
	s_or_b64 s[0:1], s[0:1], s[2:3]
	s_mov_b64 s[2:3], -1
	s_and_b64 vcc, exec, s[0:1]
	s_cbranch_vccnz .LBB63_2
; %bb.1:
	v_cmp_neq_f64_e64 s[2:3], s[8:9], 1.0
	v_cmp_neq_f64_e64 s[18:19], s[10:11], 0
	s_or_b64 s[2:3], s[2:3], s[18:19]
.LBB63_2:
	s_andn2_b64 vcc, exec, s[2:3]
	s_cbranch_vccnz .LBB63_22
; %bb.3:
	s_load_dword s24, s[4:5], 0x48
	s_load_dwordx4 s[20:23], s[4:5], 0x38
	s_load_dword s18, s[4:5], 0x0
	s_mov_b32 s17, 0
	s_lshl_b64 s[2:3], s[16:17], 3
	s_xor_b64 s[0:1], s[0:1], -1
	s_waitcnt lgkmcnt(0)
	s_add_u32 s2, s20, s2
	s_addc_u32 s3, s21, s3
	s_load_dwordx2 s[2:3], s[2:3], 0x0
	s_lshl_b64 s[20:21], s[22:23], 4
	v_lshl_or_b32 v8, s6, 6, v0
	s_waitcnt lgkmcnt(0)
	s_add_u32 s7, s2, s20
	s_addc_u32 s17, s3, s21
	s_andn2_b64 vcc, exec, s[0:1]
	v_cmp_gt_i32_e64 s[0:1], s18, v8
	s_cbranch_vccnz .LBB63_8
; %bb.4:
	s_mov_b64 s[20:21], 0
	s_mov_b64 s[2:3], 0
                                        ; implicit-def: $vgpr2_vgpr3
                                        ; implicit-def: $vgpr4_vgpr5
	s_and_saveexec_b64 s[22:23], s[0:1]
	s_cbranch_execz .LBB63_9
; %bb.5:
	v_cmp_neq_f64_e64 s[0:1], s[8:9], 0
	v_cmp_neq_f64_e64 s[2:3], s[10:11], 0
	v_pk_mov_b32 v[2:3], 0, 0
	v_mul_lo_u32 v4, v8, s24
	s_or_b64 s[0:1], s[0:1], s[2:3]
	v_ashrrev_i32_e32 v5, 31, v4
	s_andn2_b64 vcc, exec, s[0:1]
	v_pk_mov_b32 v[0:1], v[2:3], v[2:3] op_sel:[0,1]
	s_cbranch_vccnz .LBB63_7
; %bb.6:
	v_lshlrev_b64 v[0:1], 4, v[4:5]
	v_mov_b32_e32 v2, s17
	v_add_co_u32_e32 v0, vcc, s7, v0
	v_addc_co_u32_e32 v1, vcc, v2, v1, vcc
	global_load_dwordx4 v[10:13], v[0:1], off
	s_waitcnt vmcnt(0)
	v_mul_f64 v[0:1], s[10:11], v[12:13]
	v_mul_f64 v[2:3], s[8:9], v[12:13]
	v_fma_f64 v[0:1], s[8:9], v[10:11], -v[0:1]
	v_fmac_f64_e32 v[2:3], s[10:11], v[10:11]
.LBB63_7:
	s_mov_b64 s[2:3], exec
	s_or_b64 exec, exec, s[22:23]
	s_and_b64 vcc, exec, s[20:21]
	s_cbranch_vccnz .LBB63_10
	s_branch .LBB63_20
.LBB63_8:
	s_mov_b64 s[2:3], 0
                                        ; implicit-def: $vgpr2_vgpr3
                                        ; implicit-def: $vgpr4_vgpr5
	s_cbranch_execnz .LBB63_10
	s_branch .LBB63_20
.LBB63_9:
	s_or_b64 exec, exec, s[22:23]
	s_and_b64 vcc, exec, s[20:21]
	s_cbranch_vccz .LBB63_20
.LBB63_10:
	v_cmp_gt_i32_e32 vcc, s18, v8
                                        ; implicit-def: $vgpr2_vgpr3
                                        ; implicit-def: $vgpr4_vgpr5
	s_and_saveexec_b64 s[0:1], vcc
	s_cbranch_execz .LBB63_19
; %bb.11:
	s_load_dword s20, s[4:5], 0x68
	v_pk_mov_b32 v[0:1], 0, 0
	v_pk_mov_b32 v[6:7], v[0:1], v[0:1] op_sel:[0,1]
	s_waitcnt lgkmcnt(0)
	s_cmp_ge_i32 s6, s20
	s_cbranch_scc1 .LBB63_14
; %bb.12:
	s_ashr_i32 s19, s18, 31
	s_mul_i32 s21, s6, s18
	s_load_dwordx2 s[4:5], s[4:5], 0x58
	v_add_u32_e32 v0, s21, v8
	s_mul_hi_u32 s21, s18, s16
	s_mul_i32 s22, s19, s16
	s_add_i32 s21, s21, s22
	s_mul_i32 s16, s18, s16
	s_mul_i32 s21, s21, s20
	s_mul_hi_u32 s22, s16, s20
	s_add_i32 s23, s22, s21
	s_mul_i32 s22, s16, s20
	s_lshl_b64 s[22:23], s[22:23], 4
	v_ashrrev_i32_e32 v1, 31, v0
	s_waitcnt lgkmcnt(0)
	s_add_u32 s4, s4, s22
	v_lshlrev_b64 v[0:1], 4, v[0:1]
	s_addc_u32 s5, s5, s23
	v_mov_b32_e32 v2, s5
	v_add_co_u32_e32 v0, vcc, s4, v0
	v_addc_co_u32_e32 v1, vcc, v2, v1, vcc
	v_add_co_u32_e32 v2, vcc, 8, v0
	v_addc_co_u32_e32 v3, vcc, 0, v1, vcc
	s_lshl_b64 s[4:5], s[18:19], 4
	v_pk_mov_b32 v[0:1], 0, 0
	v_mov_b32_e32 v4, s5
	v_pk_mov_b32 v[6:7], v[0:1], v[0:1] op_sel:[0,1]
.LBB63_13:                              ; =>This Inner Loop Header: Depth=1
	global_load_dwordx4 v[10:13], v[2:3], off offset:-8
	s_add_i32 s6, s6, 1
	v_add_co_u32_e32 v2, vcc, s4, v2
	v_addc_co_u32_e32 v3, vcc, v3, v4, vcc
	s_cmp_ge_i32 s6, s20
	s_waitcnt vmcnt(0)
	v_add_f64 v[6:7], v[6:7], v[10:11]
	v_add_f64 v[0:1], v[0:1], v[12:13]
	s_cbranch_scc0 .LBB63_13
.LBB63_14:
	v_cmp_neq_f64_e64 s[18:19], s[8:9], 0
	v_cmp_neq_f64_e64 s[20:21], s[10:11], 0
	s_or_b64 s[18:19], s[18:19], s[20:21]
	v_mul_f64 v[10:11], s[14:15], v[0:1]
	v_mul_f64 v[2:3], s[12:13], v[0:1]
	v_mul_lo_u32 v4, v8, s24
	s_mov_b64 s[4:5], 0
	s_andn2_b64 vcc, exec, s[18:19]
	v_fma_f64 v[0:1], s[12:13], v[6:7], -v[10:11]
	v_fmac_f64_e32 v[2:3], s[14:15], v[6:7]
	v_ashrrev_i32_e32 v5, 31, v4
	s_cbranch_vccnz .LBB63_16
; %bb.15:
	s_mov_b64 s[4:5], -1
.LBB63_16:
	s_andn2_b64 vcc, exec, s[4:5]
	s_cbranch_vccnz .LBB63_18
; %bb.17:
	v_lshlrev_b64 v[6:7], 4, v[4:5]
	v_mov_b32_e32 v8, s17
	v_add_co_u32_e32 v6, vcc, s7, v6
	v_addc_co_u32_e32 v7, vcc, v8, v7, vcc
	global_load_dwordx4 v[6:9], v[6:7], off
	s_waitcnt vmcnt(0)
	v_mul_f64 v[10:11], s[10:11], v[8:9]
	v_mul_f64 v[8:9], s[8:9], v[8:9]
	v_fma_f64 v[10:11], s[8:9], v[6:7], -v[10:11]
	v_fmac_f64_e32 v[8:9], s[10:11], v[6:7]
	v_add_f64 v[0:1], v[0:1], v[10:11]
	v_add_f64 v[2:3], v[2:3], v[8:9]
.LBB63_18:
	s_or_b64 s[2:3], s[2:3], exec
.LBB63_19:
	s_or_b64 exec, exec, s[0:1]
.LBB63_20:
	s_and_saveexec_b64 s[0:1], s[2:3]
	s_cbranch_execz .LBB63_22
; %bb.21:
	v_lshlrev_b64 v[4:5], 4, v[4:5]
	v_mov_b32_e32 v6, s17
	v_add_co_u32_e32 v4, vcc, s7, v4
	v_addc_co_u32_e32 v5, vcc, v6, v5, vcc
	global_store_dwordx4 v[4:5], v[0:3], off
.LBB63_22:
	s_endpgm
	.section	.rodata,"a",@progbits
	.p2align	6, 0x0
	.amdhsa_kernel _ZL36rocblas_hemvn_kernel_lower_block_sumILi64Ei19rocblas_complex_numIdEPKPS1_S1_EviT1_lS5_lT2_lT0_lPT3_i
		.amdhsa_group_segment_fixed_size 0
		.amdhsa_private_segment_fixed_size 0
		.amdhsa_kernarg_size 360
		.amdhsa_user_sgpr_count 6
		.amdhsa_user_sgpr_private_segment_buffer 1
		.amdhsa_user_sgpr_dispatch_ptr 0
		.amdhsa_user_sgpr_queue_ptr 0
		.amdhsa_user_sgpr_kernarg_segment_ptr 1
		.amdhsa_user_sgpr_dispatch_id 0
		.amdhsa_user_sgpr_flat_scratch_init 0
		.amdhsa_user_sgpr_kernarg_preload_length 0
		.amdhsa_user_sgpr_kernarg_preload_offset 0
		.amdhsa_user_sgpr_private_segment_size 0
		.amdhsa_uses_dynamic_stack 0
		.amdhsa_system_sgpr_private_segment_wavefront_offset 0
		.amdhsa_system_sgpr_workgroup_id_x 1
		.amdhsa_system_sgpr_workgroup_id_y 0
		.amdhsa_system_sgpr_workgroup_id_z 1
		.amdhsa_system_sgpr_workgroup_info 0
		.amdhsa_system_vgpr_workitem_id 0
		.amdhsa_next_free_vgpr 14
		.amdhsa_next_free_sgpr 25
		.amdhsa_accum_offset 16
		.amdhsa_reserve_vcc 1
		.amdhsa_reserve_flat_scratch 0
		.amdhsa_float_round_mode_32 0
		.amdhsa_float_round_mode_16_64 0
		.amdhsa_float_denorm_mode_32 3
		.amdhsa_float_denorm_mode_16_64 3
		.amdhsa_dx10_clamp 1
		.amdhsa_ieee_mode 1
		.amdhsa_fp16_overflow 0
		.amdhsa_tg_split 0
		.amdhsa_exception_fp_ieee_invalid_op 0
		.amdhsa_exception_fp_denorm_src 0
		.amdhsa_exception_fp_ieee_div_zero 0
		.amdhsa_exception_fp_ieee_overflow 0
		.amdhsa_exception_fp_ieee_underflow 0
		.amdhsa_exception_fp_ieee_inexact 0
		.amdhsa_exception_int_div_zero 0
	.end_amdhsa_kernel
	.section	.text._ZL36rocblas_hemvn_kernel_lower_block_sumILi64Ei19rocblas_complex_numIdEPKPS1_S1_EviT1_lS5_lT2_lT0_lPT3_i,"axG",@progbits,_ZL36rocblas_hemvn_kernel_lower_block_sumILi64Ei19rocblas_complex_numIdEPKPS1_S1_EviT1_lS5_lT2_lT0_lPT3_i,comdat
.Lfunc_end63:
	.size	_ZL36rocblas_hemvn_kernel_lower_block_sumILi64Ei19rocblas_complex_numIdEPKPS1_S1_EviT1_lS5_lT2_lT0_lPT3_i, .Lfunc_end63-_ZL36rocblas_hemvn_kernel_lower_block_sumILi64Ei19rocblas_complex_numIdEPKPS1_S1_EviT1_lS5_lT2_lT0_lPT3_i
                                        ; -- End function
	.section	.AMDGPU.csdata,"",@progbits
; Kernel info:
; codeLenInByte = 784
; NumSgprs: 29
; NumVgprs: 14
; NumAgprs: 0
; TotalNumVgprs: 14
; ScratchSize: 0
; MemoryBound: 0
; FloatMode: 240
; IeeeMode: 1
; LDSByteSize: 0 bytes/workgroup (compile time only)
; SGPRBlocks: 3
; VGPRBlocks: 1
; NumSGPRsForWavesPerEU: 29
; NumVGPRsForWavesPerEU: 14
; AccumOffset: 16
; Occupancy: 8
; WaveLimiterHint : 1
; COMPUTE_PGM_RSRC2:SCRATCH_EN: 0
; COMPUTE_PGM_RSRC2:USER_SGPR: 6
; COMPUTE_PGM_RSRC2:TRAP_HANDLER: 0
; COMPUTE_PGM_RSRC2:TGID_X_EN: 1
; COMPUTE_PGM_RSRC2:TGID_Y_EN: 0
; COMPUTE_PGM_RSRC2:TGID_Z_EN: 1
; COMPUTE_PGM_RSRC2:TIDIG_COMP_CNT: 0
; COMPUTE_PGM_RSRC3_GFX90A:ACCUM_OFFSET: 3
; COMPUTE_PGM_RSRC3_GFX90A:TG_SPLIT: 0
	.section	.text._ZL50rocblas_symv_kernel_upper_double_buffered_diagonalILi32ELi4E24rocblas_internal_val_ptrIfEPKfPfEvbiT1_lT2_lllS6_lllS5_lT3_llli,"axG",@progbits,_ZL50rocblas_symv_kernel_upper_double_buffered_diagonalILi32ELi4E24rocblas_internal_val_ptrIfEPKfPfEvbiT1_lT2_lllS6_lllS5_lT3_llli,comdat
	.globl	_ZL50rocblas_symv_kernel_upper_double_buffered_diagonalILi32ELi4E24rocblas_internal_val_ptrIfEPKfPfEvbiT1_lT2_lllS6_lllS5_lT3_llli ; -- Begin function _ZL50rocblas_symv_kernel_upper_double_buffered_diagonalILi32ELi4E24rocblas_internal_val_ptrIfEPKfPfEvbiT1_lT2_lllS6_lllS5_lT3_llli
	.p2align	8
	.type	_ZL50rocblas_symv_kernel_upper_double_buffered_diagonalILi32ELi4E24rocblas_internal_val_ptrIfEPKfPfEvbiT1_lT2_lllS6_lllS5_lT3_llli,@function
_ZL50rocblas_symv_kernel_upper_double_buffered_diagonalILi32ELi4E24rocblas_internal_val_ptrIfEPKfPfEvbiT1_lT2_lllS6_lllS5_lT3_llli: ; @_ZL50rocblas_symv_kernel_upper_double_buffered_diagonalILi32ELi4E24rocblas_internal_val_ptrIfEPKfPfEvbiT1_lT2_lllS6_lllS5_lT3_llli
; %bb.0:
	s_load_dword s0, s[4:5], 0x0
	s_load_dwordx16 s[8:23], s[4:5], 0x8
	s_mov_b64 s[2:3], -1
                                        ; implicit-def: $sgpr33
	s_waitcnt lgkmcnt(0)
	s_bitcmp1_b32 s0, 0
	s_cselect_b64 s[0:1], -1, 0
	s_xor_b64 s[0:1], s[0:1], -1
	s_and_b64 vcc, exec, s[0:1]
	s_cbranch_vccnz .LBB64_10
; %bb.1:
	s_load_dwordx8 s[24:31], s[4:5], 0x48
	s_andn2_b64 vcc, exec, s[2:3]
	s_cbranch_vccz .LBB64_11
.LBB64_2:
	s_andn2_b64 vcc, exec, s[0:1]
	s_cbranch_vccnz .LBB64_4
.LBB64_3:
	s_waitcnt lgkmcnt(0)
	s_mul_i32 s0, s7, s31
	s_mul_hi_u32 s1, s7, s30
	s_add_i32 s1, s1, s0
	s_mul_i32 s0, s7, s30
	s_lshl_b64 s[0:1], s[0:1], 2
	s_add_u32 s0, s28, s0
	s_addc_u32 s1, s29, s1
	s_load_dword s28, s[0:1], 0x0
.LBB64_4:
	s_waitcnt lgkmcnt(0)
	v_cmp_eq_f32_e64 s[0:1], s33, 0
	v_cmp_eq_f32_e64 s[2:3], s28, 1.0
	s_and_b64 s[0:1], s[0:1], s[2:3]
	s_and_b64 vcc, exec, s[0:1]
	s_cbranch_vccnz .LBB64_9
; %bb.5:
	s_load_dwordx2 s[8:9], s[4:5], 0x80
	s_load_dwordx2 s[10:11], s[4:5], 0x68
	s_load_dwordx4 s[0:3], s[4:5], 0x70
	v_bfe_u32 v9, v0, 10, 10
	v_and_b32_e32 v8, 0x3ff, v0
	s_waitcnt lgkmcnt(0)
	s_mul_i32 s5, s7, s9
	s_mul_hi_u32 s9, s7, s8
	s_mul_i32 s4, s7, s8
	s_add_i32 s5, s9, s5
	s_lshl_b64 s[4:5], s[4:5], 2
	s_add_u32 s4, s10, s4
	s_addc_u32 s5, s11, s5
	s_lshl_b64 s[0:1], s[0:1], 2
	s_add_u32 s4, s4, s0
	s_addc_u32 s5, s5, s1
	s_lshl_b32 s6, s6, 5
	s_ashr_i32 s8, s6, 31
	s_mul_i32 s0, s6, s3
	s_mul_hi_u32 s1, s6, s2
	s_add_i32 s0, s1, s0
	s_mul_i32 s1, s8, s2
	s_add_i32 s1, s0, s1
	s_mul_i32 s0, s6, s2
	s_lshl_b64 s[0:1], s[0:1], 2
	s_add_u32 s29, s4, s0
	s_addc_u32 s30, s5, s1
	v_cmp_neq_f32_e64 s[0:1], s33, 0
	s_and_b64 vcc, exec, s[0:1]
	v_cmp_eq_u32_e64 s[0:1], 0, v9
	s_cbranch_vccnz .LBB64_12
; %bb.6:
	s_and_saveexec_b64 s[4:5], s[0:1]
	s_cbranch_execz .LBB64_8
; %bb.7:
	v_mad_u64_u32 v[0:1], s[0:1], v8, s2, 0
	v_mov_b32_e32 v2, v1
	v_mad_u64_u32 v[2:3], s[0:1], v8, s3, v[2:3]
	v_mov_b32_e32 v1, v2
	v_lshlrev_b64 v[0:1], 2, v[0:1]
	v_mov_b32_e32 v2, s30
	v_add_co_u32_e32 v0, vcc, s29, v0
	v_addc_co_u32_e32 v1, vcc, v2, v1, vcc
	global_load_dword v2, v[0:1], off
	s_waitcnt vmcnt(0)
	v_mul_f32_e32 v2, s28, v2
	global_store_dword v[0:1], v2, off
.LBB64_8:
	s_or_b64 exec, exec, s[4:5]
	s_cbranch_execz .LBB64_13
.LBB64_9:
	s_endpgm
.LBB64_10:
	s_mul_i32 s2, s7, s11
	s_mul_hi_u32 s3, s7, s10
	s_add_i32 s3, s3, s2
	s_mul_i32 s2, s7, s10
	s_lshl_b64 s[2:3], s[2:3], 2
	s_add_u32 s2, s8, s2
	s_addc_u32 s3, s9, s3
	s_load_dword s33, s[2:3], 0x0
	s_load_dwordx8 s[24:31], s[4:5], 0x48
	s_cbranch_execnz .LBB64_2
.LBB64_11:
	s_waitcnt lgkmcnt(0)
	s_mov_b32 s33, s8
	s_andn2_b64 vcc, exec, s[0:1]
	s_cbranch_vccz .LBB64_3
	s_branch .LBB64_4
.LBB64_12:
.LBB64_13:
	v_mov_b32_e32 v10, 0
	v_cmp_eq_u32_e64 s[0:1], 0, v9
	s_and_saveexec_b64 s[4:5], s[0:1]
	s_cbranch_execz .LBB64_17
; %bb.14:
	v_cmp_eq_f32_e64 s[10:11], s28, 0
	v_mov_b32_e32 v10, 0
	s_and_b64 vcc, exec, s[10:11]
	s_cbranch_vccnz .LBB64_16
; %bb.15:
	v_mad_u64_u32 v[0:1], s[10:11], v8, s2, 0
	v_mov_b32_e32 v2, v1
	v_mad_u64_u32 v[2:3], s[10:11], v8, s3, v[2:3]
	v_mov_b32_e32 v1, v2
	v_lshlrev_b64 v[0:1], 2, v[0:1]
	v_mov_b32_e32 v2, s30
	v_add_co_u32_e32 v0, vcc, s29, v0
	v_addc_co_u32_e32 v1, vcc, v2, v1, vcc
	global_load_dword v0, v[0:1], off
	s_waitcnt vmcnt(0)
	v_mul_f32_e32 v10, s28, v0
.LBB64_16:
	s_mul_i32 s9, s7, s27
	s_mul_hi_u32 s10, s7, s26
	s_add_i32 s11, s10, s9
	s_mul_i32 s10, s7, s26
	s_lshl_b64 s[10:11], s[10:11], 2
	s_add_u32 s9, s20, s10
	s_addc_u32 s20, s21, s11
	s_lshl_b64 s[10:11], s[22:23], 2
	s_add_u32 s9, s9, s10
	s_addc_u32 s20, s20, s11
	s_mul_i32 s10, s6, s25
	s_mul_hi_u32 s11, s6, s24
	s_add_i32 s10, s11, s10
	s_mul_i32 s11, s8, s24
	s_add_i32 s11, s10, s11
	s_mul_i32 s10, s6, s24
	s_lshl_b64 s[10:11], s[10:11], 2
	s_add_u32 s9, s9, s10
	s_addc_u32 s20, s20, s11
	v_mad_u64_u32 v[0:1], s[10:11], v8, s24, 0
	v_mov_b32_e32 v2, v1
	v_mad_u64_u32 v[2:3], s[10:11], v8, s25, v[2:3]
	v_mov_b32_e32 v1, v2
	v_lshlrev_b64 v[0:1], 2, v[0:1]
	v_mov_b32_e32 v2, s20
	v_add_co_u32_e32 v0, vcc, s9, v0
	v_addc_co_u32_e32 v1, vcc, v2, v1, vcc
	global_load_dword v0, v[0:1], off
	v_lshlrev_b32_e32 v1, 2, v8
	s_waitcnt vmcnt(0)
	ds_write_b32 v1, v0 offset:5120
.LBB64_17:
	s_or_b64 exec, exec, s[4:5]
	s_mul_i32 s4, s7, s19
	s_mul_hi_u32 s5, s7, s18
	s_add_i32 s5, s5, s4
	s_mul_i32 s4, s7, s18
	s_lshl_b64 s[4:5], s[4:5], 2
	s_add_u32 s7, s12, s4
	s_addc_u32 s9, s13, s5
	s_lshl_b64 s[4:5], s[14:15], 2
	s_add_u32 s7, s7, s4
	s_addc_u32 s9, s9, s5
	s_add_u32 s4, s16, 1
	s_addc_u32 s5, s17, 0
	s_mul_i32 s8, s4, s8
	s_mul_hi_u32 s10, s4, s6
	s_add_i32 s8, s10, s8
	s_mul_i32 s5, s5, s6
	s_add_i32 s5, s8, s5
	s_mul_i32 s4, s4, s6
	s_lshl_b64 s[4:5], s[4:5], 2
	s_add_u32 s6, s7, s4
	s_addc_u32 s7, s9, s5
	v_mad_u64_u32 v[0:1], s[4:5], v9, s16, 0
	v_mov_b32_e32 v2, v1
	v_mad_u64_u32 v[2:3], s[4:5], v9, s17, v[2:3]
	v_mov_b32_e32 v1, v2
	v_lshlrev_b64 v[0:1], 2, v[0:1]
	v_mov_b32_e32 v2, s7
	v_add_co_u32_e32 v0, vcc, s6, v0
	v_addc_co_u32_e32 v1, vcc, v2, v1, vcc
	v_lshlrev_b32_e32 v11, 2, v8
	v_add_co_u32_e32 v0, vcc, v0, v11
	v_addc_co_u32_e32 v1, vcc, 0, v1, vcc
	v_cmp_lt_u32_e32 vcc, 15, v8
	s_mul_i32 s12, s17, 12
	s_mul_hi_u32 s13, s16, 12
	s_mul_i32 s4, s16, 12
                                        ; implicit-def: $sgpr8_sgpr9
                                        ; implicit-def: $sgpr10_sgpr11
	s_and_saveexec_b64 s[6:7], vcc
	s_xor_b64 s[6:7], exec, s[6:7]
; %bb.18:
	s_lshl_b64 s[8:9], s[16:17], 2
	s_lshl_b64 s[10:11], s[16:17], 3
	s_add_i32 s5, s13, s12
; %bb.19:
	s_or_saveexec_b64 s[6:7], s[6:7]
	v_lshlrev_b32_e32 v12, 5, v9
	v_pk_mov_b32 v[2:3], s[4:5], s[4:5] op_sel:[0,1]
	v_pk_mov_b32 v[4:5], s[10:11], s[10:11] op_sel:[0,1]
	;; [unrolled: 1-line block ×3, first 2 shown]
	s_xor_b64 exec, exec, s[6:7]
	s_cbranch_execz .LBB64_21
; %bb.20:
	s_lshl_b64 s[8:9], s[16:17], 4
	v_mov_b32_e32 v4, s9
	v_add_co_u32_e32 v2, vcc, s8, v0
	v_addc_co_u32_e32 v3, vcc, v1, v4, vcc
	global_load_dword v6, v[0:1], off
	global_load_dword v7, v[2:3], off
	v_add_co_u32_e32 v2, vcc, s8, v2
	v_addc_co_u32_e32 v3, vcc, v3, v4, vcc
	global_load_dword v13, v[2:3], off
	v_add_co_u32_e32 v2, vcc, s8, v2
	v_addc_co_u32_e32 v3, vcc, v3, v4, vcc
	global_load_dword v14, v[2:3], off
	v_or_b32_e32 v2, v12, v8
	s_lshl_b64 s[8:9], s[16:17], 2
	s_lshl_b64 s[10:11], s[16:17], 3
	s_add_i32 s5, s13, s12
	v_lshlrev_b32_e32 v15, 2, v2
	v_pk_mov_b32 v[2:3], s[4:5], s[4:5] op_sel:[0,1]
	v_pk_mov_b32 v[4:5], s[10:11], s[10:11] op_sel:[0,1]
	s_waitcnt vmcnt(2)
	ds_write2st64_b32 v15, v6, v7 offset1:2
	s_waitcnt vmcnt(0)
	ds_write2st64_b32 v15, v13, v14 offset0:4 offset1:6
	v_pk_mov_b32 v[6:7], s[8:9], s[8:9] op_sel:[0,1]
.LBB64_21:
	s_or_b64 exec, exec, s[6:7]
	s_lshl_b64 s[4:5], s[16:17], 6
	v_mov_b32_e32 v13, s5
	v_add_co_u32_e32 v0, vcc, s4, v0
	v_addc_co_u32_e32 v1, vcc, v1, v13, vcc
	v_lshlrev_b64 v[6:7], 2, v[6:7]
	v_add_co_u32_e32 v6, vcc, v0, v6
	v_addc_co_u32_e32 v7, vcc, v1, v7, vcc
	v_lshlrev_b64 v[4:5], 2, v[4:5]
	v_add_co_u32_e32 v4, vcc, v0, v4
	v_addc_co_u32_e32 v5, vcc, v1, v5, vcc
	v_lshlrev_b64 v[2:3], 2, v[2:3]
	global_load_dword v13, v[0:1], off
	v_add_co_u32_e32 v0, vcc, v0, v2
	v_addc_co_u32_e32 v1, vcc, v1, v3, vcc
	global_load_dword v2, v[6:7], off
	global_load_dword v3, v[4:5], off
	;; [unrolled: 1-line block ×3, first 2 shown]
	v_sub_u32_e32 v4, v8, v9
	v_sub_u32_e32 v6, 0, v4
	v_add_lshl_u32 v1, v12, v8, 2
	v_lshlrev_b32_e32 v5, 5, v8
	v_max_i32_e32 v6, v4, v6
	v_add_u32_e32 v0, 0x800, v1
	v_cmp_lt_u32_e32 vcc, 16, v6
	v_add_lshl_u32 v5, v9, v5, 2
	s_waitcnt vmcnt(2)
	ds_write2st64_b32 v1, v13, v2 offset0:8 offset1:10
	s_waitcnt vmcnt(0)
	ds_write2st64_b32 v1, v3, v14 offset0:12 offset1:14
	s_waitcnt lgkmcnt(0)
	s_barrier
	s_and_saveexec_b64 s[4:5], vcc
	s_cbranch_execz .LBB64_23
; %bb.22:
	ds_read_b32 v2, v5 offset:64
	s_waitcnt lgkmcnt(0)
	ds_write_b32 v0, v2
.LBB64_23:
	s_or_b64 exec, exec, s[4:5]
	v_add_u32_e32 v2, 0xa00, v1
	v_cmp_lt_u32_e32 vcc, 20, v6
	s_and_saveexec_b64 s[4:5], vcc
	s_cbranch_execz .LBB64_25
; %bb.24:
	ds_read_b32 v3, v5 offset:80
	s_waitcnt lgkmcnt(0)
	ds_write_b32 v2, v3
.LBB64_25:
	s_or_b64 exec, exec, s[4:5]
	v_add_u32_e32 v3, 0xc00, v1
	v_cmp_lt_u32_e32 vcc, 24, v6
	;; [unrolled: 10-line block ×3, first 2 shown]
	s_and_saveexec_b64 s[4:5], vcc
	s_cbranch_execz .LBB64_29
; %bb.28:
	ds_read_b32 v7, v5 offset:112
	s_waitcnt lgkmcnt(0)
	ds_write_b32 v4, v7
.LBB64_29:
	s_or_b64 exec, exec, s[4:5]
	v_add_u32_e32 v7, v12, v8
	v_cmp_ge_u32_e32 vcc, v8, v9
	v_lshlrev_b32_e32 v7, 2, v7
	s_and_saveexec_b64 s[4:5], vcc
	s_cbranch_execnz .LBB64_37
; %bb.30:
	s_or_b64 exec, exec, s[4:5]
	v_cmp_lt_u32_e32 vcc, 4, v6
	s_and_saveexec_b64 s[4:5], vcc
	s_cbranch_execnz .LBB64_38
.LBB64_31:
	s_or_b64 exec, exec, s[4:5]
	v_cmp_lt_u32_e32 vcc, 8, v6
	s_and_saveexec_b64 s[4:5], vcc
	s_cbranch_execz .LBB64_33
.LBB64_32:
	ds_read_b32 v13, v5 offset:32
	s_waitcnt lgkmcnt(0)
	ds_write_b32 v1, v13 offset:1024
.LBB64_33:
	s_or_b64 exec, exec, s[4:5]
	s_movk_i32 s4, 0x180
	v_cmp_lt_u32_e32 vcc, 12, v6
	v_add3_u32 v6, v12, v8, s4
	v_lshlrev_b32_e32 v6, 2, v6
	s_and_saveexec_b64 s[4:5], vcc
	s_cbranch_execz .LBB64_35
; %bb.34:
	ds_read_b32 v5, v5 offset:48
	s_waitcnt lgkmcnt(0)
	ds_write_b32 v6, v5
.LBB64_35:
	s_or_b64 exec, exec, s[4:5]
	v_lshlrev_b32_e32 v5, 2, v9
	v_add_u32_e32 v5, 0x1400, v5
	s_waitcnt lgkmcnt(0)
	s_barrier
	ds_read2_b32 v[12:13], v5 offset1:4
	ds_read_b32 v9, v7
	ds_read2st64_b32 v[14:15], v1 offset0:2 offset1:4
	ds_read2_b32 v[16:17], v5 offset0:8 offset1:12
	ds_read_b32 v6, v6
	s_waitcnt lgkmcnt(3)
	v_fma_f32 v9, v9, v12, 0
	s_waitcnt lgkmcnt(2)
	v_fmac_f32_e32 v9, v14, v13
	s_waitcnt lgkmcnt(1)
	v_fmac_f32_e32 v9, v15, v16
	ds_read2_b32 v[12:13], v5 offset0:16 offset1:20
	ds_read_b32 v14, v0
	ds_read_b32 v2, v2
	;; [unrolled: 1-line block ×3, first 2 shown]
	ds_read2_b32 v[0:1], v5 offset0:24 offset1:28
	ds_read_b32 v4, v4
	s_waitcnt lgkmcnt(6)
	v_fmac_f32_e32 v9, v6, v17
	s_waitcnt lgkmcnt(4)
	v_fmac_f32_e32 v9, v14, v12
	;; [unrolled: 2-line block ×5, first 2 shown]
	ds_write_b32 v7, v9 offset:4096
	s_waitcnt lgkmcnt(0)
	s_barrier
	s_and_saveexec_b64 s[4:5], s[0:1]
	s_cbranch_execz .LBB64_9
; %bb.36:
	v_add_u32_e32 v2, 0x1000, v11
	ds_read2_b32 v[0:1], v2 offset1:32
	ds_read2_b32 v[2:3], v2 offset0:64 offset1:96
	v_cmp_neq_f32_e64 vcc, s28, 0
	s_waitcnt lgkmcnt(1)
	v_add_f32_e32 v0, 0, v0
	v_add_f32_e32 v0, v0, v1
	s_waitcnt lgkmcnt(0)
	v_add_f32_e32 v0, v0, v2
	v_add_f32_e32 v0, v0, v3
	v_mul_f32_e32 v1, s33, v0
	v_fmac_f32_e32 v10, s33, v0
	v_cndmask_b32_e32 v4, v1, v10, vcc
	v_mad_u64_u32 v[0:1], s[0:1], v8, s2, 0
	v_mov_b32_e32 v2, v1
	v_mad_u64_u32 v[2:3], s[0:1], v8, s3, v[2:3]
	v_mov_b32_e32 v1, v2
	v_lshlrev_b64 v[0:1], 2, v[0:1]
	v_mov_b32_e32 v2, s30
	v_add_co_u32_e32 v0, vcc, s29, v0
	v_addc_co_u32_e32 v1, vcc, v2, v1, vcc
	global_store_dword v[0:1], v4, off
	s_endpgm
.LBB64_37:
	ds_read_b32 v13, v5
	s_waitcnt lgkmcnt(0)
	ds_write_b32 v7, v13
	s_or_b64 exec, exec, s[4:5]
	v_cmp_lt_u32_e32 vcc, 4, v6
	s_and_saveexec_b64 s[4:5], vcc
	s_cbranch_execz .LBB64_31
.LBB64_38:
	ds_read_b32 v13, v5 offset:16
	s_waitcnt lgkmcnt(0)
	ds_write_b32 v1, v13 offset:512
	s_or_b64 exec, exec, s[4:5]
	v_cmp_lt_u32_e32 vcc, 8, v6
	s_and_saveexec_b64 s[4:5], vcc
	s_cbranch_execnz .LBB64_32
	s_branch .LBB64_33
	.section	.rodata,"a",@progbits
	.p2align	6, 0x0
	.amdhsa_kernel _ZL50rocblas_symv_kernel_upper_double_buffered_diagonalILi32ELi4E24rocblas_internal_val_ptrIfEPKfPfEvbiT1_lT2_lllS6_lllS5_lT3_llli
		.amdhsa_group_segment_fixed_size 5248
		.amdhsa_private_segment_fixed_size 0
		.amdhsa_kernarg_size 140
		.amdhsa_user_sgpr_count 6
		.amdhsa_user_sgpr_private_segment_buffer 1
		.amdhsa_user_sgpr_dispatch_ptr 0
		.amdhsa_user_sgpr_queue_ptr 0
		.amdhsa_user_sgpr_kernarg_segment_ptr 1
		.amdhsa_user_sgpr_dispatch_id 0
		.amdhsa_user_sgpr_flat_scratch_init 0
		.amdhsa_user_sgpr_kernarg_preload_length 0
		.amdhsa_user_sgpr_kernarg_preload_offset 0
		.amdhsa_user_sgpr_private_segment_size 0
		.amdhsa_uses_dynamic_stack 0
		.amdhsa_system_sgpr_private_segment_wavefront_offset 0
		.amdhsa_system_sgpr_workgroup_id_x 1
		.amdhsa_system_sgpr_workgroup_id_y 0
		.amdhsa_system_sgpr_workgroup_id_z 1
		.amdhsa_system_sgpr_workgroup_info 0
		.amdhsa_system_vgpr_workitem_id 1
		.amdhsa_next_free_vgpr 18
		.amdhsa_next_free_sgpr 34
		.amdhsa_accum_offset 20
		.amdhsa_reserve_vcc 1
		.amdhsa_reserve_flat_scratch 0
		.amdhsa_float_round_mode_32 0
		.amdhsa_float_round_mode_16_64 0
		.amdhsa_float_denorm_mode_32 3
		.amdhsa_float_denorm_mode_16_64 3
		.amdhsa_dx10_clamp 1
		.amdhsa_ieee_mode 1
		.amdhsa_fp16_overflow 0
		.amdhsa_tg_split 0
		.amdhsa_exception_fp_ieee_invalid_op 0
		.amdhsa_exception_fp_denorm_src 0
		.amdhsa_exception_fp_ieee_div_zero 0
		.amdhsa_exception_fp_ieee_overflow 0
		.amdhsa_exception_fp_ieee_underflow 0
		.amdhsa_exception_fp_ieee_inexact 0
		.amdhsa_exception_int_div_zero 0
	.end_amdhsa_kernel
	.section	.text._ZL50rocblas_symv_kernel_upper_double_buffered_diagonalILi32ELi4E24rocblas_internal_val_ptrIfEPKfPfEvbiT1_lT2_lllS6_lllS5_lT3_llli,"axG",@progbits,_ZL50rocblas_symv_kernel_upper_double_buffered_diagonalILi32ELi4E24rocblas_internal_val_ptrIfEPKfPfEvbiT1_lT2_lllS6_lllS5_lT3_llli,comdat
.Lfunc_end64:
	.size	_ZL50rocblas_symv_kernel_upper_double_buffered_diagonalILi32ELi4E24rocblas_internal_val_ptrIfEPKfPfEvbiT1_lT2_lllS6_lllS5_lT3_llli, .Lfunc_end64-_ZL50rocblas_symv_kernel_upper_double_buffered_diagonalILi32ELi4E24rocblas_internal_val_ptrIfEPKfPfEvbiT1_lT2_lllS6_lllS5_lT3_llli
                                        ; -- End function
	.section	.AMDGPU.csdata,"",@progbits
; Kernel info:
; codeLenInByte = 1912
; NumSgprs: 38
; NumVgprs: 18
; NumAgprs: 0
; TotalNumVgprs: 18
; ScratchSize: 0
; MemoryBound: 0
; FloatMode: 240
; IeeeMode: 1
; LDSByteSize: 5248 bytes/workgroup (compile time only)
; SGPRBlocks: 4
; VGPRBlocks: 2
; NumSGPRsForWavesPerEU: 38
; NumVGPRsForWavesPerEU: 18
; AccumOffset: 20
; Occupancy: 6
; WaveLimiterHint : 0
; COMPUTE_PGM_RSRC2:SCRATCH_EN: 0
; COMPUTE_PGM_RSRC2:USER_SGPR: 6
; COMPUTE_PGM_RSRC2:TRAP_HANDLER: 0
; COMPUTE_PGM_RSRC2:TGID_X_EN: 1
; COMPUTE_PGM_RSRC2:TGID_Y_EN: 0
; COMPUTE_PGM_RSRC2:TGID_Z_EN: 1
; COMPUTE_PGM_RSRC2:TIDIG_COMP_CNT: 1
; COMPUTE_PGM_RSRC3_GFX90A:ACCUM_OFFSET: 4
; COMPUTE_PGM_RSRC3_GFX90A:TG_SPLIT: 0
	.section	.text._ZL54rocblas_symv_kernel_upper_double_buffered_non_diagonalILi32ELi4ELi4E24rocblas_internal_val_ptrIfEPKfPfEvbiT2_lT3_lllS6_lllT4_llli,"axG",@progbits,_ZL54rocblas_symv_kernel_upper_double_buffered_non_diagonalILi32ELi4ELi4E24rocblas_internal_val_ptrIfEPKfPfEvbiT2_lT3_lllS6_lllT4_llli,comdat
	.globl	_ZL54rocblas_symv_kernel_upper_double_buffered_non_diagonalILi32ELi4ELi4E24rocblas_internal_val_ptrIfEPKfPfEvbiT2_lT3_lllS6_lllT4_llli ; -- Begin function _ZL54rocblas_symv_kernel_upper_double_buffered_non_diagonalILi32ELi4ELi4E24rocblas_internal_val_ptrIfEPKfPfEvbiT2_lT3_lllS6_lllT4_llli
	.p2align	8
	.type	_ZL54rocblas_symv_kernel_upper_double_buffered_non_diagonalILi32ELi4ELi4E24rocblas_internal_val_ptrIfEPKfPfEvbiT2_lT3_lllS6_lllT4_llli,@function
_ZL54rocblas_symv_kernel_upper_double_buffered_non_diagonalILi32ELi4ELi4E24rocblas_internal_val_ptrIfEPKfPfEvbiT2_lT3_lllS6_lllT4_llli: ; @_ZL54rocblas_symv_kernel_upper_double_buffered_non_diagonalILi32ELi4ELi4E24rocblas_internal_val_ptrIfEPKfPfEvbiT2_lT3_lllS6_lllT4_llli
; %bb.0:
	s_load_dword s0, s[4:5], 0x0
	s_load_dwordx16 s[12:27], s[4:5], 0x8
	s_waitcnt lgkmcnt(0)
	s_bitcmp0_b32 s0, 0
	s_cbranch_scc0 .LBB65_2
; %bb.1:
	s_mul_i32 s0, s8, s15
	s_mul_hi_u32 s1, s8, s14
	s_add_i32 s1, s1, s0
	s_mul_i32 s0, s8, s14
	s_lshl_b64 s[0:1], s[0:1], 2
	s_add_u32 s0, s12, s0
	s_addc_u32 s1, s13, s1
	s_load_dword s33, s[0:1], 0x0
	s_cbranch_execz .LBB65_3
	s_branch .LBB65_4
.LBB65_2:
                                        ; implicit-def: $sgpr33
.LBB65_3:
	s_waitcnt lgkmcnt(0)
	s_mov_b32 s33, s12
.LBB65_4:
	s_waitcnt lgkmcnt(0)
	v_cmp_eq_f32_e64 s[0:1], s33, 0
	s_and_b64 vcc, exec, s[0:1]
	s_cbranch_vccnz .LBB65_24
; %bb.5:
	s_load_dword s11, s[4:5], 0x84
	s_cmp_eq_u32 s6, 0
	s_waitcnt lgkmcnt(0)
	v_cvt_f32_u32_e32 v1, s11
	v_rcp_iflag_f32_e32 v1, v1
	v_mul_f32_e32 v1, 0x4f7ffffe, v1
	v_cvt_u32_f32_e32 v1, v1
	v_readfirstlane_b32 s0, v1
	s_cbranch_scc1 .LBB65_24
; %bb.6:
	s_load_dwordx4 s[28:31], s[4:5], 0x48
	s_sub_i32 s1, 0, s11
	s_mul_i32 s1, s1, s0
	s_mul_hi_u32 s1, s0, s1
	s_add_i32 s0, s0, s1
	s_mul_hi_u32 s12, s6, s0
	s_waitcnt lgkmcnt(0)
	s_mul_i32 s0, s8, s31
	s_mul_hi_u32 s1, s8, s30
	s_add_i32 s1, s1, s0
	s_mul_i32 s0, s8, s30
	s_lshl_b64 s[0:1], s[0:1], 2
	s_add_u32 s2, s24, s0
	s_addc_u32 s3, s25, s1
	s_lshl_b64 s[0:1], s[26:27], 2
	s_add_u32 s9, s2, s0
	s_addc_u32 s10, s3, s1
	v_and_b32_e32 v24, 0x3ff, v0
	v_bfe_u32 v0, v0, 10, 10
	s_lshl_b32 s24, s6, 5
	s_ashr_i32 s25, s24, 31
	v_cmp_eq_u32_e32 vcc, 0, v0
	s_and_saveexec_b64 s[2:3], vcc
	s_cbranch_execz .LBB65_8
; %bb.7:
	s_mul_i32 s0, s24, s29
	s_mul_hi_u32 s1, s24, s28
	s_add_i32 s0, s1, s0
	s_mul_i32 s1, s25, s28
	s_add_i32 s1, s0, s1
	s_mul_i32 s0, s24, s28
	s_lshl_b64 s[0:1], s[0:1], 2
	s_add_u32 s13, s9, s0
	s_addc_u32 s14, s10, s1
	v_mad_u64_u32 v[2:3], s[0:1], v24, s28, 0
	v_mov_b32_e32 v4, v3
	v_mad_u64_u32 v[4:5], s[0:1], v24, s29, v[4:5]
	v_mov_b32_e32 v3, v4
	v_lshlrev_b64 v[2:3], 2, v[2:3]
	v_mov_b32_e32 v1, s14
	v_add_co_u32_e64 v2, s[0:1], s13, v2
	v_addc_co_u32_e64 v3, s[0:1], v1, v3, s[0:1]
	global_load_dword v1, v[2:3], off
	v_lshlrev_b32_e32 v2, 2, v24
	s_waitcnt vmcnt(0)
	ds_write_b32 v2, v1 offset:3072
.LBB65_8:
	s_or_b64 exec, exec, s[2:3]
	s_mul_i32 s0, s12, s11
	s_sub_i32 s0, s6, s0
	s_add_i32 s1, s12, 1
	s_sub_i32 s2, s0, s11
	s_cmp_ge_u32 s0, s11
	s_cselect_b32 s1, s1, s12
	s_cselect_b32 s0, s2, s0
	s_add_i32 s2, s1, 1
	s_cmp_ge_u32 s0, s11
	s_cselect_b32 s0, s2, s1
	s_add_i32 s1, s11, -1
	s_cmp_lg_u32 s7, s1
	s_mov_b32 s26, s0
	s_cbranch_scc1 .LBB65_10
; %bb.9:
	s_mul_i32 s1, s0, s11
	s_sub_i32 s1, s6, s1
	s_add_i32 s26, s1, s0
.LBB65_10:
	s_cmp_eq_u32 s26, 0
	s_cbranch_scc1 .LBB65_24
; %bb.11:
	s_load_dwordx2 s[2:3], s[4:5], 0x70
	s_load_dwordx2 s[30:31], s[4:5], 0x58
	s_load_dwordx4 s[12:15], s[4:5], 0x60
	v_lshl_add_u32 v0, v0, 5, v24
	v_and_b32_e32 v4, 15, v24
	s_waitcnt lgkmcnt(0)
	s_mul_i32 s1, s8, s3
	s_mul_hi_u32 s3, s8, s2
	s_mul_i32 s2, s8, s2
	s_add_i32 s3, s3, s1
	s_lshl_b64 s[2:3], s[2:3], 2
	s_add_u32 s1, s30, s2
	s_addc_u32 s4, s31, s3
	s_lshl_b64 s[2:3], s[12:13], 2
	s_add_u32 s12, s1, s2
	s_addc_u32 s13, s4, s3
	v_lshrrev_b32_e32 v25, 4, v0
	s_mov_b32 s27, 0
	s_cmp_lt_i32 s26, 1
	v_mov_b32_e32 v28, 0
	v_lshlrev_b32_e32 v26, 2, v4
	v_mov_b32_e32 v31, 0
	v_mov_b32_e32 v33, 0
	;; [unrolled: 1-line block ×3, first 2 shown]
	s_barrier
	s_cbranch_scc1 .LBB65_21
; %bb.12:
	v_lshlrev_b32_e32 v3, 2, v25
	v_mov_b32_e32 v5, 0
	v_mad_u64_u32 v[0:1], s[2:3], v3, s20, v[4:5]
	v_mov_b32_e32 v2, v1
	v_mad_u64_u32 v[2:3], s[2:3], v3, s21, v[2:3]
	v_mov_b32_e32 v1, v2
	v_mad_u64_u32 v[2:3], s[2:3], v4, s28, 0
	v_mov_b32_e32 v6, v3
	s_mul_i32 s7, s7, s0
	v_mad_u64_u32 v[6:7], s[2:3], v4, s29, v[6:7]
	s_lshl_b32 s0, s7, 5
	s_ashr_i32 s1, s0, 31
	s_mul_i32 s2, s0, s15
	s_mul_hi_u32 s3, s0, s14
	s_add_i32 s2, s3, s2
	s_mul_i32 s3, s1, s14
	s_add_i32 s3, s2, s3
	s_mul_i32 s2, s0, s14
	s_lshl_b64 s[2:3], s[2:3], 2
	s_add_u32 s2, s12, s2
	s_mul_i32 s4, s8, s23
	s_mul_hi_u32 s5, s8, s22
	s_addc_u32 s3, s13, s3
	s_add_i32 s5, s5, s4
	s_mul_i32 s4, s8, s22
	s_lshl_b64 s[4:5], s[4:5], 2
	s_add_u32 s6, s16, s4
	s_addc_u32 s7, s17, s5
	s_lshl_b64 s[4:5], s[18:19], 2
	s_add_u32 s6, s6, s4
	s_addc_u32 s7, s7, s5
	s_mul_i32 s4, s24, s21
	s_mul_hi_u32 s5, s24, s20
	s_add_i32 s4, s5, s4
	s_mul_i32 s5, s25, s20
	s_add_i32 s5, s4, s5
	s_mul_i32 s4, s24, s20
	s_lshl_b64 s[4:5], s[4:5], 2
	s_add_u32 s6, s6, s4
	s_addc_u32 s7, s7, s5
	s_lshl_b64 s[4:5], s[0:1], 2
	s_add_u32 s16, s6, s4
	s_addc_u32 s17, s7, s5
	s_mul_i32 s4, s0, s29
	s_mul_hi_u32 s5, s0, s28
	s_add_i32 s4, s5, s4
	s_mul_i32 s1, s1, s28
	s_add_i32 s1, s4, s1
	s_mul_i32 s0, s0, s28
	s_lshl_b64 s[0:1], s[0:1], 2
	v_mov_b32_e32 v3, v6
	s_add_u32 s18, s9, s0
	v_lshlrev_b64 v[6:7], 2, v[0:1]
	s_addc_u32 s19, s10, s1
	v_mov_b32_e32 v1, s17
	v_add_co_u32_e64 v0, s[0:1], s16, v6
	v_addc_co_u32_e64 v1, s[0:1], v1, v7, s[0:1]
	s_lshl_b64 s[6:7], s[20:21], 2
	v_mov_b32_e32 v27, s7
	v_add_co_u32_e64 v8, s[0:1], s6, v0
	v_addc_co_u32_e64 v9, s[0:1], v1, v27, s[0:1]
	global_load_dword v29, v[0:1], off
	global_load_dword v32, v[8:9], off
	v_add_co_u32_e64 v0, s[0:1], s6, v8
	v_addc_co_u32_e64 v1, s[0:1], v9, v27, s[0:1]
	v_lshlrev_b64 v[8:9], 2, v[2:3]
	v_mov_b32_e32 v3, s19
	v_add_co_u32_e64 v2, s[0:1], s18, v8
	v_addc_co_u32_e64 v3, s[0:1], v3, v9, s[0:1]
	global_load_dword v34, v[0:1], off
	v_add_co_u32_e64 v0, s[0:1], s6, v0
	v_addc_co_u32_e64 v1, s[0:1], v1, v27, s[0:1]
	global_load_dword v37, v[2:3], off
	global_load_dword v38, v[0:1], off
	v_or_b32_e32 v3, 16, v4
	v_mad_u64_u32 v[0:1], s[0:1], v3, s28, 0
	v_mov_b32_e32 v2, v1
	v_mad_u64_u32 v[2:3], s[0:1], v3, s29, v[2:3]
	v_mov_b32_e32 v1, v2
	v_lshl_or_b32 v2, v25, 7, v26
	v_add_u32_e32 v30, 0x800, v2
	v_mad_u64_u32 v[2:3], s[0:1], v24, s14, 0
	v_mov_b32_e32 v10, v3
	v_mad_u64_u32 v[10:11], s[0:1], v24, s15, v[10:11]
	v_mov_b32_e32 v3, v10
	v_mov_b32_e32 v10, 0xc00
	v_lshl_add_u32 v35, v25, 4, v10
	v_mov_b32_e32 v10, 0x800
	s_lshl_b64 s[8:9], s[28:29], 7
	s_add_i32 s20, s26, -1
	s_lshl_b64 s[10:11], s[14:15], 7
	v_lshl_add_u32 v36, v24, 2, v10
	v_pk_mov_b32 v[10:11], s[2:3], s[2:3] op_sel:[0,1]
	v_lshlrev_b64 v[12:13], 2, v[0:1]
	v_lshlrev_b64 v[14:15], 2, v[2:3]
	v_mov_b32_e32 v33, v5
	v_mov_b32_e32 v31, v5
	;; [unrolled: 1-line block ×3, first 2 shown]
	s_waitcnt vmcnt(4)
	v_mov_b32_e32 v39, v29
	s_waitcnt vmcnt(3)
	v_mov_b32_e32 v40, v32
	;; [unrolled: 2-line block ×5, first 2 shown]
.LBB65_13:                              ; =>This Loop Header: Depth=1
                                        ;     Child Loop BB65_17 Depth 2
	v_mov_b32_e32 v1, s19
	v_add_co_u32_e64 v0, s[0:1], s18, v12
	v_addc_co_u32_e64 v1, s[0:1], v1, v13, s[0:1]
	global_load_dword v44, v[0:1], off
	v_mov_b32_e32 v0, s17
	v_add_co_u32_e64 v16, s[0:1], s16, v6
	v_addc_co_u32_e64 v17, s[0:1], v0, v7, s[0:1]
	v_add_co_u32_e64 v18, s[0:1], s6, v16
	v_addc_co_u32_e64 v19, s[0:1], v17, v27, s[0:1]
	;; [unrolled: 2-line block ×3, first 2 shown]
	v_add_co_u32_e64 v22, s[2:3], s6, v20
	global_load_dword v45, v[16:17], off offset:64
	global_load_dword v46, v[18:19], off offset:64
	v_addc_co_u32_e64 v23, s[4:5], v21, v27, s[2:3]
	global_load_dword v47, v[20:21], off offset:64
	global_load_dword v48, v[22:23], off offset:64
	ds_read_b128 v[0:3], v35
	s_add_u32 s18, s18, s8
	s_addc_u32 s19, s19, s9
	s_cmp_eq_u32 s27, s20
	s_cbranch_scc1 .LBB65_15
; %bb.14:                               ;   in Loop: Header=BB65_13 Depth=1
	v_mov_b32_e32 v23, s7
	v_addc_co_u32_e64 v21, s[0:1], v19, v23, s[0:1]
	v_addc_co_u32_e64 v23, s[0:1], v21, v23, s[2:3]
	global_load_dword v39, v[16:17], off offset:128
	global_load_dword v40, v[18:19], off offset:128
	;; [unrolled: 1-line block ×4, first 2 shown]
	v_mov_b32_e32 v17, s19
	v_add_co_u32_e64 v16, s[0:1], s18, v8
	v_addc_co_u32_e64 v17, s[0:1], v17, v9, s[0:1]
	global_load_dword v43, v[16:17], off
.LBB65_15:                              ;   in Loop: Header=BB65_13 Depth=1
	s_waitcnt lgkmcnt(0)
	v_fma_f32 v16, v29, v0, 0
	s_waitcnt vmcnt(3)
	v_fma_f32 v0, v45, v0, 0
	v_fmac_f32_e32 v16, v32, v1
	s_waitcnt vmcnt(2)
	v_fmac_f32_e32 v0, v46, v1
	v_fmac_f32_e32 v16, v34, v2
	s_waitcnt vmcnt(1)
	v_fmac_f32_e32 v0, v47, v2
	;; [unrolled: 3-line block ×3, first 2 shown]
	s_barrier
	ds_write2_b32 v30, v16, v0 offset1:16
	s_waitcnt lgkmcnt(0)
	s_barrier
	s_and_saveexec_b64 s[2:3], vcc
	s_cbranch_execz .LBB65_19
; %bb.16:                               ;   in Loop: Header=BB65_13 Depth=1
	v_add_co_u32_e64 v0, s[0:1], v10, v14
	v_addc_co_u32_e64 v1, s[0:1], v11, v15, s[0:1]
	global_load_dword v3, v[0:1], off
	ds_read2_b32 v[16:17], v36 offset1:32
	ds_read2_b32 v[18:19], v36 offset0:64 offset1:96
	ds_read2_b32 v[20:21], v36 offset0:128 offset1:160
	s_mov_b64 s[4:5], 0
	s_waitcnt lgkmcnt(2)
	v_add_f32_e32 v2, 0, v16
	v_add_f32_e32 v2, v2, v17
	ds_read2_b32 v[16:17], v36 offset0:192 offset1:224
	s_waitcnt lgkmcnt(2)
	v_add_f32_e32 v2, v2, v18
	v_add_f32_e32 v2, v2, v19
	s_waitcnt lgkmcnt(1)
	v_add_f32_e32 v2, v2, v20
	v_add_f32_e32 v2, v2, v21
	;; [unrolled: 3-line block ×3, first 2 shown]
	v_mul_f32_e32 v16, s33, v2
.LBB65_17:                              ;   Parent Loop BB65_13 Depth=1
                                        ; =>  This Inner Loop Header: Depth=2
	s_waitcnt vmcnt(0)
	v_add_f32_e32 v2, v3, v16
	global_atomic_cmpswap v2, v[0:1], v[2:3], off glc
	s_waitcnt vmcnt(0)
	v_cmp_eq_u32_e64 s[0:1], v2, v3
	s_or_b64 s[4:5], s[0:1], s[4:5]
	v_mov_b32_e32 v3, v2
	s_andn2_b64 exec, exec, s[4:5]
	s_cbranch_execnz .LBB65_17
; %bb.18:                               ;   in Loop: Header=BB65_13 Depth=1
	s_or_b64 exec, exec, s[4:5]
	v_mov_b32_e32 v0, s11
	v_add_co_u32_e64 v10, s[0:1], s10, v10
	v_addc_co_u32_e64 v11, s[0:1], v11, v0, s[0:1]
.LBB65_19:                              ;   in Loop: Header=BB65_13 Depth=1
	s_or_b64 exec, exec, s[2:3]
	s_add_u32 s16, s16, 0x80
	v_fmac_f32_e32 v5, v37, v29
	v_fmac_f32_e32 v33, v37, v32
	;; [unrolled: 1-line block ×4, first 2 shown]
	s_addc_u32 s17, s17, 0
	s_add_i32 s27, s27, 1
	v_fmac_f32_e32 v5, v44, v45
	v_fmac_f32_e32 v33, v44, v46
	;; [unrolled: 1-line block ×4, first 2 shown]
	s_cmp_eq_u32 s27, s26
	s_cbranch_scc1 .LBB65_21
; %bb.20:                               ;   in Loop: Header=BB65_13 Depth=1
	v_mov_b32_e32 v37, v43
	v_mov_b32_e32 v29, v39
	;; [unrolled: 1-line block ×5, first 2 shown]
	s_branch .LBB65_13
.LBB65_21:
	v_lshl_or_b32 v0, v25, 8, v26
	ds_write2_b32 v0, v5, v33 offset1:16
	ds_write2_b32 v0, v31, v28 offset0:32 offset1:48
	s_waitcnt lgkmcnt(0)
	s_barrier
	s_and_saveexec_b64 s[0:1], vcc
	s_cbranch_execz .LBB65_24
; %bb.22:
	s_mul_i32 s0, s24, s15
	s_mul_hi_u32 s1, s24, s14
	s_add_i32 s0, s1, s0
	s_mul_i32 s25, s25, s14
	s_add_i32 s1, s0, s25
	s_mul_i32 s0, s24, s14
	s_lshl_b64 s[0:1], s[0:1], 2
	s_add_u32 s2, s12, s0
	s_addc_u32 s3, s13, s1
	v_mad_u64_u32 v[0:1], s[0:1], v24, s14, 0
	v_mov_b32_e32 v2, v1
	v_mad_u64_u32 v[2:3], s[0:1], v24, s15, v[2:3]
	v_mov_b32_e32 v1, v2
	v_lshlrev_b64 v[0:1], 2, v[0:1]
	v_mov_b32_e32 v2, s3
	v_add_co_u32_e32 v0, vcc, s2, v0
	v_addc_co_u32_e32 v1, vcc, v2, v1, vcc
	global_load_dword v3, v[0:1], off
	v_lshlrev_b32_e32 v5, 4, v24
	v_add_u32_e32 v6, 1, v24
	v_add_u32_e32 v7, 2, v24
	;; [unrolled: 1-line block ×7, first 2 shown]
	v_or_b32_e32 v4, v4, v5
	v_and_or_b32 v6, v6, 15, v5
	v_and_or_b32 v7, v7, 15, v5
	;; [unrolled: 1-line block ×7, first 2 shown]
	v_lshlrev_b32_e32 v2, 2, v4
	v_lshlrev_b32_e32 v6, 2, v6
	;; [unrolled: 1-line block ×8, first 2 shown]
	ds_read_b32 v2, v2
	ds_read_b32 v6, v6
	;; [unrolled: 1-line block ×8, first 2 shown]
	s_waitcnt lgkmcnt(7)
	v_add_f32_e32 v2, 0, v2
	s_waitcnt lgkmcnt(6)
	v_add_f32_e32 v2, v2, v6
	;; [unrolled: 2-line block ×8, first 2 shown]
	v_add_u32_e32 v6, 9, v24
	v_add_u32_e32 v7, 10, v24
	v_add_u32_e32 v8, 11, v24
	v_add_u32_e32 v9, 12, v24
	v_add_u32_e32 v10, 13, v24
	v_add_u32_e32 v11, 14, v24
	v_add_u32_e32 v12, -1, v24
	v_xor_b32_e32 v4, 8, v4
	v_and_or_b32 v6, v6, 15, v5
	v_and_or_b32 v7, v7, 15, v5
	;; [unrolled: 1-line block ×7, first 2 shown]
	v_lshlrev_b32_e32 v4, 2, v4
	v_lshlrev_b32_e32 v6, 2, v6
	;; [unrolled: 1-line block ×8, first 2 shown]
	ds_read_b32 v4, v4
	ds_read_b32 v6, v6
	;; [unrolled: 1-line block ×8, first 2 shown]
	s_waitcnt lgkmcnt(7)
	v_add_f32_e32 v2, v2, v4
	s_waitcnt lgkmcnt(6)
	v_add_f32_e32 v2, v2, v6
	;; [unrolled: 2-line block ×8, first 2 shown]
	v_mul_f32_e32 v4, s33, v2
	s_mov_b64 s[0:1], 0
.LBB65_23:                              ; =>This Inner Loop Header: Depth=1
	s_waitcnt vmcnt(0)
	v_add_f32_e32 v2, v3, v4
	global_atomic_cmpswap v2, v[0:1], v[2:3], off glc
	s_waitcnt vmcnt(0)
	v_cmp_eq_u32_e32 vcc, v2, v3
	s_or_b64 s[0:1], vcc, s[0:1]
	v_mov_b32_e32 v3, v2
	s_andn2_b64 exec, exec, s[0:1]
	s_cbranch_execnz .LBB65_23
.LBB65_24:
	s_endpgm
	.section	.rodata,"a",@progbits
	.p2align	6, 0x0
	.amdhsa_kernel _ZL54rocblas_symv_kernel_upper_double_buffered_non_diagonalILi32ELi4ELi4E24rocblas_internal_val_ptrIfEPKfPfEvbiT2_lT3_lllS6_lllT4_llli
		.amdhsa_group_segment_fixed_size 3200
		.amdhsa_private_segment_fixed_size 0
		.amdhsa_kernarg_size 384
		.amdhsa_user_sgpr_count 6
		.amdhsa_user_sgpr_private_segment_buffer 1
		.amdhsa_user_sgpr_dispatch_ptr 0
		.amdhsa_user_sgpr_queue_ptr 0
		.amdhsa_user_sgpr_kernarg_segment_ptr 1
		.amdhsa_user_sgpr_dispatch_id 0
		.amdhsa_user_sgpr_flat_scratch_init 0
		.amdhsa_user_sgpr_kernarg_preload_length 0
		.amdhsa_user_sgpr_kernarg_preload_offset 0
		.amdhsa_user_sgpr_private_segment_size 0
		.amdhsa_uses_dynamic_stack 0
		.amdhsa_system_sgpr_private_segment_wavefront_offset 0
		.amdhsa_system_sgpr_workgroup_id_x 1
		.amdhsa_system_sgpr_workgroup_id_y 1
		.amdhsa_system_sgpr_workgroup_id_z 1
		.amdhsa_system_sgpr_workgroup_info 0
		.amdhsa_system_vgpr_workitem_id 1
		.amdhsa_next_free_vgpr 49
		.amdhsa_next_free_sgpr 34
		.amdhsa_accum_offset 52
		.amdhsa_reserve_vcc 1
		.amdhsa_reserve_flat_scratch 0
		.amdhsa_float_round_mode_32 0
		.amdhsa_float_round_mode_16_64 0
		.amdhsa_float_denorm_mode_32 3
		.amdhsa_float_denorm_mode_16_64 3
		.amdhsa_dx10_clamp 1
		.amdhsa_ieee_mode 1
		.amdhsa_fp16_overflow 0
		.amdhsa_tg_split 0
		.amdhsa_exception_fp_ieee_invalid_op 0
		.amdhsa_exception_fp_denorm_src 0
		.amdhsa_exception_fp_ieee_div_zero 0
		.amdhsa_exception_fp_ieee_overflow 0
		.amdhsa_exception_fp_ieee_underflow 0
		.amdhsa_exception_fp_ieee_inexact 0
		.amdhsa_exception_int_div_zero 0
	.end_amdhsa_kernel
	.section	.text._ZL54rocblas_symv_kernel_upper_double_buffered_non_diagonalILi32ELi4ELi4E24rocblas_internal_val_ptrIfEPKfPfEvbiT2_lT3_lllS6_lllT4_llli,"axG",@progbits,_ZL54rocblas_symv_kernel_upper_double_buffered_non_diagonalILi32ELi4ELi4E24rocblas_internal_val_ptrIfEPKfPfEvbiT2_lT3_lllS6_lllT4_llli,comdat
.Lfunc_end65:
	.size	_ZL54rocblas_symv_kernel_upper_double_buffered_non_diagonalILi32ELi4ELi4E24rocblas_internal_val_ptrIfEPKfPfEvbiT2_lT3_lllS6_lllT4_llli, .Lfunc_end65-_ZL54rocblas_symv_kernel_upper_double_buffered_non_diagonalILi32ELi4ELi4E24rocblas_internal_val_ptrIfEPKfPfEvbiT2_lT3_lllS6_lllT4_llli
                                        ; -- End function
	.section	.AMDGPU.csdata,"",@progbits
; Kernel info:
; codeLenInByte = 2396
; NumSgprs: 38
; NumVgprs: 49
; NumAgprs: 0
; TotalNumVgprs: 49
; ScratchSize: 0
; MemoryBound: 0
; FloatMode: 240
; IeeeMode: 1
; LDSByteSize: 3200 bytes/workgroup (compile time only)
; SGPRBlocks: 4
; VGPRBlocks: 6
; NumSGPRsForWavesPerEU: 38
; NumVGPRsForWavesPerEU: 49
; AccumOffset: 52
; Occupancy: 8
; WaveLimiterHint : 0
; COMPUTE_PGM_RSRC2:SCRATCH_EN: 0
; COMPUTE_PGM_RSRC2:USER_SGPR: 6
; COMPUTE_PGM_RSRC2:TRAP_HANDLER: 0
; COMPUTE_PGM_RSRC2:TGID_X_EN: 1
; COMPUTE_PGM_RSRC2:TGID_Y_EN: 1
; COMPUTE_PGM_RSRC2:TGID_Z_EN: 1
; COMPUTE_PGM_RSRC2:TIDIG_COMP_CNT: 1
; COMPUTE_PGM_RSRC3_GFX90A:ACCUM_OFFSET: 12
; COMPUTE_PGM_RSRC3_GFX90A:TG_SPLIT: 0
	.section	.text._ZL58rocblas_symv_kernel_upper_double_buffered_diagonal_genericILi32ELi8E24rocblas_internal_val_ptrIfEPKfPfEvbiT1_lT2_lllS6_lllS5_lT3_lllii,"axG",@progbits,_ZL58rocblas_symv_kernel_upper_double_buffered_diagonal_genericILi32ELi8E24rocblas_internal_val_ptrIfEPKfPfEvbiT1_lT2_lllS6_lllS5_lT3_lllii,comdat
	.globl	_ZL58rocblas_symv_kernel_upper_double_buffered_diagonal_genericILi32ELi8E24rocblas_internal_val_ptrIfEPKfPfEvbiT1_lT2_lllS6_lllS5_lT3_lllii ; -- Begin function _ZL58rocblas_symv_kernel_upper_double_buffered_diagonal_genericILi32ELi8E24rocblas_internal_val_ptrIfEPKfPfEvbiT1_lT2_lllS6_lllS5_lT3_lllii
	.p2align	8
	.type	_ZL58rocblas_symv_kernel_upper_double_buffered_diagonal_genericILi32ELi8E24rocblas_internal_val_ptrIfEPKfPfEvbiT1_lT2_lllS6_lllS5_lT3_lllii,@function
_ZL58rocblas_symv_kernel_upper_double_buffered_diagonal_genericILi32ELi8E24rocblas_internal_val_ptrIfEPKfPfEvbiT1_lT2_lllS6_lllS5_lT3_lllii: ; @_ZL58rocblas_symv_kernel_upper_double_buffered_diagonal_genericILi32ELi8E24rocblas_internal_val_ptrIfEPKfPfEvbiT1_lT2_lllS6_lllS5_lT3_lllii
; %bb.0:
	s_load_dword s0, s[4:5], 0x0
	s_load_dwordx16 s[8:23], s[4:5], 0x8
	s_mov_b64 s[2:3], -1
                                        ; implicit-def: $sgpr33
	s_waitcnt lgkmcnt(0)
	s_bitcmp1_b32 s0, 0
	s_cselect_b64 s[0:1], -1, 0
	s_xor_b64 s[0:1], s[0:1], -1
	s_and_b64 vcc, exec, s[0:1]
	s_cbranch_vccnz .LBB66_13
; %bb.1:
	s_load_dwordx8 s[24:31], s[4:5], 0x48
	s_andn2_b64 vcc, exec, s[2:3]
	s_cbranch_vccz .LBB66_14
.LBB66_2:
	s_andn2_b64 vcc, exec, s[0:1]
	s_cbranch_vccnz .LBB66_4
.LBB66_3:
	s_waitcnt lgkmcnt(0)
	s_mul_i32 s0, s7, s31
	s_mul_hi_u32 s1, s7, s30
	s_add_i32 s1, s1, s0
	s_mul_i32 s0, s7, s30
	s_lshl_b64 s[0:1], s[0:1], 2
	s_add_u32 s0, s28, s0
	s_addc_u32 s1, s29, s1
	s_load_dword s28, s[0:1], 0x0
.LBB66_4:
	s_waitcnt lgkmcnt(0)
	v_cmp_eq_f32_e64 s[0:1], s33, 0
	v_cmp_eq_f32_e64 s[2:3], s28, 1.0
	s_and_b64 s[0:1], s[0:1], s[2:3]
	s_and_b64 vcc, exec, s[0:1]
	s_cbranch_vccnz .LBB66_12
; %bb.5:
	s_load_dwordx2 s[0:1], s[4:5], 0x80
	s_load_dwordx2 s[2:3], s[4:5], 0x68
	s_load_dwordx4 s[8:11], s[4:5], 0x70
	s_load_dword s37, s[4:5], 0x88
	v_bfe_u32 v5, v0, 10, 10
	s_waitcnt lgkmcnt(0)
	s_mul_i32 s1, s7, s1
	s_mul_hi_u32 s29, s7, s0
	s_add_i32 s1, s29, s1
	s_mul_i32 s0, s7, s0
	s_lshl_b64 s[0:1], s[0:1], 2
	s_add_u32 s2, s2, s0
	s_addc_u32 s3, s3, s1
	s_lshl_b64 s[0:1], s[8:9], 2
	s_add_u32 s2, s2, s0
	s_addc_u32 s3, s3, s1
	s_lshl_b32 s38, s6, 5
	s_ashr_i32 s39, s38, 31
	s_mul_i32 s0, s38, s11
	s_mul_hi_u32 s1, s38, s10
	s_add_i32 s0, s1, s0
	s_mul_i32 s1, s39, s10
	s_add_i32 s1, s0, s1
	s_mul_i32 s0, s38, s10
	s_lshl_b64 s[0:1], s[0:1], 2
	s_add_u32 s29, s2, s0
	s_addc_u32 s36, s3, s1
	v_cmp_neq_f32_e64 s[0:1], s33, 0
	v_and_b32_e32 v4, 0x3ff, v0
	s_and_b64 vcc, exec, s[0:1]
	v_cmp_eq_u32_e64 s[0:1], 0, v5
	s_cbranch_vccnz .LBB66_15
; %bb.6:
	s_and_saveexec_b64 s[2:3], s[0:1]
	s_cbranch_execz .LBB66_11
; %bb.7:
	v_cmp_gt_i32_e64 s[0:1], s37, v4
	v_cmp_le_i32_e32 vcc, s37, v4
	s_and_saveexec_b64 s[8:9], vcc
	s_cbranch_execz .LBB66_9
; %bb.8:
	s_load_dword s30, s[4:5], 0x90
	s_waitcnt lgkmcnt(0)
	s_add_i32 s30, s30, -1
	s_cmp_lt_u32 s6, s30
	s_cselect_b64 s[30:31], -1, 0
	s_andn2_b64 s[0:1], s[0:1], exec
	s_and_b64 s[30:31], s[30:31], exec
	s_or_b64 s[0:1], s[0:1], s[30:31]
.LBB66_9:
	s_or_b64 exec, exec, s[8:9]
	s_and_b64 exec, exec, s[0:1]
	s_cbranch_execz .LBB66_11
; %bb.10:
	v_mad_u64_u32 v[0:1], s[0:1], v4, s10, 0
	v_mov_b32_e32 v2, v1
	v_mad_u64_u32 v[2:3], s[0:1], v4, s11, v[2:3]
	v_mov_b32_e32 v1, v2
	v_lshlrev_b64 v[0:1], 2, v[0:1]
	v_mov_b32_e32 v2, s36
	v_add_co_u32_e32 v0, vcc, s29, v0
	v_addc_co_u32_e32 v1, vcc, v2, v1, vcc
	global_load_dword v2, v[0:1], off
	s_waitcnt vmcnt(0)
	v_mul_f32_e32 v2, s28, v2
	global_store_dword v[0:1], v2, off
.LBB66_11:
	s_or_b64 exec, exec, s[2:3]
	s_cbranch_execz .LBB66_16
.LBB66_12:
	s_endpgm
.LBB66_13:
	s_mul_i32 s2, s7, s11
	s_mul_hi_u32 s3, s7, s10
	s_add_i32 s3, s3, s2
	s_mul_i32 s2, s7, s10
	s_lshl_b64 s[2:3], s[2:3], 2
	s_add_u32 s2, s8, s2
	s_addc_u32 s3, s9, s3
	s_load_dword s33, s[2:3], 0x0
	s_load_dwordx8 s[24:31], s[4:5], 0x48
	s_cbranch_execnz .LBB66_2
.LBB66_14:
	s_waitcnt lgkmcnt(0)
	s_mov_b32 s33, s8
	s_andn2_b64 vcc, exec, s[0:1]
	s_cbranch_vccz .LBB66_3
	s_branch .LBB66_4
.LBB66_15:
.LBB66_16:
	v_mov_b32_e32 v6, 0
	v_cmp_ne_u32_e64 s[2:3], 0, v5
	v_cmp_eq_u32_e64 s[0:1], 0, v5
	s_and_saveexec_b64 s[8:9], s[0:1]
	s_cbranch_execz .LBB66_23
; %bb.17:
	v_cmp_gt_i32_e64 s[34:35], s37, v4
	v_cmp_le_i32_e32 vcc, s37, v4
                                        ; implicit-def: $sgpr40
	s_and_saveexec_b64 s[30:31], vcc
	s_cbranch_execz .LBB66_19
; %bb.18:
	s_load_dword s41, s[4:5], 0x90
	s_mov_b32 s40, 0
	s_waitcnt lgkmcnt(0)
	s_add_i32 s41, s41, -1
	s_cmp_lt_u32 s6, s41
	s_cselect_b64 s[42:43], -1, 0
	s_andn2_b64 s[34:35], s[34:35], exec
	s_and_b64 s[42:43], s[42:43], exec
	s_or_b64 s[34:35], s[34:35], s[42:43]
.LBB66_19:
	s_or_b64 exec, exec, s[30:31]
	v_mov_b32_e32 v6, s40
	s_and_saveexec_b64 s[30:31], s[34:35]
	s_cbranch_execz .LBB66_22
; %bb.20:
	s_mul_i32 s27, s7, s27
	s_mul_hi_u32 s34, s7, s26
	s_add_i32 s27, s34, s27
	s_mul_i32 s26, s7, s26
	s_lshl_b64 s[26:27], s[26:27], 2
	s_add_u32 s26, s20, s26
	s_addc_u32 s27, s21, s27
	s_lshl_b64 s[20:21], s[22:23], 2
	s_add_u32 s22, s26, s20
	s_addc_u32 s23, s27, s21
	s_mul_i32 s20, s38, s25
	s_mul_hi_u32 s21, s38, s24
	s_add_i32 s20, s21, s20
	s_mul_i32 s21, s39, s24
	s_add_i32 s21, s20, s21
	s_mul_i32 s20, s38, s24
	s_lshl_b64 s[20:21], s[20:21], 2
	s_add_u32 s22, s22, s20
	s_addc_u32 s23, s23, s21
	v_mad_u64_u32 v[0:1], s[20:21], v4, s24, 0
	v_mov_b32_e32 v2, v1
	v_mad_u64_u32 v[2:3], s[20:21], v4, s25, v[2:3]
	v_mov_b32_e32 v1, v2
	v_lshlrev_b64 v[0:1], 2, v[0:1]
	v_mov_b32_e32 v2, s23
	v_add_co_u32_e32 v0, vcc, s22, v0
	v_addc_co_u32_e32 v1, vcc, v2, v1, vcc
	global_load_dword v0, v[0:1], off
	v_cmp_eq_f32_e64 s[20:21], s28, 0
	v_lshlrev_b32_e32 v1, 2, v4
	v_mov_b32_e32 v6, 0
	s_and_b64 vcc, exec, s[20:21]
	s_waitcnt vmcnt(0)
	ds_write_b32 v1, v0 offset:6144
	s_cbranch_vccnz .LBB66_22
; %bb.21:
	v_mad_u64_u32 v[0:1], s[20:21], v4, s10, 0
	v_mov_b32_e32 v2, v1
	v_mad_u64_u32 v[2:3], s[20:21], v4, s11, v[2:3]
	v_mov_b32_e32 v1, v2
	v_lshlrev_b64 v[0:1], 2, v[0:1]
	v_mov_b32_e32 v2, s36
	v_add_co_u32_e32 v0, vcc, s29, v0
	v_addc_co_u32_e32 v1, vcc, v2, v1, vcc
	global_load_dword v0, v[0:1], off
	s_waitcnt vmcnt(0)
	v_mul_f32_e32 v6, s28, v0
.LBB66_22:
	s_or_b64 exec, exec, s[30:31]
.LBB66_23:
	s_or_b64 exec, exec, s[8:9]
	s_mul_i32 s8, s7, s19
	s_mul_hi_u32 s9, s7, s18
	s_add_i32 s9, s9, s8
	s_mul_i32 s8, s7, s18
	s_lshl_b64 s[18:19], s[8:9], 2
	s_add_u32 s7, s12, s18
	s_addc_u32 s20, s13, s19
	s_lshl_b64 s[8:9], s[14:15], 2
	s_add_u32 s7, s7, s8
	s_addc_u32 s20, s20, s9
	s_add_u32 s14, s16, 1
	s_addc_u32 s15, s17, 0
	s_mul_i32 s21, s14, s39
	s_mul_hi_u32 s22, s14, s38
	s_add_i32 s21, s22, s21
	s_mul_i32 s15, s15, s38
	s_add_i32 s15, s21, s15
	s_mul_i32 s14, s14, s38
	s_lshl_b64 s[14:15], s[14:15], 2
	s_add_u32 s7, s7, s14
	s_addc_u32 s22, s20, s15
	v_mad_u64_u32 v[0:1], s[20:21], v5, s16, 0
	v_mov_b32_e32 v2, v1
	v_mad_u64_u32 v[2:3], s[20:21], v5, s17, v[2:3]
	v_mov_b32_e32 v1, v2
	v_lshlrev_b64 v[0:1], 2, v[0:1]
	v_add_co_u32_e32 v0, vcc, s7, v0
	s_load_dword s7, s[4:5], 0x90
	v_mov_b32_e32 v2, s22
	v_addc_co_u32_e32 v1, vcc, v2, v1, vcc
	v_lshlrev_b32_e32 v7, 2, v4
	v_add_co_u32_e32 v0, vcc, v0, v7
	v_lshl_add_u32 v10, v5, 5, v4
	s_waitcnt lgkmcnt(0)
	s_add_i32 s7, s7, -1
	v_addc_co_u32_e32 v1, vcc, 0, v1, vcc
	s_cmp_eq_u32 s6, s7
	v_lshlrev_b32_e32 v8, 2, v10
	v_add_u32_e32 v9, 16, v5
	s_cbranch_scc1 .LBB66_26
; %bb.24:
	s_lshl_b64 s[4:5], s[16:17], 5
	v_mov_b32_e32 v11, s5
	v_add_co_u32_e32 v2, vcc, s4, v0
	v_addc_co_u32_e32 v3, vcc, v1, v11, vcc
	global_load_dword v13, v[0:1], off
	global_load_dword v14, v[2:3], off
	v_add_co_u32_e32 v2, vcc, s4, v2
	v_addc_co_u32_e32 v3, vcc, v3, v11, vcc
	global_load_dword v15, v[2:3], off
	v_mov_b32_e32 v2, 0x60
	v_add_u32_e32 v12, 16, v5
	s_mul_i32 s22, s17, 0x60
	v_mad_u64_u32 v[2:3], s[4:5], s16, v2, v[0:1]
	v_add_u32_e32 v11, 0x300, v10
	v_lshlrev_b32_e32 v16, 5, v12
	v_add_u32_e32 v3, s22, v3
	s_mov_b64 s[4:5], -1
	v_add_lshl_u32 v16, v16, v4, 2
	s_waitcnt vmcnt(1)
	ds_write2st64_b32 v8, v13, v14 offset1:4
	s_waitcnt vmcnt(0)
	ds_write_b32 v16, v15
	s_cbranch_execz .LBB66_27
; %bb.25:
                                        ; implicit-def: $vgpr9
	s_and_saveexec_b64 s[2:3], s[4:5]
	s_cbranch_execnz .LBB66_47
	s_branch .LBB66_48
.LBB66_26:
	s_mov_b64 s[4:5], 0
                                        ; implicit-def: $vgpr12
                                        ; implicit-def: $vgpr2_vgpr3
                                        ; implicit-def: $vgpr11
.LBB66_27:
	v_cmp_gt_i32_e32 vcc, s37, v4
	v_lshlrev_b32_e32 v3, 5, v9
	s_or_b64 s[2:3], s[2:3], vcc
	v_mov_b32_e32 v2, 0
	v_add_lshl_u32 v3, v3, v4, 2
	s_xor_b64 s[20:21], s[2:3], -1
	ds_write2st64_b32 v8, v2, v2 offset1:4
	ds_write_b32 v3, v2
	ds_write_b32 v8, v2 offset:3072
	s_and_saveexec_b64 s[2:3], s[20:21]
	s_cbranch_execz .LBB66_29
; %bb.28:
	ds_write_b32 v7, v2 offset:6144
.LBB66_29:
	s_or_b64 exec, exec, s[2:3]
                                        ; implicit-def: $vgpr12
                                        ; implicit-def: $vgpr2_vgpr3
                                        ; implicit-def: $vgpr11
	s_and_saveexec_b64 s[20:21], vcc
	s_cbranch_execz .LBB66_46
; %bb.30:
	s_cmp_lt_u32 s37, 8
	s_mov_b32 s24, 0
	s_cbranch_scc1 .LBB66_43
; %bb.31:
	s_lshr_b32 s24, s37, 3
	s_cmp_lt_u32 s37, 16
	s_cbranch_scc1 .LBB66_35
; %bb.32:
	s_add_i32 s25, s24, -2
	s_cmp_lt_u32 s25, 2
	s_cbranch_scc1 .LBB66_36
; %bb.33:
	s_lshr_b32 s2, s25, 1
	s_add_i32 s2, s2, 1
	s_mov_b32 s22, 1
	s_and_b32 s26, s2, -2
	s_mov_b32 s23, 0
.LBB66_34:                              ; =>This Inner Loop Header: Depth=1
	s_lshl_b32 s3, s23, 3
	s_lshl_b32 s2, s22, 3
	s_add_i32 s27, s22, 2
	s_add_i32 s40, s23, 2
	s_mul_i32 s31, s17, s2
	s_mul_hi_u32 s34, s16, s2
	s_mul_i32 s35, s17, s3
	s_mul_hi_u32 s38, s16, s3
	s_mul_i32 s2, s16, s2
	s_mul_i32 s30, s16, s3
	s_lshl_b32 s39, s40, 3
	s_lshl_b32 s41, s27, 3
	s_add_i32 s3, s34, s31
	s_add_i32 s31, s38, s35
	s_mul_i32 s35, s17, s41
	s_mul_hi_u32 s42, s16, s41
	s_mul_i32 s34, s16, s41
	s_mul_i32 s41, s17, s39
	s_mul_hi_u32 s43, s16, s39
	s_lshl_b64 s[30:31], s[30:31], 2
	s_lshl_b64 s[2:3], s[2:3], 2
	s_mul_i32 s38, s16, s39
	s_add_i32 s35, s42, s35
	s_add_i32 s39, s43, s41
	v_mov_b32_e32 v3, s31
	v_mov_b32_e32 v11, s3
	v_add_co_u32_e32 v2, vcc, s2, v0
	v_add_co_u32_e64 v12, s[2:3], s30, v0
	s_lshl_b64 s[38:39], s[38:39], 2
	s_lshl_b64 s[34:35], s[34:35], 2
	v_addc_co_u32_e64 v13, s[2:3], v1, v3, s[2:3]
	v_addc_co_u32_e32 v3, vcc, v1, v11, vcc
	v_mov_b32_e32 v11, s39
	v_mov_b32_e32 v15, s35
	v_add_co_u32_e32 v14, vcc, s34, v0
	v_add_co_u32_e64 v16, s[2:3], s38, v0
	v_addc_co_u32_e64 v17, s[2:3], v1, v11, s[2:3]
	v_addc_co_u32_e32 v15, vcc, v1, v15, vcc
	global_load_dword v11, v[12:13], off
	global_load_dword v18, v[2:3], off
	;; [unrolled: 1-line block ×4, first 2 shown]
	s_lshl_b32 s2, s22, 8
	s_lshl_b32 s3, s23, 8
	s_add_i32 s23, s23, 4
	s_add_i32 s22, s22, 4
	s_add_i32 s26, s26, -2
	v_add_lshl_u32 v2, s3, v10, 2
	v_add_lshl_u32 v3, s2, v10, 2
	s_lshl_b32 s2, s27, 8
	s_lshl_b32 s3, s40, 8
	s_cmp_lg_u32 s26, 0
	v_add_lshl_u32 v12, s3, v10, 2
	v_add_lshl_u32 v13, s2, v10, 2
	s_waitcnt vmcnt(3)
	ds_write_b32 v2, v11
	s_waitcnt vmcnt(2)
	ds_write_b32 v3, v18
	;; [unrolled: 2-line block ×4, first 2 shown]
	s_cbranch_scc1 .LBB66_34
	s_branch .LBB66_37
.LBB66_35:
	s_mov_b64 s[22:23], -1
	s_mov_b32 s2, 0
	s_branch .LBB66_40
.LBB66_36:
	s_mov_b32 s23, 0
	s_mov_b32 s22, 1
.LBB66_37:
	s_bitcmp1_b32 s25, 1
	s_cbranch_scc1 .LBB66_39
; %bb.38:
	s_lshl_b32 s2, s22, 3
	s_lshl_b32 s25, s23, 3
	s_mul_i32 s3, s17, s2
	s_mul_hi_u32 s26, s16, s2
	s_add_i32 s3, s26, s3
	s_mul_i32 s26, s17, s25
	s_mul_hi_u32 s27, s16, s25
	s_add_i32 s27, s27, s26
	s_mul_i32 s26, s16, s25
	s_lshl_b64 s[26:27], s[26:27], 2
	s_mul_i32 s2, s16, s2
	v_mov_b32_e32 v3, s27
	v_add_co_u32_e32 v2, vcc, s26, v0
	v_addc_co_u32_e32 v3, vcc, v1, v3, vcc
	s_lshl_b64 s[2:3], s[2:3], 2
	v_mov_b32_e32 v11, s3
	v_add_co_u32_e32 v12, vcc, s2, v0
	v_addc_co_u32_e32 v13, vcc, v1, v11, vcc
	global_load_dword v11, v[2:3], off
	global_load_dword v14, v[12:13], off
	s_lshl_b32 s3, s23, 8
	s_lshl_b32 s2, s22, 8
	v_add_lshl_u32 v2, s3, v10, 2
	v_add_lshl_u32 v3, s2, v10, 2
	s_waitcnt vmcnt(1)
	ds_write_b32 v2, v11
	s_waitcnt vmcnt(0)
	ds_write_b32 v3, v14
.LBB66_39:
	s_and_b32 s2, s24, 0x1ffffffe
	s_cmp_lg_u32 s24, s2
	s_cselect_b64 s[22:23], -1, 0
.LBB66_40:
	s_and_b64 vcc, exec, s[22:23]
	s_cbranch_vccz .LBB66_43
; %bb.41:
	s_lshl_b32 s3, s2, 10
	v_lshlrev_b32_e32 v2, 7, v5
	s_sub_i32 s22, s24, s2
	v_add3_u32 v11, s3, v2, v7
	s_add_u32 s14, s14, s18
	s_mov_b32 s3, 0
	s_addc_u32 s15, s15, s19
	s_lshl_b64 s[2:3], s[2:3], 5
	v_lshlrev_b32_e32 v2, 2, v5
	v_add_co_u32_e32 v12, vcc, s2, v2
	s_add_u32 s2, s8, s14
	v_mov_b32_e32 v3, s3
	s_addc_u32 s3, s9, s15
	v_addc_co_u32_e32 v13, vcc, 0, v3, vcc
	v_pk_mov_b32 v[2:3], s[2:3], s[2:3] op_sel:[0,1]
	v_mad_u64_u32 v[2:3], s[2:3], s16, v12, v[2:3]
	v_mul_lo_u32 v13, s16, v13
	v_mul_lo_u32 v12, s17, v12
	v_add3_u32 v3, v12, v3, v13
	v_add_co_u32_e32 v2, vcc, v2, v7
	v_addc_co_u32_e32 v3, vcc, 0, v3, vcc
	v_mov_b32_e32 v12, s13
	v_add_co_u32_e32 v2, vcc, s12, v2
	s_lshl_b64 s[2:3], s[16:17], 5
	v_addc_co_u32_e32 v3, vcc, v12, v3, vcc
	v_mov_b32_e32 v12, s3
.LBB66_42:                              ; =>This Inner Loop Header: Depth=1
	global_load_dword v13, v[2:3], off
	s_add_i32 s22, s22, -1
	v_add_co_u32_e32 v2, vcc, s2, v2
	v_addc_co_u32_e32 v3, vcc, v3, v12, vcc
	s_cmp_lg_u32 s22, 0
	s_waitcnt vmcnt(0)
	ds_write_b32 v11, v13
	v_add_u32_e32 v11, 0x400, v11
	s_cbranch_scc1 .LBB66_42
.LBB66_43:
	s_and_b32 s2, s37, 7
	v_cmp_gt_u32_e32 vcc, s2, v5
	s_mov_b64 s[8:9], s[4:5]
                                        ; implicit-def: $vgpr2_vgpr3
                                        ; implicit-def: $vgpr11
	s_and_saveexec_b64 s[2:3], vcc
; %bb.44:
	s_lshl_b32 s8, s24, 3
	s_mul_i32 s9, s8, s17
	s_mul_hi_u32 s12, s8, s16
	s_add_i32 s9, s12, s9
	s_mul_i32 s8, s8, s16
	s_lshl_b64 s[8:9], s[8:9], 2
	v_mov_b32_e32 v3, s9
	v_add_co_u32_e32 v2, vcc, s8, v0
	v_addc_co_u32_e32 v3, vcc, v1, v3, vcc
	v_lshl_add_u32 v11, s24, 8, v10
	s_or_b64 s[8:9], s[4:5], exec
; %bb.45:
	s_or_b64 exec, exec, s[2:3]
	s_andn2_b64 s[2:3], s[4:5], exec
	s_and_b64 s[4:5], s[8:9], exec
	s_or_b64 s[4:5], s[2:3], s[4:5]
	v_mov_b32_e32 v12, v9
.LBB66_46:
	s_or_b64 exec, exec, s[20:21]
	s_and_saveexec_b64 s[2:3], s[4:5]
	s_cbranch_execz .LBB66_48
.LBB66_47:
	global_load_dword v0, v[2:3], off
	v_lshlrev_b32_e32 v1, 2, v11
	v_mov_b32_e32 v9, v12
	s_waitcnt vmcnt(0)
	ds_write_b32 v1, v0
.LBB66_48:
	s_or_b64 exec, exec, s[2:3]
	v_sub_u32_e32 v0, v4, v5
	v_sub_u32_e32 v1, 0, v0
	v_max_i32_e32 v2, v0, v1
	v_lshlrev_b32_e32 v1, 5, v4
	v_add_u32_e32 v3, v9, v1
	v_cmp_lt_u32_e32 vcc, 16, v2
	v_lshlrev_b32_e32 v0, 5, v9
	v_lshlrev_b32_e32 v3, 2, v3
	s_waitcnt lgkmcnt(0)
	s_barrier
	s_and_saveexec_b64 s[2:3], vcc
	s_cbranch_execnz .LBB66_57
; %bb.49:
	s_or_b64 exec, exec, s[2:3]
	v_cmp_lt_u32_e32 vcc, 24, v2
	s_and_saveexec_b64 s[2:3], vcc
	s_cbranch_execnz .LBB66_58
.LBB66_50:
	s_or_b64 exec, exec, s[2:3]
	v_cmp_ge_u32_e32 vcc, v4, v5
	s_and_saveexec_b64 s[2:3], vcc
	s_cbranch_execz .LBB66_52
.LBB66_51:
	v_add_lshl_u32 v3, v1, v5, 2
	ds_read_b32 v3, v3
	s_waitcnt lgkmcnt(0)
	ds_write_b32 v8, v3
.LBB66_52:
	s_or_b64 exec, exec, s[2:3]
	v_cmp_lt_u32_e32 vcc, 8, v2
	v_lshlrev_b32_e32 v2, 5, v5
	s_movk_i32 s2, 0x100
	v_add3_u32 v3, v2, v4, s2
	v_lshlrev_b32_e32 v3, 2, v3
	s_and_saveexec_b64 s[2:3], vcc
	s_cbranch_execz .LBB66_54
; %bb.53:
	v_add_lshl_u32 v1, v5, v1, 2
	ds_read_b32 v1, v1 offset:32
	s_waitcnt lgkmcnt(0)
	ds_write_b32 v3, v1
.LBB66_54:
	s_or_b64 exec, exec, s[2:3]
	v_lshlrev_b32_e32 v1, 2, v5
	v_add_u32_e32 v5, 0x1800, v1
	s_waitcnt lgkmcnt(0)
	s_barrier
	ds_read2_b32 v[10:11], v5 offset1:8
	v_lshlrev_b32_e32 v5, 2, v9
	v_add_lshl_u32 v0, v0, v4, 2
	ds_read_b32 v5, v5 offset:6144
	v_add_lshl_u32 v2, v2, v4, 2
	ds_read_b32 v9, v8
	ds_read_b32 v3, v3
	ds_read_b32 v2, v2 offset:3072
	ds_read_b32 v0, v0
	ds_read_b32 v1, v1 offset:6240
	s_waitcnt lgkmcnt(4)
	v_fma_f32 v9, v9, v10, 0
	s_waitcnt lgkmcnt(3)
	v_fmac_f32_e32 v9, v3, v11
	s_waitcnt lgkmcnt(1)
	v_fmac_f32_e32 v9, v0, v5
	;; [unrolled: 2-line block ×3, first 2 shown]
	ds_write_b32 v8, v9 offset:4096
	s_waitcnt lgkmcnt(0)
	s_barrier
	s_and_saveexec_b64 s[2:3], s[0:1]
	s_cbranch_execz .LBB66_12
; %bb.55:
	s_cmp_lt_u32 s6, s7
	v_cmp_gt_i32_e32 vcc, s37, v4
	s_cselect_b64 s[0:1], -1, 0
	s_or_b64 s[0:1], vcc, s[0:1]
	s_and_b64 exec, exec, s[0:1]
	s_cbranch_execz .LBB66_12
; %bb.56:
	v_add_u32_e32 v5, 0x1000, v7
	ds_read2_b32 v[0:1], v5 offset1:32
	ds_read2_b32 v[2:3], v5 offset0:64 offset1:96
	ds_read2_b32 v[8:9], v5 offset0:128 offset1:160
	;; [unrolled: 1-line block ×3, first 2 shown]
	v_cmp_neq_f32_e64 vcc, s28, 0
	s_waitcnt lgkmcnt(3)
	v_add_f32_e32 v0, 0, v0
	v_add_f32_e32 v0, v0, v1
	s_waitcnt lgkmcnt(2)
	v_add_f32_e32 v0, v0, v2
	v_add_f32_e32 v0, v0, v3
	;; [unrolled: 3-line block ×4, first 2 shown]
	v_mul_f32_e32 v1, s33, v0
	v_fmac_f32_e32 v6, s33, v0
	v_cndmask_b32_e32 v5, v1, v6, vcc
	v_mad_u64_u32 v[0:1], s[0:1], v4, s10, 0
	v_mov_b32_e32 v2, v1
	v_mad_u64_u32 v[2:3], s[0:1], v4, s11, v[2:3]
	v_mov_b32_e32 v1, v2
	v_lshlrev_b64 v[0:1], 2, v[0:1]
	v_mov_b32_e32 v2, s36
	v_add_co_u32_e32 v0, vcc, s29, v0
	v_addc_co_u32_e32 v1, vcc, v2, v1, vcc
	global_store_dword v[0:1], v5, off
	s_endpgm
.LBB66_57:
	ds_read_b32 v10, v3
	v_add_lshl_u32 v11, v0, v4, 2
	s_waitcnt lgkmcnt(0)
	ds_write_b32 v11, v10
	s_or_b64 exec, exec, s[2:3]
	v_cmp_lt_u32_e32 vcc, 24, v2
	s_and_saveexec_b64 s[2:3], vcc
	s_cbranch_execz .LBB66_50
.LBB66_58:
	ds_read_b32 v3, v3 offset:32
	s_waitcnt lgkmcnt(0)
	ds_write_b32 v8, v3 offset:3072
	s_or_b64 exec, exec, s[2:3]
	v_cmp_ge_u32_e32 vcc, v4, v5
	s_and_saveexec_b64 s[2:3], vcc
	s_cbranch_execnz .LBB66_51
	s_branch .LBB66_52
	.section	.rodata,"a",@progbits
	.p2align	6, 0x0
	.amdhsa_kernel _ZL58rocblas_symv_kernel_upper_double_buffered_diagonal_genericILi32ELi8E24rocblas_internal_val_ptrIfEPKfPfEvbiT1_lT2_lllS6_lllS5_lT3_lllii
		.amdhsa_group_segment_fixed_size 6272
		.amdhsa_private_segment_fixed_size 0
		.amdhsa_kernarg_size 400
		.amdhsa_user_sgpr_count 6
		.amdhsa_user_sgpr_private_segment_buffer 1
		.amdhsa_user_sgpr_dispatch_ptr 0
		.amdhsa_user_sgpr_queue_ptr 0
		.amdhsa_user_sgpr_kernarg_segment_ptr 1
		.amdhsa_user_sgpr_dispatch_id 0
		.amdhsa_user_sgpr_flat_scratch_init 0
		.amdhsa_user_sgpr_kernarg_preload_length 0
		.amdhsa_user_sgpr_kernarg_preload_offset 0
		.amdhsa_user_sgpr_private_segment_size 0
		.amdhsa_uses_dynamic_stack 0
		.amdhsa_system_sgpr_private_segment_wavefront_offset 0
		.amdhsa_system_sgpr_workgroup_id_x 1
		.amdhsa_system_sgpr_workgroup_id_y 0
		.amdhsa_system_sgpr_workgroup_id_z 1
		.amdhsa_system_sgpr_workgroup_info 0
		.amdhsa_system_vgpr_workitem_id 1
		.amdhsa_next_free_vgpr 21
		.amdhsa_next_free_sgpr 44
		.amdhsa_accum_offset 24
		.amdhsa_reserve_vcc 1
		.amdhsa_reserve_flat_scratch 0
		.amdhsa_float_round_mode_32 0
		.amdhsa_float_round_mode_16_64 0
		.amdhsa_float_denorm_mode_32 3
		.amdhsa_float_denorm_mode_16_64 3
		.amdhsa_dx10_clamp 1
		.amdhsa_ieee_mode 1
		.amdhsa_fp16_overflow 0
		.amdhsa_tg_split 0
		.amdhsa_exception_fp_ieee_invalid_op 0
		.amdhsa_exception_fp_denorm_src 0
		.amdhsa_exception_fp_ieee_div_zero 0
		.amdhsa_exception_fp_ieee_overflow 0
		.amdhsa_exception_fp_ieee_underflow 0
		.amdhsa_exception_fp_ieee_inexact 0
		.amdhsa_exception_int_div_zero 0
	.end_amdhsa_kernel
	.section	.text._ZL58rocblas_symv_kernel_upper_double_buffered_diagonal_genericILi32ELi8E24rocblas_internal_val_ptrIfEPKfPfEvbiT1_lT2_lllS6_lllS5_lT3_lllii,"axG",@progbits,_ZL58rocblas_symv_kernel_upper_double_buffered_diagonal_genericILi32ELi8E24rocblas_internal_val_ptrIfEPKfPfEvbiT1_lT2_lllS6_lllS5_lT3_lllii,comdat
.Lfunc_end66:
	.size	_ZL58rocblas_symv_kernel_upper_double_buffered_diagonal_genericILi32ELi8E24rocblas_internal_val_ptrIfEPKfPfEvbiT1_lT2_lllS6_lllS5_lT3_lllii, .Lfunc_end66-_ZL58rocblas_symv_kernel_upper_double_buffered_diagonal_genericILi32ELi8E24rocblas_internal_val_ptrIfEPKfPfEvbiT1_lT2_lllS6_lllS5_lT3_lllii
                                        ; -- End function
	.section	.AMDGPU.csdata,"",@progbits
; Kernel info:
; codeLenInByte = 2740
; NumSgprs: 48
; NumVgprs: 21
; NumAgprs: 0
; TotalNumVgprs: 21
; ScratchSize: 0
; MemoryBound: 0
; FloatMode: 240
; IeeeMode: 1
; LDSByteSize: 6272 bytes/workgroup (compile time only)
; SGPRBlocks: 5
; VGPRBlocks: 2
; NumSGPRsForWavesPerEU: 48
; NumVGPRsForWavesPerEU: 21
; AccumOffset: 24
; Occupancy: 8
; WaveLimiterHint : 0
; COMPUTE_PGM_RSRC2:SCRATCH_EN: 0
; COMPUTE_PGM_RSRC2:USER_SGPR: 6
; COMPUTE_PGM_RSRC2:TRAP_HANDLER: 0
; COMPUTE_PGM_RSRC2:TGID_X_EN: 1
; COMPUTE_PGM_RSRC2:TGID_Y_EN: 0
; COMPUTE_PGM_RSRC2:TGID_Z_EN: 1
; COMPUTE_PGM_RSRC2:TIDIG_COMP_CNT: 1
; COMPUTE_PGM_RSRC3_GFX90A:ACCUM_OFFSET: 5
; COMPUTE_PGM_RSRC3_GFX90A:TG_SPLIT: 0
	.section	.text._ZL62rocblas_symv_kernel_upper_double_buffered_non_diagonal_genericILi32ELi8ELi2ELi0E24rocblas_internal_val_ptrIfEPKfPfEvbiT3_lT4_lllS6_lllT5_lllii,"axG",@progbits,_ZL62rocblas_symv_kernel_upper_double_buffered_non_diagonal_genericILi32ELi8ELi2ELi0E24rocblas_internal_val_ptrIfEPKfPfEvbiT3_lT4_lllS6_lllT5_lllii,comdat
	.globl	_ZL62rocblas_symv_kernel_upper_double_buffered_non_diagonal_genericILi32ELi8ELi2ELi0E24rocblas_internal_val_ptrIfEPKfPfEvbiT3_lT4_lllS6_lllT5_lllii ; -- Begin function _ZL62rocblas_symv_kernel_upper_double_buffered_non_diagonal_genericILi32ELi8ELi2ELi0E24rocblas_internal_val_ptrIfEPKfPfEvbiT3_lT4_lllS6_lllT5_lllii
	.p2align	8
	.type	_ZL62rocblas_symv_kernel_upper_double_buffered_non_diagonal_genericILi32ELi8ELi2ELi0E24rocblas_internal_val_ptrIfEPKfPfEvbiT3_lT4_lllS6_lllT5_lllii,@function
_ZL62rocblas_symv_kernel_upper_double_buffered_non_diagonal_genericILi32ELi8ELi2ELi0E24rocblas_internal_val_ptrIfEPKfPfEvbiT3_lT4_lllS6_lllT5_lllii: ; @_ZL62rocblas_symv_kernel_upper_double_buffered_non_diagonal_genericILi32ELi8ELi2ELi0E24rocblas_internal_val_ptrIfEPKfPfEvbiT3_lT4_lllS6_lllT5_lllii
; %bb.0:
	s_load_dword s0, s[4:5], 0x0
	s_load_dwordx16 s[12:27], s[4:5], 0x8
	s_waitcnt lgkmcnt(0)
	s_bitcmp0_b32 s0, 0
	s_cbranch_scc0 .LBB67_2
; %bb.1:
	s_mul_i32 s0, s8, s15
	s_mul_hi_u32 s1, s8, s14
	s_add_i32 s1, s1, s0
	s_mul_i32 s0, s8, s14
	s_lshl_b64 s[0:1], s[0:1], 2
	s_add_u32 s0, s12, s0
	s_addc_u32 s1, s13, s1
	s_load_dword s33, s[0:1], 0x0
	s_cbranch_execz .LBB67_3
	s_branch .LBB67_4
.LBB67_2:
                                        ; implicit-def: $sgpr33
.LBB67_3:
	s_waitcnt lgkmcnt(0)
	s_mov_b32 s33, s12
.LBB67_4:
	s_waitcnt lgkmcnt(0)
	v_cmp_eq_f32_e64 s[0:1], s33, 0
	s_and_b64 vcc, exec, s[0:1]
	s_cbranch_vccnz .LBB67_42
; %bb.5:
	s_load_dword s2, s[4:5], 0x84
	s_add_u32 s0, s4, 0x80
	s_addc_u32 s1, s5, 0
	s_cmp_eq_u32 s6, 0
	s_waitcnt lgkmcnt(0)
	v_cvt_f32_u32_e32 v1, s2
	v_rcp_iflag_f32_e32 v1, v1
	v_mul_f32_e32 v1, 0x4f7ffffe, v1
	v_cvt_u32_f32_e32 v1, v1
	v_readfirstlane_b32 s3, v1
	s_cbranch_scc1 .LBB67_42
; %bb.6:
	s_sub_i32 s9, 0, s2
	s_mul_i32 s9, s9, s3
	s_mul_hi_u32 s9, s3, s9
	s_add_i32 s3, s3, s9
	s_mul_hi_u32 s3, s6, s3
	s_mul_i32 s9, s3, s2
	s_sub_i32 s9, s6, s9
	s_add_i32 s10, s3, 1
	s_sub_i32 s11, s9, s2
	s_cmp_ge_u32 s9, s2
	s_cselect_b32 s3, s10, s3
	s_cselect_b32 s9, s11, s9
	s_add_i32 s10, s3, 1
	s_cmp_ge_u32 s9, s2
	s_cselect_b32 s14, s10, s3
	s_add_i32 s3, s2, -1
	s_cmp_lg_u32 s7, s3
	s_mov_b32 s35, s14
	s_cbranch_scc1 .LBB67_8
; %bb.7:
	s_mul_i32 s2, s14, s2
	s_sub_i32 s2, s6, s2
	s_add_i32 s35, s2, s14
.LBB67_8:
	s_cmp_eq_u32 s35, 0
	s_cbranch_scc1 .LBB67_42
; %bb.9:
	s_load_dwordx4 s[28:31], s[4:5], 0x48
	s_load_dword s34, s[4:5], 0x78
	v_and_b32_e32 v22, 0x3ff, v0
	v_bfe_u32 v1, v0, 10, 10
	v_lshl_add_u32 v2, v1, 5, v22
	s_waitcnt lgkmcnt(0)
	s_mul_i32 s3, s8, s31
	s_mul_hi_u32 s9, s8, s30
	s_mul_i32 s2, s8, s30
	s_add_i32 s3, s9, s3
	s_lshl_b64 s[2:3], s[2:3], 2
	s_add_u32 s9, s24, s2
	s_addc_u32 s10, s25, s3
	s_lshl_b64 s[2:3], s[26:27], 2
	s_add_u32 s9, s9, s2
	s_addc_u32 s31, s10, s3
	s_lshl_b32 s26, s6, 5
	s_ashr_i32 s27, s26, 31
	s_mul_i32 s2, s26, s29
	s_mul_hi_u32 s3, s26, s28
	s_load_dword s30, s[0:1], 0x0
	s_add_i32 s2, s3, s2
	s_mul_i32 s3, s27, s28
	s_add_i32 s3, s2, s3
	s_mul_i32 s2, s26, s28
	s_lshl_b64 s[0:1], s[2:3], 2
	s_add_u32 s15, s9, s0
	s_addc_u32 s36, s31, s1
	s_waitcnt lgkmcnt(0)
	s_add_i32 s30, s30, -1
	s_cmp_lg_u32 s6, s30
	s_cselect_b64 s[2:3], -1, 0
	v_and_b32_e32 v0, 15, v22
	v_lshrrev_b32_e32 v6, 4, v2
	v_cmp_eq_u32_e64 s[0:1], 0, v1
	s_mov_b64 s[10:11], -1
	s_and_b64 vcc, exec, s[2:3]
	s_cbranch_vccnz .LBB67_15
; %bb.10:
	s_and_saveexec_b64 s[10:11], s[0:1]
	s_cbranch_execz .LBB67_14
; %bb.11:
	v_cmp_gt_i32_e32 vcc, s34, v22
	v_mov_b32_e32 v1, 0
	s_and_saveexec_b64 s[12:13], vcc
	s_cbranch_execz .LBB67_13
; %bb.12:
	v_mad_u64_u32 v[2:3], s[24:25], v22, s28, 0
	v_mov_b32_e32 v4, v3
	v_mad_u64_u32 v[4:5], s[24:25], v22, s29, v[4:5]
	v_mov_b32_e32 v3, v4
	v_lshlrev_b64 v[2:3], 2, v[2:3]
	v_mov_b32_e32 v1, s36
	v_add_co_u32_e32 v2, vcc, s15, v2
	v_addc_co_u32_e32 v3, vcc, v1, v3, vcc
	global_load_dword v1, v[2:3], off
.LBB67_13:
	s_or_b64 exec, exec, s[12:13]
	v_lshlrev_b32_e32 v2, 2, v22
	s_waitcnt vmcnt(0)
	ds_write_b32 v2, v1 offset:4096
.LBB67_14:
	s_or_b64 exec, exec, s[10:11]
	v_lshlrev_b32_e32 v1, 2, v0
	v_lshl_or_b32 v1, v6, 7, v1
	v_mov_b32_e32 v2, 0
	ds_write2_b32 v1, v2, v2 offset1:16
	v_add_u32_e32 v1, 0x800, v1
	s_mov_b64 s[10:11], 0
	ds_write2_b32 v1, v2, v2 offset1:16
.LBB67_15:
	s_load_dwordx2 s[24:25], s[4:5], 0x58
	s_and_b64 vcc, exec, s[10:11]
	s_cbranch_vccz .LBB67_19
; %bb.16:
	s_and_saveexec_b64 s[10:11], s[0:1]
	s_cbranch_execz .LBB67_18
; %bb.17:
	v_mad_u64_u32 v[2:3], s[12:13], v22, s28, 0
	v_mov_b32_e32 v4, v3
	v_mad_u64_u32 v[4:5], s[12:13], v22, s29, v[4:5]
	v_mov_b32_e32 v3, v4
	v_lshlrev_b64 v[2:3], 2, v[2:3]
	v_mov_b32_e32 v1, s36
	v_add_co_u32_e32 v2, vcc, s15, v2
	v_addc_co_u32_e32 v3, vcc, v1, v3, vcc
	global_load_dword v1, v[2:3], off
	v_lshlrev_b32_e32 v2, 2, v22
	s_waitcnt vmcnt(0)
	ds_write_b32 v2, v1 offset:4096
.LBB67_18:
	s_or_b64 exec, exec, s[10:11]
.LBB67_19:
	s_lshr_b32 s10, s34, 31
	s_add_i32 s10, s34, s10
	s_ashr_i32 s15, s10, 1
	s_mul_i32 s10, s8, s23
	s_mul_hi_u32 s11, s8, s22
	s_add_i32 s11, s11, s10
	s_mul_i32 s10, s8, s22
	s_lshl_b64 s[10:11], s[10:11], 2
	s_add_u32 s12, s16, s10
	s_addc_u32 s13, s17, s11
	s_lshl_b64 s[10:11], s[18:19], 2
	s_add_u32 s12, s12, s10
	s_addc_u32 s13, s13, s11
	s_mul_i32 s10, s26, s21
	s_mul_hi_u32 s11, s26, s20
	s_add_i32 s10, s11, s10
	s_mul_i32 s11, s27, s20
	s_add_i32 s11, s10, s11
	s_mul_i32 s10, s26, s20
	s_lshl_b64 s[10:11], s[10:11], 2
	s_add_u32 s16, s12, s10
	s_mul_i32 s7, s7, s14
	s_addc_u32 s17, s13, s11
	s_lshl_b32 s10, s7, 5
	s_ashr_i32 s11, s10, 31
	s_lshl_b64 s[12:13], s[10:11], 2
	s_add_u32 s7, s16, s12
	v_lshlrev_b32_e32 v10, 1, v6
	v_mov_b32_e32 v1, 0
	s_addc_u32 s18, s17, s13
	v_mad_u64_u32 v[8:9], s[12:13], v10, s20, v[0:1]
	v_mov_b32_e32 v2, v9
	v_mad_u64_u32 v[2:3], s[12:13], v10, s21, v[2:3]
	s_mov_b32 s12, 0
	v_mov_b32_e32 v9, v2
	v_cmp_gt_i32_e32 vcc, s15, v6
	s_mov_b32 s13, s12
	s_or_b64 s[2:3], s[2:3], vcc
	v_pk_mov_b32 v[4:5], s[12:13], s[12:13] op_sel:[0,1]
	v_lshlrev_b64 v[2:3], 2, v[8:9]
	s_waitcnt lgkmcnt(0)
	s_barrier
	s_and_saveexec_b64 s[12:13], s[2:3]
	s_cbranch_execz .LBB67_21
; %bb.20:
	v_mov_b32_e32 v1, s18
	v_add_co_u32_e32 v12, vcc, s7, v2
	v_addc_co_u32_e32 v13, vcc, v1, v3, vcc
	s_lshl_b64 s[14:15], s[20:21], 2
	v_mov_b32_e32 v1, s15
	v_add_co_u32_e32 v14, vcc, s14, v12
	v_addc_co_u32_e32 v15, vcc, v13, v1, vcc
	global_load_dword v4, v[12:13], off
	global_load_dword v5, v[14:15], off
.LBB67_21:
	s_or_b64 exec, exec, s[12:13]
	s_load_dwordx2 s[16:17], s[4:5], 0x70
	s_load_dwordx4 s[12:15], s[4:5], 0x60
	v_lshl_or_b32 v1, v6, 5, v0
	s_waitcnt lgkmcnt(0)
	s_mul_i32 s5, s8, s17
	s_mul_hi_u32 s17, s8, s16
	s_mul_i32 s4, s8, s16
	s_add_i32 s5, s17, s5
	s_lshl_b64 s[4:5], s[4:5], 2
	s_add_u32 s8, s24, s4
	s_addc_u32 s16, s25, s5
	s_lshl_b64 s[4:5], s[12:13], 2
	s_add_u32 s19, s8, s4
	s_addc_u32 s22, s16, s5
	s_cmp_gt_i32 s35, 0
	s_cbranch_scc1 .LBB67_23
; %bb.22:
	v_lshl_or_b32 v6, v6, 5, v0
	v_or_b32_e32 v23, 16, v6
	s_mov_b32 s8, 0
	v_mov_b32_e32 v27, s8
	v_mov_b32_e32 v25, s8
	s_cbranch_execz .LBB67_24
	s_branch .LBB67_38
.LBB67_23:
                                        ; implicit-def: $sgpr8
                                        ; implicit-def: $vgpr6
                                        ; implicit-def: $vgpr23
	v_mov_b32_e32 v27, s8
	v_mov_b32_e32 v25, s8
.LBB67_24:
	v_mad_u64_u32 v[6:7], s[4:5], v0, s28, 0
	v_mov_b32_e32 v12, v7
	v_mad_u64_u32 v[12:13], s[4:5], v0, s29, v[12:13]
	s_mul_i32 s4, s10, s29
	s_mul_hi_u32 s5, s10, s28
	s_add_i32 s4, s5, s4
	s_mul_i32 s5, s11, s28
	s_add_i32 s5, s4, s5
	s_mul_i32 s4, s10, s28
	s_lshl_b64 s[4:5], s[4:5], 2
	v_mov_b32_e32 v7, v12
	s_add_u32 s23, s9, s4
	s_addc_u32 s24, s31, s5
	v_lshlrev_b64 v[6:7], 2, v[6:7]
	v_mov_b32_e32 v11, s24
	v_add_co_u32_e32 v12, vcc, s23, v6
	v_addc_co_u32_e32 v13, vcc, v11, v7, vcc
	global_load_dword v26, v[12:13], off
	s_mul_i32 s4, s10, s15
	s_mul_hi_u32 s5, s10, s14
	s_add_i32 s4, s5, s4
	s_mul_i32 s5, s11, s14
	s_add_i32 s5, s4, s5
	s_mul_i32 s4, s10, s14
	s_lshl_b64 s[4:5], s[4:5], 2
	s_add_u32 s10, s19, s4
	v_or_b32_e32 v11, 16, v0
	s_addc_u32 s11, s22, s5
	v_mad_u64_u32 v[12:13], s[4:5], v11, s28, 0
	v_mov_b32_e32 v14, v13
	v_mad_u64_u32 v[14:15], s[4:5], v11, s29, v[14:15]
	v_mov_b32_e32 v13, v14
	;; [unrolled: 2-line block ×4, first 2 shown]
	v_mov_b32_e32 v15, v16
	v_lshl_add_u32 v28, v10, 2, v11
	v_mov_b32_e32 v10, s21
	v_add_co_u32_e32 v16, vcc, s20, v8
	v_addc_co_u32_e32 v17, vcc, v9, v10, vcc
	s_lshl_b64 s[4:5], s[28:29], 7
	s_add_i32 s25, s35, -1
	v_lshlrev_b32_e32 v24, 2, v1
	v_or_b32_e32 v23, 16, v1
	s_lshl_b64 s[8:9], s[14:15], 7
	v_lshlrev_b32_e32 v29, 2, v22
	s_mov_b32 s28, 0
	v_pk_mov_b32 v[8:9], s[10:11], s[10:11] op_sel:[0,1]
	v_mov_b32_e32 v25, 0
	v_lshlrev_b64 v[10:11], 2, v[12:13]
	v_lshlrev_b64 v[12:13], 2, v[16:17]
	s_lshl_b64 s[10:11], s[20:21], 2
	v_lshlrev_b64 v[14:15], 2, v[14:15]
	v_mov_b32_e32 v27, 0
	v_mov_b32_e32 v30, 0
	;; [unrolled: 1-line block ×3, first 2 shown]
.LBB67_25:                              ; =>This Loop Header: Depth=1
                                        ;     Child Loop BB67_33 Depth 2
	v_mov_b32_e32 v17, s24
	v_add_co_u32_e32 v16, vcc, s23, v10
	v_addc_co_u32_e32 v17, vcc, v17, v11, vcc
	global_load_dword v32, v[16:17], off
	s_and_saveexec_b64 s[12:13], s[2:3]
	s_cbranch_execz .LBB67_27
; %bb.26:                               ;   in Loop: Header=BB67_25 Depth=1
	v_mov_b32_e32 v19, s18
	v_add_co_u32_e32 v16, vcc, s7, v12
	v_addc_co_u32_e32 v17, vcc, v19, v13, vcc
	v_add_co_u32_e32 v18, vcc, s7, v2
	v_addc_co_u32_e32 v19, vcc, v19, v3, vcc
	global_load_dword v30, v[18:19], off offset:64
	global_load_dword v31, v[16:17], off offset:64
.LBB67_27:                              ;   in Loop: Header=BB67_25 Depth=1
	s_or_b64 exec, exec, s[12:13]
	ds_read_b64 v[18:19], v28
	s_add_u32 s23, s23, s4
	s_addc_u32 s24, s24, s5
	s_cmp_eq_u32 s28, s25
	s_waitcnt vmcnt(1)
	v_mov_b32_e32 v33, v26
	v_pk_mov_b32 v[16:17], v[4:5], v[4:5] op_sel:[0,1]
	s_cbranch_scc1 .LBB67_31
; %bb.28:                               ;   in Loop: Header=BB67_25 Depth=1
	v_pk_mov_b32 v[16:17], v[4:5], v[4:5] op_sel:[0,1]
	s_and_saveexec_b64 s[12:13], s[2:3]
	s_cbranch_execz .LBB67_30
; %bb.29:                               ;   in Loop: Header=BB67_25 Depth=1
	v_mov_b32_e32 v16, s18
	v_add_co_u32_e32 v20, vcc, s7, v2
	v_addc_co_u32_e32 v21, vcc, v16, v3, vcc
	v_mov_b32_e32 v16, s11
	v_add_co_u32_e32 v34, vcc, s10, v20
	v_addc_co_u32_e32 v35, vcc, v21, v16, vcc
	global_load_dword v16, v[20:21], off offset:128
	global_load_dword v17, v[34:35], off offset:128
.LBB67_30:                              ;   in Loop: Header=BB67_25 Depth=1
	s_or_b64 exec, exec, s[12:13]
	v_mov_b32_e32 v21, s24
	v_add_co_u32_e32 v20, vcc, s23, v6
	v_addc_co_u32_e32 v21, vcc, v21, v7, vcc
	global_load_dword v33, v[20:21], off
.LBB67_31:                              ;   in Loop: Header=BB67_25 Depth=1
	s_waitcnt lgkmcnt(0)
	v_fma_f32 v20, v4, v18, 0
	v_fma_f32 v18, v30, v18, 0
	v_fmac_f32_e32 v20, v5, v19
	s_waitcnt vmcnt(0)
	v_fmac_f32_e32 v18, v31, v19
	s_barrier
	ds_write2_b32 v24, v20, v18 offset1:16
	s_waitcnt lgkmcnt(0)
	s_barrier
	s_and_saveexec_b64 s[12:13], s[0:1]
	s_cbranch_execz .LBB67_35
; %bb.32:                               ;   in Loop: Header=BB67_25 Depth=1
	v_add_co_u32_e32 v18, vcc, v8, v14
	v_addc_co_u32_e32 v19, vcc, v9, v15, vcc
	global_load_dword v21, v[18:19], off
	ds_read2_b32 v[34:35], v29 offset1:32
	ds_read2_b32 v[36:37], v29 offset0:64 offset1:96
	ds_read2_b32 v[38:39], v29 offset0:128 offset1:160
	v_add_u32_e32 v40, 0x400, v29
	s_mov_b64 s[16:17], 0
	s_waitcnt lgkmcnt(2)
	v_add_f32_e32 v20, 0, v34
	v_add_f32_e32 v20, v20, v35
	ds_read2_b32 v[34:35], v29 offset0:192 offset1:224
	s_waitcnt lgkmcnt(2)
	v_add_f32_e32 v20, v20, v36
	v_add_f32_e32 v20, v20, v37
	s_waitcnt lgkmcnt(1)
	v_add_f32_e32 v20, v20, v38
	ds_read2_b32 v[36:37], v40 offset1:32
	v_add_f32_e32 v20, v20, v39
	s_waitcnt lgkmcnt(1)
	v_add_f32_e32 v20, v20, v34
	v_add_f32_e32 v20, v20, v35
	ds_read2_b32 v[34:35], v40 offset0:64 offset1:96
	ds_read2_b32 v[38:39], v40 offset0:128 offset1:160
	s_waitcnt lgkmcnt(2)
	v_add_f32_e32 v20, v20, v36
	v_add_f32_e32 v20, v20, v37
	ds_read2_b32 v[36:37], v40 offset0:192 offset1:224
	s_waitcnt lgkmcnt(2)
	v_add_f32_e32 v20, v20, v34
	v_add_f32_e32 v20, v20, v35
	s_waitcnt lgkmcnt(1)
	v_add_f32_e32 v20, v20, v38
	v_add_f32_e32 v20, v20, v39
	;; [unrolled: 3-line block ×3, first 2 shown]
	v_mul_f32_e32 v34, s33, v20
.LBB67_33:                              ;   Parent Loop BB67_25 Depth=1
                                        ; =>  This Inner Loop Header: Depth=2
	s_waitcnt vmcnt(0)
	v_add_f32_e32 v20, v21, v34
	global_atomic_cmpswap v20, v[18:19], v[20:21], off glc
	s_waitcnt vmcnt(0)
	v_cmp_eq_u32_e32 vcc, v20, v21
	s_or_b64 s[16:17], vcc, s[16:17]
	v_mov_b32_e32 v21, v20
	s_andn2_b64 exec, exec, s[16:17]
	s_cbranch_execnz .LBB67_33
; %bb.34:                               ;   in Loop: Header=BB67_25 Depth=1
	s_or_b64 exec, exec, s[16:17]
	v_mov_b32_e32 v18, s9
	v_add_co_u32_e32 v8, vcc, s8, v8
	v_addc_co_u32_e32 v9, vcc, v9, v18, vcc
.LBB67_35:                              ;   in Loop: Header=BB67_25 Depth=1
	s_or_b64 exec, exec, s[12:13]
	s_add_u32 s7, s7, 0x80
	v_fmac_f32_e32 v25, v26, v4
	v_fmac_f32_e32 v27, v26, v5
	s_addc_u32 s18, s18, 0
	s_add_i32 s28, s28, 1
	v_fmac_f32_e32 v25, v32, v30
	v_fmac_f32_e32 v27, v32, v31
	s_cmp_eq_u32 s28, s35
	s_cbranch_scc1 .LBB67_37
; %bb.36:                               ;   in Loop: Header=BB67_25 Depth=1
	v_mov_b32_e32 v26, v33
	v_pk_mov_b32 v[4:5], v[16:17], v[16:17] op_sel:[0,1]
	s_branch .LBB67_25
.LBB67_37:
	v_mov_b32_e32 v6, v1
.LBB67_38:
	v_lshlrev_b32_e32 v1, 2, v6
	ds_write_b32 v1, v25 offset:2048
	v_lshlrev_b32_e32 v1, 2, v23
	ds_write_b32 v1, v27 offset:2048
	s_waitcnt lgkmcnt(0)
	s_barrier
	s_and_saveexec_b64 s[2:3], s[0:1]
	s_cbranch_execz .LBB67_42
; %bb.39:
	s_cmp_lt_u32 s6, s30
	v_cmp_gt_i32_e32 vcc, s34, v22
	s_cselect_b64 s[0:1], -1, 0
	s_or_b64 s[0:1], vcc, s[0:1]
	s_and_b64 exec, exec, s[0:1]
	s_cbranch_execz .LBB67_42
; %bb.40:
	s_mul_i32 s0, s26, s15
	s_mul_hi_u32 s1, s26, s14
	s_add_i32 s0, s1, s0
	s_mul_i32 s1, s27, s14
	s_add_i32 s1, s0, s1
	s_mul_i32 s0, s26, s14
	s_lshl_b64 s[0:1], s[0:1], 2
	s_add_u32 s2, s19, s0
	s_waitcnt vmcnt(1)
	v_lshlrev_b32_e32 v4, 4, v22
	s_addc_u32 s3, s22, s1
	s_waitcnt vmcnt(0)
	v_or_b32_e32 v5, v0, v4
	v_mad_u64_u32 v[0:1], s[0:1], v22, s14, 0
	v_mov_b32_e32 v2, v1
	v_mad_u64_u32 v[2:3], s[0:1], v22, s15, v[2:3]
	v_mov_b32_e32 v1, v2
	v_lshlrev_b64 v[0:1], 2, v[0:1]
	v_mov_b32_e32 v2, s3
	v_add_co_u32_e32 v0, vcc, s2, v0
	v_addc_co_u32_e32 v1, vcc, v2, v1, vcc
	global_load_dword v3, v[0:1], off
	v_add_u32_e32 v6, 1, v22
	v_add_u32_e32 v7, 2, v22
	;; [unrolled: 1-line block ×7, first 2 shown]
	v_and_or_b32 v6, v6, 15, v4
	v_and_or_b32 v7, v7, 15, v4
	;; [unrolled: 1-line block ×7, first 2 shown]
	v_lshlrev_b32_e32 v2, 2, v5
	v_lshlrev_b32_e32 v6, 2, v6
	;; [unrolled: 1-line block ×8, first 2 shown]
	ds_read_b32 v2, v2 offset:2048
	ds_read_b32 v6, v6 offset:2048
	;; [unrolled: 1-line block ×8, first 2 shown]
	s_waitcnt lgkmcnt(7)
	v_add_f32_e32 v2, 0, v2
	s_waitcnt lgkmcnt(6)
	v_add_f32_e32 v2, v2, v6
	;; [unrolled: 2-line block ×8, first 2 shown]
	v_add_u32_e32 v6, 9, v22
	v_add_u32_e32 v7, 10, v22
	;; [unrolled: 1-line block ×6, first 2 shown]
	v_add_u32_e32 v12, -1, v22
	v_xor_b32_e32 v5, 8, v5
	v_and_or_b32 v6, v6, 15, v4
	v_and_or_b32 v7, v7, 15, v4
	;; [unrolled: 1-line block ×7, first 2 shown]
	v_lshlrev_b32_e32 v5, 2, v5
	v_lshlrev_b32_e32 v6, 2, v6
	;; [unrolled: 1-line block ×8, first 2 shown]
	ds_read_b32 v5, v5 offset:2048
	ds_read_b32 v6, v6 offset:2048
	;; [unrolled: 1-line block ×8, first 2 shown]
	s_waitcnt lgkmcnt(7)
	v_add_f32_e32 v2, v2, v5
	s_waitcnt lgkmcnt(6)
	v_add_f32_e32 v2, v2, v6
	s_waitcnt lgkmcnt(5)
	v_add_f32_e32 v2, v2, v7
	s_waitcnt lgkmcnt(4)
	v_add_f32_e32 v2, v2, v8
	s_waitcnt lgkmcnt(3)
	v_add_f32_e32 v2, v2, v9
	s_waitcnt lgkmcnt(2)
	v_add_f32_e32 v2, v2, v10
	s_waitcnt lgkmcnt(1)
	v_add_f32_e32 v2, v2, v11
	s_waitcnt lgkmcnt(0)
	v_add_f32_e32 v2, v2, v4
	v_mul_f32_e32 v4, s33, v2
	s_mov_b64 s[0:1], 0
.LBB67_41:                              ; =>This Inner Loop Header: Depth=1
	s_waitcnt vmcnt(0)
	v_add_f32_e32 v2, v3, v4
	global_atomic_cmpswap v2, v[0:1], v[2:3], off glc
	s_waitcnt vmcnt(0)
	v_cmp_eq_u32_e32 vcc, v2, v3
	s_or_b64 s[0:1], vcc, s[0:1]
	v_mov_b32_e32 v3, v2
	s_andn2_b64 exec, exec, s[0:1]
	s_cbranch_execnz .LBB67_41
.LBB67_42:
	s_endpgm
	.section	.rodata,"a",@progbits
	.p2align	6, 0x0
	.amdhsa_kernel _ZL62rocblas_symv_kernel_upper_double_buffered_non_diagonal_genericILi32ELi8ELi2ELi0E24rocblas_internal_val_ptrIfEPKfPfEvbiT3_lT4_lllS6_lllT5_lllii
		.amdhsa_group_segment_fixed_size 4224
		.amdhsa_private_segment_fixed_size 0
		.amdhsa_kernarg_size 384
		.amdhsa_user_sgpr_count 6
		.amdhsa_user_sgpr_private_segment_buffer 1
		.amdhsa_user_sgpr_dispatch_ptr 0
		.amdhsa_user_sgpr_queue_ptr 0
		.amdhsa_user_sgpr_kernarg_segment_ptr 1
		.amdhsa_user_sgpr_dispatch_id 0
		.amdhsa_user_sgpr_flat_scratch_init 0
		.amdhsa_user_sgpr_kernarg_preload_length 0
		.amdhsa_user_sgpr_kernarg_preload_offset 0
		.amdhsa_user_sgpr_private_segment_size 0
		.amdhsa_uses_dynamic_stack 0
		.amdhsa_system_sgpr_private_segment_wavefront_offset 0
		.amdhsa_system_sgpr_workgroup_id_x 1
		.amdhsa_system_sgpr_workgroup_id_y 1
		.amdhsa_system_sgpr_workgroup_id_z 1
		.amdhsa_system_sgpr_workgroup_info 0
		.amdhsa_system_vgpr_workitem_id 1
		.amdhsa_next_free_vgpr 41
		.amdhsa_next_free_sgpr 37
		.amdhsa_accum_offset 44
		.amdhsa_reserve_vcc 1
		.amdhsa_reserve_flat_scratch 0
		.amdhsa_float_round_mode_32 0
		.amdhsa_float_round_mode_16_64 0
		.amdhsa_float_denorm_mode_32 3
		.amdhsa_float_denorm_mode_16_64 3
		.amdhsa_dx10_clamp 1
		.amdhsa_ieee_mode 1
		.amdhsa_fp16_overflow 0
		.amdhsa_tg_split 0
		.amdhsa_exception_fp_ieee_invalid_op 0
		.amdhsa_exception_fp_denorm_src 0
		.amdhsa_exception_fp_ieee_div_zero 0
		.amdhsa_exception_fp_ieee_overflow 0
		.amdhsa_exception_fp_ieee_underflow 0
		.amdhsa_exception_fp_ieee_inexact 0
		.amdhsa_exception_int_div_zero 0
	.end_amdhsa_kernel
	.section	.text._ZL62rocblas_symv_kernel_upper_double_buffered_non_diagonal_genericILi32ELi8ELi2ELi0E24rocblas_internal_val_ptrIfEPKfPfEvbiT3_lT4_lllS6_lllT5_lllii,"axG",@progbits,_ZL62rocblas_symv_kernel_upper_double_buffered_non_diagonal_genericILi32ELi8ELi2ELi0E24rocblas_internal_val_ptrIfEPKfPfEvbiT3_lT4_lllS6_lllT5_lllii,comdat
.Lfunc_end67:
	.size	_ZL62rocblas_symv_kernel_upper_double_buffered_non_diagonal_genericILi32ELi8ELi2ELi0E24rocblas_internal_val_ptrIfEPKfPfEvbiT3_lT4_lllS6_lllT5_lllii, .Lfunc_end67-_ZL62rocblas_symv_kernel_upper_double_buffered_non_diagonal_genericILi32ELi8ELi2ELi0E24rocblas_internal_val_ptrIfEPKfPfEvbiT3_lT4_lllS6_lllT5_lllii
                                        ; -- End function
	.section	.AMDGPU.csdata,"",@progbits
; Kernel info:
; codeLenInByte = 2584
; NumSgprs: 41
; NumVgprs: 41
; NumAgprs: 0
; TotalNumVgprs: 41
; ScratchSize: 0
; MemoryBound: 0
; FloatMode: 240
; IeeeMode: 1
; LDSByteSize: 4224 bytes/workgroup (compile time only)
; SGPRBlocks: 5
; VGPRBlocks: 5
; NumSGPRsForWavesPerEU: 41
; NumVGPRsForWavesPerEU: 41
; AccumOffset: 44
; Occupancy: 8
; WaveLimiterHint : 0
; COMPUTE_PGM_RSRC2:SCRATCH_EN: 0
; COMPUTE_PGM_RSRC2:USER_SGPR: 6
; COMPUTE_PGM_RSRC2:TRAP_HANDLER: 0
; COMPUTE_PGM_RSRC2:TGID_X_EN: 1
; COMPUTE_PGM_RSRC2:TGID_Y_EN: 1
; COMPUTE_PGM_RSRC2:TGID_Z_EN: 1
; COMPUTE_PGM_RSRC2:TIDIG_COMP_CNT: 1
; COMPUTE_PGM_RSRC3_GFX90A:ACCUM_OFFSET: 10
; COMPUTE_PGM_RSRC3_GFX90A:TG_SPLIT: 0
	.section	.text._ZL62rocblas_symv_kernel_upper_double_buffered_non_diagonal_genericILi32ELi8ELi2ELi1E24rocblas_internal_val_ptrIfEPKfPfEvbiT3_lT4_lllS6_lllT5_lllii,"axG",@progbits,_ZL62rocblas_symv_kernel_upper_double_buffered_non_diagonal_genericILi32ELi8ELi2ELi1E24rocblas_internal_val_ptrIfEPKfPfEvbiT3_lT4_lllS6_lllT5_lllii,comdat
	.globl	_ZL62rocblas_symv_kernel_upper_double_buffered_non_diagonal_genericILi32ELi8ELi2ELi1E24rocblas_internal_val_ptrIfEPKfPfEvbiT3_lT4_lllS6_lllT5_lllii ; -- Begin function _ZL62rocblas_symv_kernel_upper_double_buffered_non_diagonal_genericILi32ELi8ELi2ELi1E24rocblas_internal_val_ptrIfEPKfPfEvbiT3_lT4_lllS6_lllT5_lllii
	.p2align	8
	.type	_ZL62rocblas_symv_kernel_upper_double_buffered_non_diagonal_genericILi32ELi8ELi2ELi1E24rocblas_internal_val_ptrIfEPKfPfEvbiT3_lT4_lllS6_lllT5_lllii,@function
_ZL62rocblas_symv_kernel_upper_double_buffered_non_diagonal_genericILi32ELi8ELi2ELi1E24rocblas_internal_val_ptrIfEPKfPfEvbiT3_lT4_lllS6_lllT5_lllii: ; @_ZL62rocblas_symv_kernel_upper_double_buffered_non_diagonal_genericILi32ELi8ELi2ELi1E24rocblas_internal_val_ptrIfEPKfPfEvbiT3_lT4_lllS6_lllT5_lllii
; %bb.0:
	s_load_dword s0, s[4:5], 0x0
	s_load_dwordx16 s[12:27], s[4:5], 0x8
	s_waitcnt lgkmcnt(0)
	s_bitcmp0_b32 s0, 0
	s_cbranch_scc0 .LBB68_2
; %bb.1:
	s_mul_i32 s0, s8, s15
	s_mul_hi_u32 s1, s8, s14
	s_add_i32 s1, s1, s0
	s_mul_i32 s0, s8, s14
	s_lshl_b64 s[0:1], s[0:1], 2
	s_add_u32 s0, s12, s0
	s_addc_u32 s1, s13, s1
	s_load_dword s33, s[0:1], 0x0
	s_cbranch_execz .LBB68_3
	s_branch .LBB68_4
.LBB68_2:
                                        ; implicit-def: $sgpr33
.LBB68_3:
	s_waitcnt lgkmcnt(0)
	s_mov_b32 s33, s12
.LBB68_4:
	s_waitcnt lgkmcnt(0)
	v_cmp_eq_f32_e64 s[0:1], s33, 0
	s_and_b64 vcc, exec, s[0:1]
	s_cbranch_vccnz .LBB68_66
; %bb.5:
	s_load_dword s2, s[4:5], 0x84
	s_add_u32 s0, s4, 0x80
	s_addc_u32 s1, s5, 0
	s_cmp_eq_u32 s6, 0
	s_waitcnt lgkmcnt(0)
	v_cvt_f32_u32_e32 v1, s2
	v_rcp_iflag_f32_e32 v1, v1
	v_mul_f32_e32 v1, 0x4f7ffffe, v1
	v_cvt_u32_f32_e32 v1, v1
	v_readfirstlane_b32 s3, v1
	s_cbranch_scc1 .LBB68_66
; %bb.6:
	s_sub_i32 s9, 0, s2
	s_mul_i32 s9, s9, s3
	s_mul_hi_u32 s9, s3, s9
	s_add_i32 s3, s3, s9
	s_mul_hi_u32 s3, s6, s3
	s_mul_i32 s9, s3, s2
	s_sub_i32 s9, s6, s9
	s_add_i32 s10, s3, 1
	s_sub_i32 s11, s9, s2
	s_cmp_ge_u32 s9, s2
	s_cselect_b32 s3, s10, s3
	s_cselect_b32 s9, s11, s9
	s_add_i32 s10, s3, 1
	s_cmp_ge_u32 s9, s2
	s_cselect_b32 s14, s10, s3
	s_add_i32 s3, s2, -1
	s_cmp_lg_u32 s7, s3
	s_mov_b32 s34, s14
	s_cbranch_scc1 .LBB68_8
; %bb.7:
	s_mul_i32 s2, s14, s2
	s_sub_i32 s2, s6, s2
	s_add_i32 s34, s2, s14
.LBB68_8:
	s_cmp_eq_u32 s34, 0
	s_cbranch_scc1 .LBB68_66
; %bb.9:
	s_load_dwordx4 s[28:31], s[4:5], 0x48
	v_and_b32_e32 v20, 0x3ff, v0
	v_bfe_u32 v0, v0, 10, 10
	v_lshl_add_u32 v1, v0, 5, v20
	s_waitcnt lgkmcnt(0)
	s_mul_i32 s3, s8, s31
	s_mul_hi_u32 s9, s8, s30
	s_mul_i32 s2, s8, s30
	s_add_i32 s3, s9, s3
	s_lshl_b64 s[2:3], s[2:3], 2
	s_add_u32 s9, s24, s2
	s_addc_u32 s10, s25, s3
	s_lshl_b64 s[2:3], s[26:27], 2
	s_add_u32 s9, s9, s2
	s_addc_u32 s35, s10, s3
	s_lshl_b32 s26, s6, 5
	s_ashr_i32 s27, s26, 31
	s_mul_i32 s2, s26, s29
	s_mul_hi_u32 s3, s26, s28
	s_load_dword s30, s[0:1], 0x0
	s_add_i32 s2, s3, s2
	s_mul_i32 s3, s27, s28
	s_add_i32 s3, s2, s3
	s_mul_i32 s2, s26, s28
	s_lshl_b64 s[0:1], s[2:3], 2
	s_add_u32 s15, s9, s0
	s_addc_u32 s24, s35, s1
	s_waitcnt lgkmcnt(0)
	s_add_i32 s30, s30, -1
	s_cmp_lg_u32 s6, s30
	s_cselect_b64 s[10:11], -1, 0
	v_cmp_eq_u32_e64 s[0:1], 0, v0
	s_mov_b64 s[2:3], -1
	s_and_b64 vcc, exec, s[10:11]
	s_cbranch_vccz .LBB68_13
; %bb.10:
	s_and_saveexec_b64 s[2:3], s[0:1]
	s_cbranch_execz .LBB68_12
; %bb.11:
	v_mad_u64_u32 v[2:3], s[12:13], v20, s28, 0
	v_mov_b32_e32 v0, v3
	v_mad_u64_u32 v[4:5], s[12:13], v20, s29, v[0:1]
	v_mov_b32_e32 v3, v4
	v_lshlrev_b64 v[2:3], 2, v[2:3]
	v_mov_b32_e32 v0, s24
	v_add_co_u32_e32 v2, vcc, s15, v2
	v_addc_co_u32_e32 v3, vcc, v0, v3, vcc
	global_load_dword v0, v[2:3], off
	v_lshlrev_b32_e32 v2, 2, v20
	s_waitcnt vmcnt(0)
	ds_write_b32 v2, v0 offset:4096
.LBB68_12:
	s_or_b64 exec, exec, s[2:3]
	s_mov_b64 s[2:3], 0
.LBB68_13:
	s_load_dword s31, s[4:5], 0x78
	v_and_b32_e32 v0, 15, v20
	s_andn2_b64 vcc, exec, s[2:3]
	v_lshrrev_b32_e32 v8, 4, v1
	s_cbranch_vccnz .LBB68_19
; %bb.14:
	s_and_saveexec_b64 s[2:3], s[0:1]
	s_cbranch_execz .LBB68_18
; %bb.15:
	s_waitcnt lgkmcnt(0)
	v_cmp_gt_i32_e32 vcc, s31, v20
	v_mov_b32_e32 v1, 0
	s_and_saveexec_b64 s[12:13], vcc
	s_cbranch_execz .LBB68_17
; %bb.16:
	v_mad_u64_u32 v[2:3], s[36:37], v20, s28, 0
	v_mov_b32_e32 v4, v3
	v_mad_u64_u32 v[4:5], s[36:37], v20, s29, v[4:5]
	v_mov_b32_e32 v3, v4
	v_lshlrev_b64 v[2:3], 2, v[2:3]
	v_mov_b32_e32 v1, s24
	v_add_co_u32_e32 v2, vcc, s15, v2
	v_addc_co_u32_e32 v3, vcc, v1, v3, vcc
	global_load_dword v1, v[2:3], off
.LBB68_17:
	s_or_b64 exec, exec, s[12:13]
	v_lshlrev_b32_e32 v2, 2, v20
	s_waitcnt vmcnt(0)
	ds_write_b32 v2, v1 offset:4096
.LBB68_18:
	s_or_b64 exec, exec, s[2:3]
	v_lshlrev_b32_e32 v1, 2, v0
	v_lshl_or_b32 v1, v8, 7, v1
	v_mov_b32_e32 v2, 0
	ds_write2_b32 v1, v2, v2 offset1:16
	v_add_u32_e32 v1, 0x800, v1
	ds_write2_b32 v1, v2, v2 offset1:16
.LBB68_19:
	s_waitcnt lgkmcnt(0)
	s_lshr_b32 s2, s31, 31
	s_add_i32 s2, s31, s2
	s_ashr_i32 s36, s2, 1
	s_mul_i32 s2, s8, s23
	s_mul_hi_u32 s3, s8, s22
	s_add_i32 s3, s3, s2
	s_mul_i32 s2, s8, s22
	s_lshl_b64 s[2:3], s[2:3], 2
	s_add_u32 s12, s16, s2
	s_addc_u32 s13, s17, s3
	s_lshl_b64 s[2:3], s[18:19], 2
	s_add_u32 s12, s12, s2
	s_addc_u32 s13, s13, s3
	s_mul_i32 s2, s26, s21
	s_mul_hi_u32 s3, s26, s20
	s_add_i32 s2, s3, s2
	s_mul_i32 s3, s27, s20
	s_add_i32 s3, s2, s3
	s_mul_i32 s2, s26, s20
	s_lshl_b64 s[2:3], s[2:3], 2
	s_add_u32 s12, s12, s2
	s_mul_i32 s7, s7, s14
	s_addc_u32 s13, s13, s3
	s_lshl_b32 s16, s7, 5
	s_ashr_i32 s17, s16, 31
	s_lshl_b64 s[2:3], s[16:17], 2
	s_add_u32 s7, s12, s2
	v_lshlrev_b32_e32 v9, 1, v8
	v_mov_b32_e32 v1, 0
	s_load_dwordx2 s[24:25], s[4:5], 0x58
	s_addc_u32 s22, s13, s3
	v_mad_u64_u32 v[2:3], s[2:3], v9, s20, v[0:1]
	v_mov_b32_e32 v4, v3
	v_mad_u64_u32 v[4:5], s[2:3], v9, s21, v[4:5]
	v_mov_b32_e32 v3, v4
	v_cndmask_b32_e64 v1, 0, 1, s[10:11]
	v_cmp_ne_u32_e64 s[2:3], 1, v1
	s_andn2_b64 vcc, exec, s[10:11]
	v_lshlrev_b64 v[2:3], 2, v[2:3]
	s_waitcnt lgkmcnt(0)
	s_barrier
	s_cbranch_vccnz .LBB68_21
; %bb.20:
	v_mov_b32_e32 v1, s22
	v_add_co_u32_e32 v6, vcc, s7, v2
	v_addc_co_u32_e32 v7, vcc, v1, v3, vcc
	s_lshl_b64 s[10:11], s[20:21], 2
	v_mov_b32_e32 v1, s11
	v_add_co_u32_e32 v10, vcc, s10, v6
	v_addc_co_u32_e32 v11, vcc, v7, v1, vcc
	global_load_dword v4, v[6:7], off
	global_load_dword v5, v[10:11], off
	v_cmp_le_i32_e64 s[10:11], s36, v8
	s_cbranch_execz .LBB68_22
	s_branch .LBB68_29
.LBB68_21:
                                        ; implicit-def: $vgpr4_vgpr5
	v_cmp_le_i32_e64 s[10:11], s36, v8
.LBB68_22:
                                        ; implicit-def: $vgpr4_vgpr5
	s_and_saveexec_b64 s[12:13], s[10:11]
	s_xor_b64 s[10:11], exec, s[12:13]
	s_cbranch_execz .LBB68_26
; %bb.23:
	s_mov_b32 s12, 0
	s_mov_b32 s13, s12
	v_cmp_eq_u32_e32 vcc, s36, v8
	s_waitcnt vmcnt(0)
	v_pk_mov_b32 v[4:5], s[12:13], s[12:13] op_sel:[0,1]
	s_and_saveexec_b64 s[12:13], vcc
	s_cbranch_execz .LBB68_25
; %bb.24:
	v_mov_b32_e32 v1, s22
	v_add_co_u32_e32 v4, vcc, s7, v2
	v_addc_co_u32_e32 v5, vcc, v1, v3, vcc
	global_load_dword v4, v[4:5], off
	v_mov_b32_e32 v5, 0
.LBB68_25:
	s_or_b64 exec, exec, s[12:13]
.LBB68_26:
	s_andn2_saveexec_b64 s[10:11], s[10:11]
	s_cbranch_execz .LBB68_28
; %bb.27:
	v_mov_b32_e32 v1, s22
	v_add_co_u32_e32 v6, vcc, s7, v2
	v_addc_co_u32_e32 v7, vcc, v1, v3, vcc
	s_lshl_b64 s[12:13], s[20:21], 2
	v_mov_b32_e32 v1, s13
	v_add_co_u32_e32 v10, vcc, s12, v6
	v_addc_co_u32_e32 v11, vcc, v7, v1, vcc
	global_load_dword v4, v[6:7], off
	global_load_dword v5, v[10:11], off
.LBB68_28:
	s_or_b64 exec, exec, s[10:11]
.LBB68_29:
	s_load_dwordx2 s[10:11], s[4:5], 0x70
	s_load_dwordx4 s[12:15], s[4:5], 0x60
	v_lshl_or_b32 v1, v8, 5, v0
	s_waitcnt lgkmcnt(0)
	s_mul_i32 s5, s8, s11
	s_mul_hi_u32 s11, s8, s10
	s_mul_i32 s4, s8, s10
	s_add_i32 s5, s11, s5
	s_lshl_b64 s[4:5], s[4:5], 2
	s_add_u32 s8, s24, s4
	s_addc_u32 s10, s25, s5
	s_lshl_b64 s[4:5], s[12:13], 2
	s_add_u32 s23, s8, s4
	s_addc_u32 s24, s10, s5
	s_mov_b32 s8, 0
	s_cmp_gt_i32 s34, 0
	s_cbranch_scc1 .LBB68_31
; %bb.30:
	v_lshl_or_b32 v6, v8, 5, v0
	v_or_b32_e32 v21, 16, v6
	v_mov_b32_e32 v25, s8
	v_mov_b32_e32 v22, s8
	s_cbranch_execz .LBB68_32
	s_branch .LBB68_62
.LBB68_31:
                                        ; implicit-def: $sgpr8
                                        ; implicit-def: $vgpr6
                                        ; implicit-def: $vgpr21
	v_mov_b32_e32 v25, s8
	v_mov_b32_e32 v22, s8
.LBB68_32:
	v_mad_u64_u32 v[6:7], s[4:5], v0, s28, 0
	v_mov_b32_e32 v10, v7
	v_mad_u64_u32 v[10:11], s[4:5], v0, s29, v[10:11]
	s_mul_i32 s4, s16, s29
	s_mul_hi_u32 s5, s16, s28
	s_add_i32 s4, s5, s4
	s_mul_i32 s5, s17, s28
	s_add_i32 s5, s4, s5
	s_mul_i32 s4, s16, s28
	s_lshl_b64 s[4:5], s[4:5], 2
	v_mov_b32_e32 v7, v10
	s_add_u32 s25, s9, s4
	s_addc_u32 s35, s35, s5
	v_lshlrev_b64 v[6:7], 2, v[6:7]
	v_mov_b32_e32 v11, s35
	v_add_co_u32_e32 v10, vcc, s25, v6
	v_addc_co_u32_e32 v11, vcc, v11, v7, vcc
	global_load_dword v23, v[10:11], off
	s_mul_i32 s4, s16, s15
	s_mul_hi_u32 s5, s16, s14
	s_add_i32 s4, s5, s4
	s_mul_i32 s5, s17, s14
	s_add_i32 s5, s4, s5
	s_mul_i32 s4, s16, s14
	s_lshl_b64 s[4:5], s[4:5], 2
	s_add_u32 s16, s23, s4
	v_or_b32_e32 v13, 16, v0
	s_addc_u32 s17, s24, s5
	v_mad_u64_u32 v[10:11], s[4:5], v13, s28, 0
	v_mov_b32_e32 v12, v11
	v_mad_u64_u32 v[12:13], s[4:5], v13, s29, v[12:13]
	v_mov_b32_e32 v11, v12
	v_mad_u64_u32 v[12:13], s[12:13], v20, s14, 0
	v_cmp_le_i32_e64 s[4:5], s36, v8
	v_cmp_eq_u32_e64 s[8:9], s36, v8
	v_mov_b32_e32 v8, v13
	v_mad_u64_u32 v[14:15], s[12:13], v20, s15, v[8:9]
	v_mov_b32_e32 v13, v14
	v_mov_b32_e32 v8, 0x1000
	s_lshl_b64 s[10:11], s[28:29], 7
	s_add_i32 s28, s34, -1
	v_lshlrev_b32_e32 v24, 2, v1
	v_or_b32_e32 v21, 16, v1
	s_lshl_b64 s[12:13], s[14:15], 7
	v_lshl_add_u32 v26, v9, 2, v8
	v_lshlrev_b32_e32 v27, 2, v20
	s_mov_b32 s29, 0
	v_pk_mov_b32 v[8:9], s[16:17], s[16:17] op_sel:[0,1]
	v_mov_b32_e32 v22, 0
	v_lshlrev_b64 v[10:11], 2, v[10:11]
	s_lshl_b64 s[16:17], s[20:21], 2
	v_lshlrev_b64 v[12:13], 2, v[12:13]
	v_mov_b32_e32 v25, 0
	v_mov_b32_e32 v15, 0
	;; [unrolled: 1-line block ×3, first 2 shown]
.LBB68_33:                              ; =>This Loop Header: Depth=1
                                        ;     Child Loop BB68_57 Depth 2
	v_mov_b32_e32 v17, s35
	v_add_co_u32_e32 v16, vcc, s25, v10
	v_addc_co_u32_e32 v17, vcc, v17, v11, vcc
	global_load_dword v28, v[16:17], off
	s_and_b64 vcc, exec, s[2:3]
	s_cbranch_vccnz .LBB68_35
; %bb.34:                               ;   in Loop: Header=BB68_33 Depth=1
	v_mov_b32_e32 v17, s22
	v_add_co_u32_e32 v16, vcc, s7, v2
	v_addc_co_u32_e32 v17, vcc, v17, v3, vcc
	v_mov_b32_e32 v19, s17
	v_add_co_u32_e32 v18, vcc, s16, v16
	v_addc_co_u32_e32 v19, vcc, v17, v19, vcc
	global_load_dword v29, v[16:17], off offset:64
	global_load_dword v30, v[18:19], off offset:64
	s_cbranch_execz .LBB68_36
	s_branch .LBB68_43
.LBB68_35:                              ;   in Loop: Header=BB68_33 Depth=1
                                        ; implicit-def: $vgpr30
                                        ; implicit-def: $vgpr29
.LBB68_36:                              ;   in Loop: Header=BB68_33 Depth=1
	s_and_saveexec_b64 s[18:19], s[4:5]
	s_xor_b64 s[18:19], exec, s[18:19]
	s_cbranch_execz .LBB68_40
; %bb.37:                               ;   in Loop: Header=BB68_33 Depth=1
	s_and_saveexec_b64 s[20:21], s[8:9]
	s_cbranch_execz .LBB68_39
; %bb.38:                               ;   in Loop: Header=BB68_33 Depth=1
	v_mov_b32_e32 v15, s22
	v_add_co_u32_e32 v16, vcc, s7, v2
	v_addc_co_u32_e32 v17, vcc, v15, v3, vcc
	global_load_dword v15, v[16:17], off offset:64
.LBB68_39:                              ;   in Loop: Header=BB68_33 Depth=1
	s_or_b64 exec, exec, s[20:21]
.LBB68_40:                              ;   in Loop: Header=BB68_33 Depth=1
	s_andn2_saveexec_b64 s[18:19], s[18:19]
	s_cbranch_execz .LBB68_42
; %bb.41:                               ;   in Loop: Header=BB68_33 Depth=1
	v_mov_b32_e32 v14, s22
	v_add_co_u32_e32 v16, vcc, s7, v2
	v_addc_co_u32_e32 v17, vcc, v14, v3, vcc
	v_mov_b32_e32 v14, s17
	v_add_co_u32_e32 v18, vcc, s16, v16
	v_addc_co_u32_e32 v19, vcc, v17, v14, vcc
	global_load_dword v15, v[16:17], off offset:64
	global_load_dword v14, v[18:19], off offset:64
.LBB68_42:                              ;   in Loop: Header=BB68_33 Depth=1
	s_or_b64 exec, exec, s[18:19]
	s_waitcnt vmcnt(0)
	v_mov_b32_e32 v29, v15
	v_mov_b32_e32 v30, v14
.LBB68_43:                              ;   in Loop: Header=BB68_33 Depth=1
	ds_read_b64 v[16:17], v26
	s_add_u32 s25, s25, s10
	s_addc_u32 s35, s35, s11
	s_cmp_eq_u32 s29, s28
	s_waitcnt vmcnt(1)
	v_mov_b32_e32 v31, v23
	v_pk_mov_b32 v[14:15], v[4:5], v[4:5] op_sel:[0,1]
	s_cbranch_scc1 .LBB68_55
; %bb.44:                               ;   in Loop: Header=BB68_33 Depth=1
	s_and_b64 vcc, exec, s[2:3]
	s_cbranch_vccnz .LBB68_46
; %bb.45:                               ;   in Loop: Header=BB68_33 Depth=1
	v_mov_b32_e32 v14, s22
	v_add_co_u32_e32 v18, vcc, s7, v2
	v_addc_co_u32_e32 v19, vcc, v14, v3, vcc
	v_mov_b32_e32 v14, s17
	v_add_co_u32_e32 v32, vcc, s16, v18
	v_addc_co_u32_e32 v33, vcc, v19, v14, vcc
	global_load_dword v14, v[18:19], off offset:128
	global_load_dword v15, v[32:33], off offset:128
	s_cbranch_execz .LBB68_47
	s_branch .LBB68_54
.LBB68_46:                              ;   in Loop: Header=BB68_33 Depth=1
                                        ; implicit-def: $vgpr14_vgpr15
.LBB68_47:                              ;   in Loop: Header=BB68_33 Depth=1
                                        ; implicit-def: $vgpr14_vgpr15
	s_and_saveexec_b64 s[18:19], s[4:5]
	s_xor_b64 s[18:19], exec, s[18:19]
	s_cbranch_execz .LBB68_51
; %bb.48:                               ;   in Loop: Header=BB68_33 Depth=1
	s_waitcnt vmcnt(0)
	v_pk_mov_b32 v[14:15], v[4:5], v[4:5] op_sel:[0,1]
	s_and_saveexec_b64 s[20:21], s[8:9]
	s_cbranch_execz .LBB68_50
; %bb.49:                               ;   in Loop: Header=BB68_33 Depth=1
	v_mov_b32_e32 v15, s22
	v_add_co_u32_e32 v14, vcc, s7, v2
	v_addc_co_u32_e32 v15, vcc, v15, v3, vcc
	global_load_dword v14, v[14:15], off offset:128
	v_mov_b32_e32 v15, v5
.LBB68_50:                              ;   in Loop: Header=BB68_33 Depth=1
	s_or_b64 exec, exec, s[20:21]
.LBB68_51:                              ;   in Loop: Header=BB68_33 Depth=1
	s_andn2_saveexec_b64 s[18:19], s[18:19]
	s_cbranch_execz .LBB68_53
; %bb.52:                               ;   in Loop: Header=BB68_33 Depth=1
	s_waitcnt vmcnt(0)
	v_mov_b32_e32 v14, s22
	v_add_co_u32_e32 v18, vcc, s7, v2
	v_addc_co_u32_e32 v19, vcc, v14, v3, vcc
	v_mov_b32_e32 v14, s17
	v_add_co_u32_e32 v32, vcc, s16, v18
	v_addc_co_u32_e32 v33, vcc, v19, v14, vcc
	global_load_dword v14, v[18:19], off offset:128
	global_load_dword v15, v[32:33], off offset:128
.LBB68_53:                              ;   in Loop: Header=BB68_33 Depth=1
	s_or_b64 exec, exec, s[18:19]
.LBB68_54:                              ;   in Loop: Header=BB68_33 Depth=1
	v_mov_b32_e32 v19, s35
	v_add_co_u32_e32 v18, vcc, s25, v6
	v_addc_co_u32_e32 v19, vcc, v19, v7, vcc
	global_load_dword v31, v[18:19], off
.LBB68_55:                              ;   in Loop: Header=BB68_33 Depth=1
	s_waitcnt lgkmcnt(0)
	v_fma_f32 v18, v4, v16, 0
	v_fma_f32 v16, v29, v16, 0
	v_fmac_f32_e32 v18, v5, v17
	s_waitcnt vmcnt(0)
	v_fmac_f32_e32 v16, v30, v17
	s_barrier
	ds_write2_b32 v24, v18, v16 offset1:16
	s_waitcnt lgkmcnt(0)
	s_barrier
	s_and_saveexec_b64 s[18:19], s[0:1]
	s_cbranch_execz .LBB68_59
; %bb.56:                               ;   in Loop: Header=BB68_33 Depth=1
	v_add_co_u32_e32 v16, vcc, v8, v12
	v_addc_co_u32_e32 v17, vcc, v9, v13, vcc
	global_load_dword v19, v[16:17], off
	ds_read2_b32 v[32:33], v27 offset1:32
	ds_read2_b32 v[34:35], v27 offset0:64 offset1:96
	ds_read2_b32 v[36:37], v27 offset0:128 offset1:160
	v_add_u32_e32 v38, 0x400, v27
	s_mov_b64 s[20:21], 0
	s_waitcnt lgkmcnt(2)
	v_add_f32_e32 v18, 0, v32
	v_add_f32_e32 v18, v18, v33
	ds_read2_b32 v[32:33], v27 offset0:192 offset1:224
	s_waitcnt lgkmcnt(2)
	v_add_f32_e32 v18, v18, v34
	v_add_f32_e32 v18, v18, v35
	s_waitcnt lgkmcnt(1)
	v_add_f32_e32 v18, v18, v36
	ds_read2_b32 v[34:35], v38 offset1:32
	v_add_f32_e32 v18, v18, v37
	s_waitcnt lgkmcnt(1)
	v_add_f32_e32 v18, v18, v32
	v_add_f32_e32 v18, v18, v33
	ds_read2_b32 v[32:33], v38 offset0:64 offset1:96
	ds_read2_b32 v[36:37], v38 offset0:128 offset1:160
	s_waitcnt lgkmcnt(2)
	v_add_f32_e32 v18, v18, v34
	v_add_f32_e32 v18, v18, v35
	ds_read2_b32 v[34:35], v38 offset0:192 offset1:224
	s_waitcnt lgkmcnt(2)
	v_add_f32_e32 v18, v18, v32
	v_add_f32_e32 v18, v18, v33
	s_waitcnt lgkmcnt(1)
	v_add_f32_e32 v18, v18, v36
	v_add_f32_e32 v18, v18, v37
	;; [unrolled: 3-line block ×3, first 2 shown]
	v_mul_f32_e32 v32, s33, v18
.LBB68_57:                              ;   Parent Loop BB68_33 Depth=1
                                        ; =>  This Inner Loop Header: Depth=2
	s_waitcnt vmcnt(0)
	v_add_f32_e32 v18, v19, v32
	global_atomic_cmpswap v18, v[16:17], v[18:19], off glc
	s_waitcnt vmcnt(0)
	v_cmp_eq_u32_e32 vcc, v18, v19
	s_or_b64 s[20:21], vcc, s[20:21]
	v_mov_b32_e32 v19, v18
	s_andn2_b64 exec, exec, s[20:21]
	s_cbranch_execnz .LBB68_57
; %bb.58:                               ;   in Loop: Header=BB68_33 Depth=1
	s_or_b64 exec, exec, s[20:21]
	v_mov_b32_e32 v16, s13
	v_add_co_u32_e32 v8, vcc, s12, v8
	v_addc_co_u32_e32 v9, vcc, v9, v16, vcc
.LBB68_59:                              ;   in Loop: Header=BB68_33 Depth=1
	s_or_b64 exec, exec, s[18:19]
	s_add_u32 s7, s7, 0x80
	v_fmac_f32_e32 v22, v23, v4
	v_fmac_f32_e32 v25, v23, v5
	s_addc_u32 s22, s22, 0
	s_add_i32 s29, s29, 1
	v_fmac_f32_e32 v22, v28, v29
	v_fmac_f32_e32 v25, v28, v30
	s_cmp_eq_u32 s29, s34
	s_cbranch_scc1 .LBB68_61
; %bb.60:                               ;   in Loop: Header=BB68_33 Depth=1
	v_mov_b32_e32 v23, v31
	v_pk_mov_b32 v[4:5], v[14:15], v[14:15] op_sel:[0,1]
	v_mov_b32_e32 v15, v29
	v_mov_b32_e32 v14, v30
	s_branch .LBB68_33
.LBB68_61:
	v_mov_b32_e32 v6, v1
.LBB68_62:
	v_lshlrev_b32_e32 v1, 2, v6
	ds_write_b32 v1, v22 offset:2048
	v_lshlrev_b32_e32 v1, 2, v21
	ds_write_b32 v1, v25 offset:2048
	s_waitcnt lgkmcnt(0)
	s_barrier
	s_and_saveexec_b64 s[2:3], s[0:1]
	s_cbranch_execz .LBB68_66
; %bb.63:
	s_cmp_lt_u32 s6, s30
	v_cmp_gt_i32_e32 vcc, s31, v20
	s_cselect_b64 s[0:1], -1, 0
	s_or_b64 s[0:1], vcc, s[0:1]
	s_and_b64 exec, exec, s[0:1]
	s_cbranch_execz .LBB68_66
; %bb.64:
	s_mul_i32 s0, s26, s15
	s_mul_hi_u32 s1, s26, s14
	s_add_i32 s0, s1, s0
	s_mul_i32 s1, s27, s14
	s_add_i32 s1, s0, s1
	s_mul_i32 s0, s26, s14
	s_lshl_b64 s[0:1], s[0:1], 2
	s_add_u32 s2, s23, s0
	s_waitcnt vmcnt(0)
	v_lshlrev_b32_e32 v4, 4, v20
	s_addc_u32 s3, s24, s1
	v_or_b32_e32 v5, v0, v4
	v_mad_u64_u32 v[0:1], s[0:1], v20, s14, 0
	v_mov_b32_e32 v2, v1
	v_mad_u64_u32 v[2:3], s[0:1], v20, s15, v[2:3]
	v_mov_b32_e32 v1, v2
	v_lshlrev_b64 v[0:1], 2, v[0:1]
	v_mov_b32_e32 v2, s3
	v_add_co_u32_e32 v0, vcc, s2, v0
	v_addc_co_u32_e32 v1, vcc, v2, v1, vcc
	global_load_dword v3, v[0:1], off
	v_add_u32_e32 v6, 1, v20
	v_add_u32_e32 v7, 2, v20
	;; [unrolled: 1-line block ×7, first 2 shown]
	v_and_or_b32 v6, v6, 15, v4
	v_and_or_b32 v7, v7, 15, v4
	;; [unrolled: 1-line block ×7, first 2 shown]
	v_lshlrev_b32_e32 v2, 2, v5
	v_lshlrev_b32_e32 v6, 2, v6
	;; [unrolled: 1-line block ×8, first 2 shown]
	ds_read_b32 v2, v2 offset:2048
	ds_read_b32 v6, v6 offset:2048
	ds_read_b32 v7, v7 offset:2048
	ds_read_b32 v8, v8 offset:2048
	ds_read_b32 v9, v9 offset:2048
	ds_read_b32 v10, v10 offset:2048
	ds_read_b32 v11, v11 offset:2048
	ds_read_b32 v12, v12 offset:2048
	s_waitcnt lgkmcnt(7)
	v_add_f32_e32 v2, 0, v2
	s_waitcnt lgkmcnt(6)
	v_add_f32_e32 v2, v2, v6
	;; [unrolled: 2-line block ×8, first 2 shown]
	v_add_u32_e32 v6, 9, v20
	v_add_u32_e32 v7, 10, v20
	;; [unrolled: 1-line block ×6, first 2 shown]
	v_add_u32_e32 v12, -1, v20
	v_xor_b32_e32 v5, 8, v5
	v_and_or_b32 v6, v6, 15, v4
	v_and_or_b32 v7, v7, 15, v4
	;; [unrolled: 1-line block ×7, first 2 shown]
	v_lshlrev_b32_e32 v5, 2, v5
	v_lshlrev_b32_e32 v6, 2, v6
	;; [unrolled: 1-line block ×8, first 2 shown]
	ds_read_b32 v5, v5 offset:2048
	ds_read_b32 v6, v6 offset:2048
	;; [unrolled: 1-line block ×8, first 2 shown]
	s_waitcnt lgkmcnt(7)
	v_add_f32_e32 v2, v2, v5
	s_waitcnt lgkmcnt(6)
	v_add_f32_e32 v2, v2, v6
	s_waitcnt lgkmcnt(5)
	v_add_f32_e32 v2, v2, v7
	s_waitcnt lgkmcnt(4)
	v_add_f32_e32 v2, v2, v8
	s_waitcnt lgkmcnt(3)
	v_add_f32_e32 v2, v2, v9
	s_waitcnt lgkmcnt(2)
	v_add_f32_e32 v2, v2, v10
	s_waitcnt lgkmcnt(1)
	v_add_f32_e32 v2, v2, v11
	s_waitcnt lgkmcnt(0)
	v_add_f32_e32 v2, v2, v4
	v_mul_f32_e32 v4, s33, v2
	s_mov_b64 s[0:1], 0
.LBB68_65:                              ; =>This Inner Loop Header: Depth=1
	s_waitcnt vmcnt(0)
	v_add_f32_e32 v2, v3, v4
	global_atomic_cmpswap v2, v[0:1], v[2:3], off glc
	s_waitcnt vmcnt(0)
	v_cmp_eq_u32_e32 vcc, v2, v3
	s_or_b64 s[0:1], vcc, s[0:1]
	v_mov_b32_e32 v3, v2
	s_andn2_b64 exec, exec, s[0:1]
	s_cbranch_execnz .LBB68_65
.LBB68_66:
	s_endpgm
	.section	.rodata,"a",@progbits
	.p2align	6, 0x0
	.amdhsa_kernel _ZL62rocblas_symv_kernel_upper_double_buffered_non_diagonal_genericILi32ELi8ELi2ELi1E24rocblas_internal_val_ptrIfEPKfPfEvbiT3_lT4_lllS6_lllT5_lllii
		.amdhsa_group_segment_fixed_size 4224
		.amdhsa_private_segment_fixed_size 0
		.amdhsa_kernarg_size 384
		.amdhsa_user_sgpr_count 6
		.amdhsa_user_sgpr_private_segment_buffer 1
		.amdhsa_user_sgpr_dispatch_ptr 0
		.amdhsa_user_sgpr_queue_ptr 0
		.amdhsa_user_sgpr_kernarg_segment_ptr 1
		.amdhsa_user_sgpr_dispatch_id 0
		.amdhsa_user_sgpr_flat_scratch_init 0
		.amdhsa_user_sgpr_kernarg_preload_length 0
		.amdhsa_user_sgpr_kernarg_preload_offset 0
		.amdhsa_user_sgpr_private_segment_size 0
		.amdhsa_uses_dynamic_stack 0
		.amdhsa_system_sgpr_private_segment_wavefront_offset 0
		.amdhsa_system_sgpr_workgroup_id_x 1
		.amdhsa_system_sgpr_workgroup_id_y 1
		.amdhsa_system_sgpr_workgroup_id_z 1
		.amdhsa_system_sgpr_workgroup_info 0
		.amdhsa_system_vgpr_workitem_id 1
		.amdhsa_next_free_vgpr 39
		.amdhsa_next_free_sgpr 38
		.amdhsa_accum_offset 40
		.amdhsa_reserve_vcc 1
		.amdhsa_reserve_flat_scratch 0
		.amdhsa_float_round_mode_32 0
		.amdhsa_float_round_mode_16_64 0
		.amdhsa_float_denorm_mode_32 3
		.amdhsa_float_denorm_mode_16_64 3
		.amdhsa_dx10_clamp 1
		.amdhsa_ieee_mode 1
		.amdhsa_fp16_overflow 0
		.amdhsa_tg_split 0
		.amdhsa_exception_fp_ieee_invalid_op 0
		.amdhsa_exception_fp_denorm_src 0
		.amdhsa_exception_fp_ieee_div_zero 0
		.amdhsa_exception_fp_ieee_overflow 0
		.amdhsa_exception_fp_ieee_underflow 0
		.amdhsa_exception_fp_ieee_inexact 0
		.amdhsa_exception_int_div_zero 0
	.end_amdhsa_kernel
	.section	.text._ZL62rocblas_symv_kernel_upper_double_buffered_non_diagonal_genericILi32ELi8ELi2ELi1E24rocblas_internal_val_ptrIfEPKfPfEvbiT3_lT4_lllS6_lllT5_lllii,"axG",@progbits,_ZL62rocblas_symv_kernel_upper_double_buffered_non_diagonal_genericILi32ELi8ELi2ELi1E24rocblas_internal_val_ptrIfEPKfPfEvbiT3_lT4_lllS6_lllT5_lllii,comdat
.Lfunc_end68:
	.size	_ZL62rocblas_symv_kernel_upper_double_buffered_non_diagonal_genericILi32ELi8ELi2ELi1E24rocblas_internal_val_ptrIfEPKfPfEvbiT3_lT4_lllS6_lllT5_lllii, .Lfunc_end68-_ZL62rocblas_symv_kernel_upper_double_buffered_non_diagonal_genericILi32ELi8ELi2ELi1E24rocblas_internal_val_ptrIfEPKfPfEvbiT3_lT4_lllS6_lllT5_lllii
                                        ; -- End function
	.section	.AMDGPU.csdata,"",@progbits
; Kernel info:
; codeLenInByte = 2960
; NumSgprs: 42
; NumVgprs: 39
; NumAgprs: 0
; TotalNumVgprs: 39
; ScratchSize: 0
; MemoryBound: 0
; FloatMode: 240
; IeeeMode: 1
; LDSByteSize: 4224 bytes/workgroup (compile time only)
; SGPRBlocks: 5
; VGPRBlocks: 4
; NumSGPRsForWavesPerEU: 42
; NumVGPRsForWavesPerEU: 39
; AccumOffset: 40
; Occupancy: 8
; WaveLimiterHint : 0
; COMPUTE_PGM_RSRC2:SCRATCH_EN: 0
; COMPUTE_PGM_RSRC2:USER_SGPR: 6
; COMPUTE_PGM_RSRC2:TRAP_HANDLER: 0
; COMPUTE_PGM_RSRC2:TGID_X_EN: 1
; COMPUTE_PGM_RSRC2:TGID_Y_EN: 1
; COMPUTE_PGM_RSRC2:TGID_Z_EN: 1
; COMPUTE_PGM_RSRC2:TIDIG_COMP_CNT: 1
; COMPUTE_PGM_RSRC3_GFX90A:ACCUM_OFFSET: 9
; COMPUTE_PGM_RSRC3_GFX90A:TG_SPLIT: 0
	.section	.text._ZL26rocblas_hemvn_kernel_upperILb0ELi64ELi4ELi33ELi32ELi16ElPKfS1_PfEviT6_lT7_lT5_lS4_lS5_lS3_lT8_i,"axG",@progbits,_ZL26rocblas_hemvn_kernel_upperILb0ELi64ELi4ELi33ELi32ELi16ElPKfS1_PfEviT6_lT7_lT5_lS4_lS5_lS3_lT8_i,comdat
	.globl	_ZL26rocblas_hemvn_kernel_upperILb0ELi64ELi4ELi33ELi32ELi16ElPKfS1_PfEviT6_lT7_lT5_lS4_lS5_lS3_lT8_i ; -- Begin function _ZL26rocblas_hemvn_kernel_upperILb0ELi64ELi4ELi33ELi32ELi16ElPKfS1_PfEviT6_lT7_lT5_lS4_lS5_lS3_lT8_i
	.p2align	8
	.type	_ZL26rocblas_hemvn_kernel_upperILb0ELi64ELi4ELi33ELi32ELi16ElPKfS1_PfEviT6_lT7_lT5_lS4_lS5_lS3_lT8_i,@function
_ZL26rocblas_hemvn_kernel_upperILb0ELi64ELi4ELi33ELi32ELi16ElPKfS1_PfEviT6_lT7_lT5_lS4_lS5_lS3_lT8_i: ; @_ZL26rocblas_hemvn_kernel_upperILb0ELi64ELi4ELi33ELi32ELi16ElPKfS1_PfEviT6_lT7_lT5_lS4_lS5_lS3_lT8_i
; %bb.0:
	s_load_dwordx2 s[2:3], s[4:5], 0x84
	s_add_u32 s0, s4, 0x78
	s_addc_u32 s1, s5, 0
	s_waitcnt lgkmcnt(0)
	s_lshr_b32 s8, s2, 16
	s_and_b32 s2, s2, 0xffff
	s_and_b32 s3, s3, 0xffff
	s_mul_i32 s2, s8, s2
	s_mul_i32 s2, s2, s3
	s_cmpk_lg_i32 s2, 0x100
	s_cbranch_scc1 .LBB69_126
; %bb.1:
	s_load_dwordx16 s[8:23], s[4:5], 0x8
	s_load_dwordx8 s[24:31], s[4:5], 0x48
	s_waitcnt lgkmcnt(0)
	s_mul_i32 s3, s7, s11
	s_mul_hi_u32 s11, s7, s10
	s_mul_i32 s2, s7, s10
	s_add_i32 s3, s11, s3
	s_lshl_b64 s[2:3], s[2:3], 2
	s_add_u32 s2, s8, s2
	s_addc_u32 s3, s9, s3
	s_mul_i32 s10, s7, s31
	s_load_dword s8, s[2:3], 0x0
	s_mul_hi_u32 s2, s7, s30
	s_add_i32 s3, s2, s10
	s_mul_i32 s2, s7, s30
	s_lshl_b64 s[2:3], s[2:3], 2
	s_add_u32 s2, s28, s2
	s_addc_u32 s3, s29, s3
	s_load_dword s9, s[2:3], 0x0
	s_waitcnt lgkmcnt(0)
	v_cmp_eq_f32_e64 s[2:3], s8, 0
	v_cmp_eq_f32_e64 s[8:9], s9, 1.0
	s_and_b64 s[8:9], s[2:3], s[8:9]
	s_and_b64 vcc, exec, s[8:9]
	s_cbranch_vccnz .LBB69_126
; %bb.2:
	s_and_b64 vcc, exec, s[2:3]
	s_cbranch_vccnz .LBB69_126
; %bb.3:
	s_load_dword s33, s[0:1], 0x0
	s_load_dwordx2 s[28:29], s[4:5], 0x68
	s_load_dword s39, s[4:5], 0x0
	s_mul_i32 s0, s7, s27
	s_mul_hi_u32 s1, s7, s26
	s_add_i32 s1, s1, s0
	s_mul_i32 s0, s7, s26
	s_lshl_b64 s[0:1], s[0:1], 2
	s_add_u32 s2, s20, s0
	s_addc_u32 s3, s21, s1
	s_lshl_b64 s[0:1], s[22:23], 2
	s_add_u32 s2, s2, s0
	s_addc_u32 s3, s3, s1
	s_waitcnt lgkmcnt(0)
	s_ashr_i32 s40, s39, 31
	s_lshr_b32 s1, s40, 26
	v_and_b32_e32 v50, 0x3ff, v0
	s_lshl_b32 s22, s6, 6
	s_add_i32 s1, s39, s1
	s_andn2_b32 s1, s1, 63
	v_add_u32_e32 v4, s22, v50
	s_add_i32 s0, s33, -1
	s_sub_i32 s38, s39, s1
	v_ashrrev_i32_e32 v5, 31, v4
	v_bfe_u32 v51, v0, 10, 10
	s_cmp_eq_u32 s6, s0
	v_mul_lo_u32 v2, v5, s24
	v_mul_lo_u32 v3, v4, s25
	v_mad_u64_u32 v[0:1], s[0:1], v4, s24, 0
	v_add3_u32 v1, v1, v3, v2
	v_lshlrev_b64 v[0:1], 2, v[0:1]
	v_mov_b32_e32 v2, s3
	v_add_co_u32_e32 v8, vcc, s2, v0
	s_cselect_b32 s20, s38, 0
	v_addc_co_u32_e32 v9, vcc, v2, v1, vcc
	v_cmp_eq_u32_e64 s[0:1], 0, v51
	s_and_saveexec_b64 s[2:3], s[0:1]
	s_cbranch_execz .LBB69_7
; %bb.4:
	s_cmp_eq_u32 s20, 0
	s_cselect_b64 s[4:5], -1, 0
	v_cmp_gt_i32_e32 vcc, s20, v50
	s_or_b64 s[8:9], s[4:5], vcc
	v_mov_b32_e32 v0, 0
	s_and_saveexec_b64 s[4:5], s[8:9]
	s_cbranch_execz .LBB69_6
; %bb.5:
	global_load_dword v0, v[8:9], off
.LBB69_6:
	s_or_b64 exec, exec, s[4:5]
	v_lshlrev_b32_e32 v1, 2, v50
	s_waitcnt vmcnt(0)
	ds_write_b32 v1, v0 offset:4544
.LBB69_7:
	s_or_b64 exec, exec, s[2:3]
	s_mul_i32 s2, s7, s19
	s_mul_hi_u32 s3, s7, s18
	s_add_i32 s3, s3, s2
	s_mul_i32 s2, s7, s18
	s_lshl_b64 s[2:3], s[2:3], 2
	s_add_u32 s4, s12, s2
	s_addc_u32 s5, s13, s3
	s_lshl_b64 s[2:3], s[14:15], 2
	s_add_u32 s4, s4, s2
	s_addc_u32 s5, s5, s3
	s_ashr_i32 s23, s22, 31
	v_lshl_add_u32 v36, v51, 6, v50
	s_lshl_b64 s[2:3], s[22:23], 2
	v_and_b32_e32 v0, 31, v50
	v_lshrrev_b32_e32 v14, 5, v36
	s_add_u32 s4, s4, s2
	v_mov_b32_e32 v1, 0
	s_addc_u32 s5, s5, s3
	v_mad_u64_u32 v[2:3], s[2:3], v14, s16, v[0:1]
	v_mov_b32_e32 v6, v3
	v_mad_u64_u32 v[6:7], s[2:3], v14, s17, v[6:7]
	s_mul_i32 s2, s22, s17
	s_mul_hi_u32 s3, s22, s16
	s_add_i32 s2, s3, s2
	s_mul_i32 s3, s23, s16
	s_add_i32 s3, s2, s3
	s_mul_i32 s2, s22, s16
	s_lshl_b64 s[2:3], s[2:3], 2
	s_add_u32 s2, s2, s4
	v_mov_b32_e32 v3, v6
	s_addc_u32 s3, s3, s5
	v_lshlrev_b64 v[6:7], 2, v[2:3]
	s_cmp_eq_u32 s20, 0
	v_mov_b32_e32 v3, s3
	v_add_co_u32_e32 v2, vcc, s2, v6
	s_cselect_b64 s[18:19], -1, 0
	s_cmp_lg_u32 s20, 0
	v_addc_co_u32_e32 v3, vcc, v3, v7, vcc
	s_cselect_b64 s[26:27], -1, 0
	s_and_b64 vcc, exec, s[26:27]
	v_cmp_gt_i32_e64 s[2:3], s20, v0
	v_lshlrev_b32_e32 v15, 2, v0
	s_mul_i32 s41, s17, 0x60
	s_cbranch_vccz .LBB69_17
; %bb.8:
	v_sub_co_u32_e32 v10, vcc, v2, v15
	s_ashr_i32 s21, s20, 31
	v_subbrev_co_u32_e32 v11, vcc, 0, v3, vcc
	s_lshl_b64 s[4:5], s[20:21], 2
	v_mov_b32_e32 v12, s5
	v_add_co_u32_e32 v10, vcc, s4, v10
	v_addc_co_u32_e32 v11, vcc, v11, v12, vcc
	v_add_co_u32_e32 v10, vcc, -4, v10
	v_addc_co_u32_e32 v11, vcc, -1, v11, vcc
	v_cndmask_b32_e64 v11, v11, v3, s[2:3]
	v_cndmask_b32_e64 v10, v10, v2, s[2:3]
	v_cmp_gt_i32_e32 vcc, s20, v14
	s_and_saveexec_b64 s[8:9], vcc
	s_cbranch_execz .LBB69_10
; %bb.9:
	global_load_dword v1, v[10:11], off
.LBB69_10:
	s_or_b64 exec, exec, s[8:9]
	v_mul_u32_u24_e32 v12, 33, v14
	v_add_lshl_u32 v12, v12, v0, 2
	s_waitcnt vmcnt(0)
	ds_write_b32 v12, v1
	v_add_u32_e32 v1, 8, v14
	v_cmp_gt_i32_e32 vcc, s20, v1
	v_mov_b32_e32 v1, 0
	v_mov_b32_e32 v13, 0
	s_and_saveexec_b64 s[8:9], vcc
	s_cbranch_execz .LBB69_12
; %bb.11:
	s_lshl_b64 s[10:11], s[16:17], 5
	v_mov_b32_e32 v13, s11
	v_add_co_u32_e32 v16, vcc, s10, v10
	v_addc_co_u32_e32 v17, vcc, v11, v13, vcc
	global_load_dword v13, v[16:17], off
.LBB69_12:
	s_or_b64 exec, exec, s[8:9]
	s_waitcnt vmcnt(0)
	ds_write_b32 v12, v13 offset:1056
	v_add_u32_e32 v13, 16, v14
	v_cmp_gt_i32_e32 vcc, s20, v13
	s_and_saveexec_b64 s[8:9], vcc
	s_cbranch_execz .LBB69_14
; %bb.13:
	s_lshl_b64 s[10:11], s[16:17], 6
	v_mov_b32_e32 v1, s11
	v_add_co_u32_e32 v16, vcc, s10, v10
	v_addc_co_u32_e32 v17, vcc, v11, v1, vcc
	global_load_dword v1, v[16:17], off
.LBB69_14:
	s_or_b64 exec, exec, s[8:9]
	s_waitcnt vmcnt(0)
	ds_write_b32 v12, v1 offset:2112
	v_add_u32_e32 v1, 24, v14
	v_cmp_gt_i32_e32 vcc, s20, v1
	v_mov_b32_e32 v1, 0
	s_and_saveexec_b64 s[8:9], vcc
	s_cbranch_execz .LBB69_16
; %bb.15:
	v_mov_b32_e32 v1, 0x60
	v_mad_u64_u32 v[16:17], s[10:11], s16, v1, v[10:11]
	v_add_u32_e32 v17, s41, v17
	global_load_dword v1, v[16:17], off
.LBB69_16:
	s_or_b64 exec, exec, s[8:9]
	s_waitcnt vmcnt(0)
	ds_write_b32 v12, v1 offset:3168
	v_add_co_u32_e32 v1, vcc, v10, v15
	v_addc_co_u32_e32 v10, vcc, 0, v11, vcc
	v_mov_b32_e32 v11, s5
	v_subrev_co_u32_e32 v1, vcc, s4, v1
	v_subb_co_u32_e32 v10, vcc, v10, v11, vcc
	v_add_co_u32_e32 v1, vcc, 4, v1
	v_addc_co_u32_e32 v10, vcc, 0, v10, vcc
	v_cndmask_b32_e64 v11, v10, v3, s[2:3]
	v_cndmask_b32_e64 v10, v1, v2, s[2:3]
	v_mul_u32_u24_e32 v1, 33, v14
	s_branch .LBB69_19
.LBB69_17:
                                        ; implicit-def: $vgpr10_vgpr11
	v_mul_u32_u24_e32 v1, 33, v14
	s_cbranch_execz .LBB69_19
; %bb.18:
	s_lshl_b64 s[2:3], s[16:17], 5
	v_mov_b32_e32 v12, s3
	v_add_co_u32_e32 v10, vcc, s2, v2
	v_addc_co_u32_e32 v11, vcc, v3, v12, vcc
	global_load_dword v16, v[2:3], off
	global_load_dword v17, v[10:11], off
	v_add_co_u32_e32 v10, vcc, s2, v10
	v_addc_co_u32_e32 v11, vcc, v11, v12, vcc
	v_mov_b32_e32 v12, 0x60
	v_mad_u64_u32 v[12:13], s[2:3], s16, v12, v[2:3]
	v_add_u32_e32 v13, s41, v13
	global_load_dword v18, v[12:13], off
	global_load_dword v19, v[10:11], off
	v_add_lshl_u32 v10, v1, v0, 2
	s_waitcnt vmcnt(3)
	ds_write_b32 v10, v16
	s_waitcnt vmcnt(2)
	ds_write_b32 v10, v17 offset:1056
	s_waitcnt vmcnt(1)
	ds_write_b32 v10, v18 offset:3168
	;; [unrolled: 2-line block ×3, first 2 shown]
	v_pk_mov_b32 v[10:11], v[2:3], v[2:3] op_sel:[0,1]
.LBB69_19:
	v_lshlrev_b32_e32 v16, 2, v14
	v_mul_u32_u24_e32 v17, 33, v0
	v_cmp_gt_u32_e64 s[4:5], v16, v0
	v_add_lshl_u32 v23, v16, v17, 2
	s_waitcnt lgkmcnt(0)
	s_barrier
	s_and_saveexec_b64 s[2:3], s[4:5]
	s_cbranch_execz .LBB69_21
; %bb.20:
	v_mul_u32_u24_e32 v2, 0x84, v14
	v_add_lshl_u32 v2, v2, v0, 2
	ds_read_b32 v2, v2
	s_waitcnt lgkmcnt(0)
	ds_write_b32 v23, v2
.LBB69_21:
	s_or_b64 exec, exec, s[2:3]
	v_cmp_ge_u32_e64 s[14:15], v16, v0
	s_and_saveexec_b64 s[2:3], s[14:15]
	s_cbranch_execz .LBB69_23
; %bb.22:
	v_or_b32_e32 v2, 1, v16
	v_mul_u32_u24_e32 v2, 33, v2
	v_add_lshl_u32 v2, v2, v0, 2
	ds_read_b32 v2, v2
	s_waitcnt lgkmcnt(0)
	ds_write_b32 v23, v2 offset:4
.LBB69_23:
	s_or_b64 exec, exec, s[2:3]
	v_or_b32_e32 v2, 2, v16
	v_cmp_gt_u32_e64 s[8:9], v2, v0
	s_and_saveexec_b64 s[2:3], s[8:9]
	s_cbranch_execz .LBB69_25
; %bb.24:
	v_mul_u32_u24_e32 v2, 33, v2
	v_add_lshl_u32 v2, v2, v0, 2
	ds_read_b32 v2, v2
	s_waitcnt lgkmcnt(0)
	ds_write_b32 v23, v2 offset:8
.LBB69_25:
	s_or_b64 exec, exec, s[2:3]
	v_or_b32_e32 v2, 3, v16
	v_cmp_gt_u32_e64 s[10:11], v2, v0
	v_mad_u32_u24 v2, v2, 33, v0
	v_lshlrev_b32_e32 v20, 2, v2
	s_and_saveexec_b64 s[2:3], s[10:11]
	s_cbranch_execz .LBB69_27
; %bb.26:
	ds_read_b32 v2, v20
	s_waitcnt lgkmcnt(0)
	ds_write_b32 v23, v2 offset:12
.LBB69_27:
	s_or_b64 exec, exec, s[2:3]
	v_mul_u32_u24_e32 v2, 0x84, v14
	v_add_u32_e32 v22, 0xfffffef8, v20
	s_waitcnt lgkmcnt(0)
	s_barrier
	v_add_lshl_u32 v21, v2, v0, 2
	v_lshlrev_b32_e32 v24, 2, v16
	ds_read2_b32 v[2:3], v22 offset1:33
	ds_read_b32 v12, v21
	ds_read_b128 v[26:29], v24 offset:4544
	ds_read_b32 v19, v20
	v_cmp_gt_u32_e64 s[2:3], 32, v36
	s_waitcnt lgkmcnt(3)
	v_mov_b32_e32 v13, v2
	v_mov_b32_e32 v18, v3
	s_waitcnt lgkmcnt(1)
	v_pk_mul_f32 v[12:13], v[12:13], v[26:27]
	v_add_f32_e32 v2, 0, v12
	v_add_f32_e32 v12, v2, v13
	s_waitcnt lgkmcnt(0)
	v_pk_mul_f32 v[2:3], v[18:19], v[28:29]
	v_add_f32_e32 v2, v12, v2
	v_add_f32_e32 v2, v2, v3
	v_add_lshl_u32 v19, v14, v17, 2
	v_mov_b32_e32 v52, 0
	v_lshlrev_b32_e32 v18, 2, v17
	s_barrier
	ds_write_b32 v19, v2
	s_waitcnt lgkmcnt(0)
	s_barrier
	s_and_saveexec_b64 s[12:13], s[2:3]
	s_cbranch_execz .LBB69_29
; %bb.28:
	ds_read2_b32 v[2:3], v18 offset1:1
	ds_read2_b32 v[12:13], v18 offset0:2 offset1:3
	ds_read2_b32 v[26:27], v18 offset0:4 offset1:5
	;; [unrolled: 1-line block ×3, first 2 shown]
	s_waitcnt lgkmcnt(3)
	v_add_f32_e32 v2, v2, v3
	s_waitcnt lgkmcnt(2)
	v_add_f32_e32 v2, v2, v12
	v_add_f32_e32 v2, v2, v13
	s_waitcnt lgkmcnt(1)
	v_add_f32_e32 v2, v2, v26
	;; [unrolled: 3-line block ×3, first 2 shown]
	v_add_f32_e32 v52, v2, v29
.LBB69_29:
	s_or_b64 exec, exec, s[12:13]
	s_lshl_b64 s[12:13], s[16:17], 7
	v_mov_b32_e32 v2, s13
	v_add_co_u32_e32 v12, vcc, s12, v10
	v_addc_co_u32_e32 v13, vcc, v11, v2, vcc
	v_add_co_u32_e32 v10, vcc, 0x80, v12
	v_addc_co_u32_e32 v11, vcc, 0, v13, vcc
	s_lshl_b64 s[30:31], s[16:17], 5
	s_and_b64 vcc, exec, s[26:27]
	s_barrier
	s_cbranch_vccz .LBB69_39
; %bb.30:
	v_sub_co_u32_e32 v3, vcc, v10, v15
	s_ashr_i32 s21, s20, 31
	v_subbrev_co_u32_e32 v25, vcc, 0, v11, vcc
	s_lshl_b64 s[34:35], s[20:21], 2
	v_mov_b32_e32 v27, s35
	v_add_co_u32_e32 v3, vcc, s34, v3
	v_addc_co_u32_e32 v25, vcc, v25, v27, vcc
	v_or_b32_e32 v2, 32, v0
	v_add_co_u32_e32 v27, vcc, 0xffffff7c, v3
	v_addc_co_u32_e32 v3, vcc, -1, v25, vcc
	v_cmp_gt_i32_e64 s[12:13], s20, v2
	s_sub_i32 s21, s20, 32
	v_mov_b32_e32 v26, 0
	v_cndmask_b32_e64 v3, v3, v11, s[12:13]
	v_cndmask_b32_e64 v2, v27, v10, s[12:13]
	v_cmp_gt_i32_e32 vcc, s21, v14
	v_mov_b32_e32 v27, 0
	s_and_saveexec_b64 s[36:37], vcc
	s_cbranch_execz .LBB69_32
; %bb.31:
	global_load_dword v27, v[2:3], off
.LBB69_32:
	s_or_b64 exec, exec, s[36:37]
	v_add_lshl_u32 v25, v1, v0, 2
	s_waitcnt vmcnt(0)
	ds_write_b32 v25, v27
	v_add_u32_e32 v27, 8, v14
	v_cmp_gt_i32_e32 vcc, s21, v27
	s_and_saveexec_b64 s[36:37], vcc
	s_cbranch_execz .LBB69_34
; %bb.33:
	v_mov_b32_e32 v27, s31
	v_add_co_u32_e32 v26, vcc, s30, v2
	v_addc_co_u32_e32 v27, vcc, v3, v27, vcc
	global_load_dword v26, v[26:27], off
.LBB69_34:
	s_or_b64 exec, exec, s[36:37]
	s_waitcnt vmcnt(0)
	ds_write_b32 v25, v26 offset:1056
	v_add_u32_e32 v26, 16, v14
	v_cmp_gt_i32_e32 vcc, s21, v26
	v_mov_b32_e32 v26, 0
	v_mov_b32_e32 v27, 0
	s_and_saveexec_b64 s[36:37], vcc
	s_cbranch_execz .LBB69_36
; %bb.35:
	s_lshl_b64 s[42:43], s[16:17], 6
	v_mov_b32_e32 v27, s43
	v_add_co_u32_e32 v28, vcc, s42, v2
	v_addc_co_u32_e32 v29, vcc, v3, v27, vcc
	global_load_dword v27, v[28:29], off
.LBB69_36:
	s_or_b64 exec, exec, s[36:37]
	s_waitcnt vmcnt(0)
	ds_write_b32 v25, v27 offset:2112
	v_add_u32_e32 v27, 24, v14
	v_cmp_gt_i32_e32 vcc, s21, v27
	s_and_saveexec_b64 s[36:37], vcc
	s_cbranch_execz .LBB69_38
; %bb.37:
	v_mov_b32_e32 v26, 0x60
	v_mad_u64_u32 v[26:27], s[42:43], s16, v26, v[2:3]
	v_add_u32_e32 v27, s41, v27
	global_load_dword v26, v[26:27], off
.LBB69_38:
	s_or_b64 exec, exec, s[36:37]
	v_add_co_u32_e32 v2, vcc, v2, v15
	v_addc_co_u32_e32 v3, vcc, 0, v3, vcc
	s_waitcnt vmcnt(0)
	ds_write_b32 v25, v26 offset:3168
	v_mov_b32_e32 v25, s35
	v_subrev_co_u32_e32 v2, vcc, s34, v2
	v_subb_co_u32_e32 v3, vcc, v3, v25, vcc
	v_add_co_u32_e32 v2, vcc, 0x84, v2
	v_addc_co_u32_e32 v3, vcc, 0, v3, vcc
	v_cndmask_b32_e64 v3, v3, v11, s[12:13]
	v_cndmask_b32_e64 v2, v2, v10, s[12:13]
	s_branch .LBB69_41
.LBB69_39:
                                        ; implicit-def: $vgpr2_vgpr3
	s_cbranch_execz .LBB69_41
; %bb.40:
	v_mov_b32_e32 v25, s31
	v_add_co_u32_e32 v2, vcc, s30, v12
	v_addc_co_u32_e32 v3, vcc, v13, v25, vcc
	v_add_co_u32_e32 v26, vcc, s30, v2
	v_addc_co_u32_e32 v27, vcc, v3, v25, vcc
	v_mov_b32_e32 v25, 0x60
	v_mad_u64_u32 v[28:29], s[12:13], s16, v25, v[12:13]
	v_add_u32_e32 v29, s41, v29
	global_load_dword v25, v[12:13], off offset:128
	global_load_dword v30, v[2:3], off offset:128
	;; [unrolled: 1-line block ×4, first 2 shown]
	v_add_lshl_u32 v2, v1, v0, 2
	s_waitcnt vmcnt(3)
	ds_write_b32 v2, v25
	s_waitcnt vmcnt(2)
	ds_write_b32 v2, v30 offset:1056
	s_waitcnt vmcnt(1)
	ds_write_b32 v2, v31 offset:2112
	;; [unrolled: 2-line block ×3, first 2 shown]
	v_pk_mov_b32 v[2:3], v[10:11], v[10:11] op_sel:[0,1]
.LBB69_41:
	s_waitcnt lgkmcnt(0)
	s_barrier
	s_and_saveexec_b64 s[12:13], s[4:5]
	s_cbranch_execnz .LBB69_58
; %bb.42:
	s_or_b64 exec, exec, s[12:13]
	s_and_saveexec_b64 s[4:5], s[14:15]
	s_cbranch_execnz .LBB69_59
.LBB69_43:
	s_or_b64 exec, exec, s[4:5]
	s_and_saveexec_b64 s[4:5], s[8:9]
	s_cbranch_execnz .LBB69_60
.LBB69_44:
	s_or_b64 exec, exec, s[4:5]
	v_add_u32_e32 v24, 0x11c0, v24
	s_and_saveexec_b64 s[4:5], s[10:11]
	s_cbranch_execz .LBB69_46
.LBB69_45:
	ds_read_b32 v10, v20
	s_waitcnt lgkmcnt(0)
	ds_write_b32 v23, v10 offset:12
.LBB69_46:
	s_or_b64 exec, exec, s[4:5]
	s_waitcnt lgkmcnt(0)
	s_barrier
	ds_read_b32 v23, v21
	ds_read_b128 v[10:13], v24 offset:128
	ds_read2_b32 v[26:27], v22 offset1:33
	ds_read_b32 v25, v20
	v_cmp_eq_u32_e64 s[4:5], 1, v14
	s_waitcnt lgkmcnt(0)
	v_fma_f32 v10, v23, v10, 0
	v_fmac_f32_e32 v10, v26, v11
	v_fmac_f32_e32 v10, v27, v12
	;; [unrolled: 1-line block ×3, first 2 shown]
	s_barrier
	ds_write_b32 v19, v10
	s_waitcnt lgkmcnt(0)
	s_barrier
	s_and_saveexec_b64 s[8:9], s[4:5]
	s_cbranch_execz .LBB69_48
; %bb.47:
	ds_read2_b32 v[10:11], v18 offset1:1
	ds_read2_b32 v[12:13], v18 offset0:2 offset1:3
	ds_read2_b32 v[26:27], v18 offset0:4 offset1:5
	;; [unrolled: 1-line block ×3, first 2 shown]
	s_waitcnt lgkmcnt(3)
	v_add_f32_e32 v10, v10, v11
	s_waitcnt lgkmcnt(2)
	v_add_f32_e32 v10, v10, v12
	v_add_f32_e32 v10, v10, v13
	s_waitcnt lgkmcnt(1)
	v_add_f32_e32 v10, v10, v26
	;; [unrolled: 3-line block ×3, first 2 shown]
	v_add_f32_e32 v52, v10, v29
.LBB69_48:
	s_or_b64 exec, exec, s[8:9]
	v_add_co_u32_e32 v10, vcc, 0xffffff80, v2
	v_addc_co_u32_e32 v11, vcc, -1, v3, vcc
	s_and_b64 vcc, exec, s[26:27]
	s_barrier
	s_cbranch_vccz .LBB69_61
; %bb.49:
	v_sub_co_u32_e32 v12, vcc, v2, v15
	s_ashr_i32 s21, s20, 31
	v_subbrev_co_u32_e32 v13, vcc, 0, v3, vcc
	s_lshl_b64 s[10:11], s[20:21], 2
	v_mov_b32_e32 v23, s11
	v_add_co_u32_e32 v12, vcc, s10, v12
	v_addc_co_u32_e32 v13, vcc, v13, v23, vcc
	v_add_co_u32_e32 v12, vcc, 0xffffff7c, v12
	v_addc_co_u32_e32 v13, vcc, -1, v13, vcc
	v_cmp_gt_i32_e32 vcc, s20, v0
	s_sub_i32 s14, s20, 32
	v_mov_b32_e32 v25, 0
	v_cndmask_b32_e32 v13, v13, v11, vcc
	v_cndmask_b32_e32 v12, v12, v10, vcc
	v_cmp_gt_i32_e64 s[8:9], s14, v14
	v_mov_b32_e32 v23, 0
	s_and_saveexec_b64 s[12:13], s[8:9]
	s_cbranch_execz .LBB69_51
; %bb.50:
	global_load_dword v23, v[12:13], off
.LBB69_51:
	s_or_b64 exec, exec, s[12:13]
	v_add_lshl_u32 v27, v1, v0, 2
	s_waitcnt vmcnt(0)
	ds_write_b32 v27, v23
	v_add_u32_e32 v23, 8, v14
	v_cmp_gt_i32_e64 s[8:9], s14, v23
	s_and_saveexec_b64 s[12:13], s[8:9]
	s_cbranch_execz .LBB69_53
; %bb.52:
	v_mov_b32_e32 v25, s31
	v_add_co_u32_e64 v28, s[8:9], s30, v12
	v_addc_co_u32_e64 v29, s[8:9], v13, v25, s[8:9]
	global_load_dword v25, v[28:29], off
.LBB69_53:
	s_or_b64 exec, exec, s[12:13]
	s_waitcnt vmcnt(0)
	ds_write_b32 v27, v25 offset:1056
	v_add_u32_e32 v25, 16, v14
	v_cmp_gt_i32_e64 s[8:9], s14, v25
	v_mov_b32_e32 v28, 0
	v_mov_b32_e32 v26, 0
	s_and_saveexec_b64 s[12:13], s[8:9]
	s_cbranch_execz .LBB69_55
; %bb.54:
	s_lshl_b64 s[8:9], s[16:17], 6
	v_mov_b32_e32 v26, s9
	v_add_co_u32_e64 v30, s[8:9], s8, v12
	v_addc_co_u32_e64 v31, s[8:9], v13, v26, s[8:9]
	global_load_dword v26, v[30:31], off
.LBB69_55:
	s_or_b64 exec, exec, s[12:13]
	s_waitcnt vmcnt(0)
	ds_write_b32 v27, v26 offset:2112
	v_add_u32_e32 v26, 24, v14
	v_cmp_gt_i32_e64 s[8:9], s14, v26
	s_and_saveexec_b64 s[12:13], s[8:9]
	s_cbranch_execz .LBB69_57
; %bb.56:
	v_mov_b32_e32 v28, 0x60
	v_mad_u64_u32 v[28:29], s[8:9], s16, v28, v[12:13]
	v_add_u32_e32 v29, s41, v29
	global_load_dword v28, v[28:29], off
.LBB69_57:
	s_or_b64 exec, exec, s[12:13]
	v_add_co_u32_e64 v12, s[8:9], v12, v15
	v_addc_co_u32_e64 v13, s[8:9], 0, v13, s[8:9]
	v_mov_b32_e32 v15, s11
	v_subrev_co_u32_e64 v12, s[8:9], s10, v12
	v_subb_co_u32_e64 v13, s[8:9], v13, v15, s[8:9]
	v_add_co_u32_e64 v12, s[8:9], 4, v12
	v_addc_co_u32_e64 v13, s[8:9], 0, v13, s[8:9]
	s_waitcnt vmcnt(0)
	ds_write_b32 v27, v28 offset:3168
	v_cndmask_b32_e32 v35, v13, v11, vcc
	v_cndmask_b32_e32 v34, v12, v10, vcc
	s_branch .LBB69_63
.LBB69_58:
	ds_read_b32 v10, v21
	s_waitcnt lgkmcnt(0)
	ds_write_b32 v23, v10
	s_or_b64 exec, exec, s[12:13]
	s_and_saveexec_b64 s[4:5], s[14:15]
	s_cbranch_execz .LBB69_43
.LBB69_59:
	ds_read_b32 v10, v22
	s_waitcnt lgkmcnt(0)
	ds_write_b32 v23, v10 offset:4
	s_or_b64 exec, exec, s[4:5]
	s_and_saveexec_b64 s[4:5], s[8:9]
	s_cbranch_execz .LBB69_44
.LBB69_60:
	ds_read_b32 v10, v22 offset:132
	s_waitcnt lgkmcnt(0)
	ds_write_b32 v23, v10 offset:8
	s_or_b64 exec, exec, s[4:5]
	v_add_u32_e32 v24, 0x11c0, v24
	s_and_saveexec_b64 s[4:5], s[10:11]
	s_cbranch_execnz .LBB69_45
	s_branch .LBB69_46
.LBB69_61:
                                        ; implicit-def: $vgpr34_vgpr35
                                        ; implicit-def: $vgpr23
                                        ; implicit-def: $vgpr25
                                        ; implicit-def: $vgpr26
	s_cbranch_execz .LBB69_63
; %bb.62:
	v_mov_b32_e32 v15, s31
	v_add_co_u32_e32 v12, vcc, s30, v2
	v_addc_co_u32_e32 v13, vcc, v3, v15, vcc
	v_add_co_u32_e32 v26, vcc, s30, v12
	v_addc_co_u32_e32 v27, vcc, v13, v15, vcc
	global_load_dword v15, v[12:13], off offset:-128
	global_load_dword v28, v[26:27], off offset:-128
	v_mov_b32_e32 v12, 0x60
	global_load_dword v13, v[2:3], off offset:-128
	v_mad_u64_u32 v[2:3], s[8:9], s16, v12, v[2:3]
	v_add_u32_e32 v3, s41, v3
	global_load_dword v2, v[2:3], off offset:-128
	v_add_lshl_u32 v0, v1, v0, 2
	v_add_u32_e32 v23, 8, v14
	v_add_u32_e32 v25, 16, v14
	;; [unrolled: 1-line block ×3, first 2 shown]
	v_pk_mov_b32 v[34:35], v[10:11], v[10:11] op_sel:[0,1]
	s_waitcnt vmcnt(1)
	ds_write_b32 v0, v13
	ds_write_b32 v0, v15 offset:1056
	ds_write_b32 v0, v28 offset:2112
	s_waitcnt vmcnt(0)
	ds_write_b32 v0, v2 offset:3168
.LBB69_63:
	v_add_lshl_u32 v13, v23, v17, 2
	v_lshlrev_b32_e32 v14, 2, v23
	v_add_lshl_u32 v15, v25, v17, 2
	v_lshlrev_b32_e32 v23, 2, v25
	v_add_lshl_u32 v17, v26, v17, 2
	s_waitcnt lgkmcnt(0)
	s_barrier
	v_lshlrev_b32_e32 v25, 2, v26
	ds_read_b32 v16, v16 offset:4544
	ds_read_b32 v12, v21
	ds_read_b32 v21, v19
	ds_read_b128 v[0:3], v24 offset:128
	ds_read2_b32 v[10:11], v22 offset1:33
	ds_read_b32 v22, v13
	ds_read_b32 v14, v14 offset:4544
	ds_read_b32 v15, v15
	ds_read_b32 v23, v23 offset:4544
	;; [unrolled: 2-line block ×3, first 2 shown]
	ds_read_b32 v13, v20
	s_waitcnt lgkmcnt(9)
	v_fma_f32 v16, v21, v16, 0
	s_waitcnt lgkmcnt(5)
	v_fmac_f32_e32 v16, v22, v14
	s_waitcnt lgkmcnt(3)
	v_fmac_f32_e32 v16, v15, v23
	;; [unrolled: 2-line block ×3, first 2 shown]
	s_waitcnt lgkmcnt(0)
	s_barrier
	ds_write_b32 v19, v16
	s_waitcnt lgkmcnt(0)
	s_barrier
	s_and_saveexec_b64 s[8:9], s[4:5]
	s_cbranch_execz .LBB69_65
; %bb.64:
	ds_read2_b32 v[14:15], v18 offset1:1
	ds_read2_b32 v[16:17], v18 offset0:2 offset1:3
	ds_read2_b32 v[20:21], v18 offset0:4 offset1:5
	;; [unrolled: 1-line block ×3, first 2 shown]
	s_waitcnt lgkmcnt(3)
	v_add_f32_e32 v14, v52, v14
	v_add_f32_e32 v14, v14, v15
	s_waitcnt lgkmcnt(2)
	v_add_f32_e32 v14, v14, v16
	v_add_f32_e32 v14, v14, v17
	;; [unrolled: 3-line block ×4, first 2 shown]
.LBB69_65:
	s_or_b64 exec, exec, s[8:9]
	v_fma_f32 v0, v12, v0, 0
	v_fmac_f32_e32 v0, v10, v1
	v_fmac_f32_e32 v0, v11, v2
	v_fmac_f32_e32 v0, v13, v3
	s_barrier
	ds_write_b32 v19, v0
	s_waitcnt lgkmcnt(0)
	s_barrier
	s_and_saveexec_b64 s[4:5], s[2:3]
	s_cbranch_execz .LBB69_67
; %bb.66:
	ds_read2_b32 v[0:1], v18 offset1:1
	ds_read2_b32 v[2:3], v18 offset0:2 offset1:3
	ds_read2_b32 v[10:11], v18 offset0:4 offset1:5
	;; [unrolled: 1-line block ×3, first 2 shown]
	s_waitcnt lgkmcnt(3)
	v_add_f32_e32 v0, v52, v0
	v_add_f32_e32 v0, v0, v1
	s_waitcnt lgkmcnt(2)
	v_add_f32_e32 v0, v0, v2
	v_add_f32_e32 v0, v0, v3
	;; [unrolled: 3-line block ×4, first 2 shown]
.LBB69_67:
	s_or_b64 exec, exec, s[4:5]
	s_mul_hi_u32 s2, s39, s7
	s_mul_i32 s40, s40, s7
	s_add_i32 s2, s2, s40
	s_mul_i32 s4, s39, s7
	s_mul_i32 s2, s2, s33
	s_mul_hi_u32 s3, s4, s33
	s_add_i32 s3, s3, s2
	s_mul_i32 s2, s4, s33
	s_lshl_b64 s[2:3], s[2:3], 2
	s_add_u32 s4, s28, s2
	s_addc_u32 s5, s29, s3
	s_mul_hi_i32 s3, s39, s6
	s_mul_i32 s2, s39, s6
	s_lshl_b64 s[2:3], s[2:3], 2
	s_add_u32 s7, s4, s2
	s_addc_u32 s14, s5, s3
	s_add_i32 s2, s6, 1
	s_cmp_ge_u32 s2, s33
	v_lshlrev_b32_e32 v0, 2, v50
	s_barrier
	s_cbranch_scc1 .LBB69_124
; %bb.68:
	s_mul_i32 s2, s22, s25
	s_mul_hi_u32 s3, s22, s24
	s_add_i32 s2, s3, s2
	s_mul_i32 s3, s23, s24
	s_add_i32 s3, s2, s3
	s_mul_i32 s2, s22, s24
	s_lshl_b64 s[2:3], s[2:3], 2
	v_mov_b32_e32 v1, s3
	v_subrev_co_u32_e32 v53, vcc, s2, v8
	v_and_b32_e32 v2, 48, v50
	v_subb_co_u32_e32 v54, vcc, v9, v1, vcc
	v_and_b32_e32 v1, 15, v50
	v_lshlrev_b32_e32 v3, 2, v2
	s_movk_i32 s2, 0x10c
	v_mad_u32_u24 v55, v1, s2, v3
	v_or_b32_e32 v3, 60, v0
	v_mad_u32_u24 v56, v1, s2, v3
	v_and_b32_e32 v3, 0x1fff0, v36
	v_lshlrev_b32_e32 v37, 4, v51
	v_mad_u32_u24 v57, v1, s2, v3
	v_or_b32_e32 v58, v2, v1
	v_add_u32_e32 v1, 0x80, v37
	v_mad_u64_u32 v[2:3], s[2:3], s16, v1, 0
	v_mov_b32_e32 v8, v3
	v_mad_u64_u32 v[8:9], s[2:3], s17, v1, v[8:9]
	v_mov_b32_e32 v1, v8
	v_sub_co_u32_e32 v2, vcc, v2, v6
	v_add_u32_e32 v3, 0x88, v37
	v_subb_co_u32_e32 v1, vcc, v1, v7, vcc
	v_mad_u64_u32 v[8:9], s[2:3], s16, v3, 0
	v_add_co_u32_e32 v2, vcc, v34, v2
	v_mov_b32_e32 v10, v9
	v_addc_co_u32_e32 v1, vcc, v35, v1, vcc
	v_mad_u64_u32 v[10:11], s[2:3], s17, v3, v[10:11]
	v_mov_b32_e32 v3, v10
	v_sub_co_u32_e32 v8, vcc, v8, v6
	v_add_u32_e32 v9, 0x84, v37
	v_subb_co_u32_e32 v3, vcc, v3, v7, vcc
	v_mad_u64_u32 v[10:11], s[2:3], s16, v9, 0
	v_add_co_u32_e32 v8, vcc, v34, v8
	v_mov_b32_e32 v12, v11
	v_addc_co_u32_e32 v3, vcc, v35, v3, vcc
	;; [unrolled: 9-line block ×4, first 2 shown]
	v_mad_u64_u32 v[16:17], s[2:3], s17, v13, v[16:17]
	v_mov_b32_e32 v13, v16
	v_sub_co_u32_e32 v20, vcc, v14, v6
	v_subb_co_u32_e32 v21, vcc, v13, v7, vcc
	v_add_u32_e32 v13, 0xc4, v37
	v_mad_u64_u32 v[14:15], s[2:3], s16, v13, 0
	v_mov_b32_e32 v16, v15
	v_mad_u64_u32 v[16:17], s[2:3], s17, v13, v[16:17]
	v_mov_b32_e32 v13, v16
	v_sub_co_u32_e32 v22, vcc, v14, v6
	v_subb_co_u32_e32 v23, vcc, v13, v7, vcc
	v_add_u32_e32 v13, 0xc8, v37
	v_mad_u64_u32 v[14:15], s[2:3], s16, v13, 0
	v_mov_b32_e32 v16, v15
	;; [unrolled: 7-line block ×11, first 2 shown]
	v_mad_u64_u32 v[18:19], s[2:3], s17, v13, v[14:15]
	v_add_co_u32_e32 v14, vcc, v34, v20
	v_addc_co_u32_e32 v13, vcc, v35, v21, vcc
	v_mov_b32_e32 v15, v18
	v_sub_co_u32_e32 v46, vcc, v16, v6
	v_subb_co_u32_e32 v47, vcc, v15, v7, vcc
	v_add_co_u32_e32 v6, vcc, v34, v22
	v_addc_co_u32_e32 v7, vcc, v35, v23, vcc
	v_add_co_u32_e32 v16, vcc, v34, v24
	v_addc_co_u32_e32 v15, vcc, v35, v25, vcc
	;; [unrolled: 2-line block ×10, first 2 shown]
	v_cmp_gt_u32_e64 s[2:3], 64, v36
	v_lshrrev_b32_e32 v36, 4, v36
	v_add_co_u32_e32 v34, vcc, v34, v46
	s_movk_i32 s4, 0x430
	v_mul_i32_i24_e32 v36, -12, v36
	v_lshlrev_b32_e32 v60, 2, v51
	v_addc_co_u32_e32 v33, vcc, v35, v47, vcc
	s_add_i32 s15, s33, -2
	v_add_u32_e32 v35, 0x10c0, v37
	s_add_i32 s21, s22, 64
	s_lshl_b64 s[10:11], s[16:17], 8
	v_add_u32_e32 v59, v57, v36
	v_add_u32_e32 v61, 0x10c0, v0
	;; [unrolled: 1-line block ×3, first 2 shown]
	v_or_b32_e32 v63, 1, v60
	v_or_b32_e32 v64, 2, v60
	;; [unrolled: 1-line block ×3, first 2 shown]
	v_mad_u32_u24 v66, v51, s4, v0
	v_add_u32_e32 v67, 16, v60
	v_add_u32_e32 v68, 17, v60
	;; [unrolled: 1-line block ×12, first 2 shown]
	s_cmp_eq_u32 s15, s6
	s_cselect_b32 s16, s38, 0
	s_and_saveexec_b64 s[4:5], s[0:1]
	s_cbranch_execz .LBB69_72
.LBB69_69:
	s_cmp_eq_u32 s16, 0
	s_cselect_b64 s[8:9], -1, 0
	v_cmp_gt_i32_e32 vcc, s16, v50
	s_or_b64 s[12:13], s[8:9], vcc
	v_mov_b32_e32 v36, 0
	s_and_saveexec_b64 s[8:9], s[12:13]
	s_cbranch_execz .LBB69_71
; %bb.70:
	s_ashr_i32 s12, s21, 31
	s_mul_i32 s13, s21, s25
	s_mul_hi_u32 s17, s21, s24
	s_add_i32 s13, s17, s13
	s_mul_i32 s12, s12, s24
	s_add_i32 s13, s13, s12
	s_mul_i32 s12, s21, s24
	s_lshl_b64 s[12:13], s[12:13], 2
	v_mov_b32_e32 v37, s13
	v_add_co_u32_e32 v36, vcc, s12, v53
	v_addc_co_u32_e32 v37, vcc, v54, v37, vcc
	global_load_dword v36, v[36:37], off
.LBB69_71:
	s_or_b64 exec, exec, s[8:9]
	s_waitcnt vmcnt(0)
	ds_write_b32 v61, v36
.LBB69_72:                              ; =>This Inner Loop Header: Depth=1
	s_or_b64 exec, exec, s[4:5]
	s_cmp_eq_u32 s16, 0
	v_add_co_u32_e32 v36, vcc, v2, v0
	s_cselect_b64 s[12:13], -1, 0
	s_cmp_lg_u32 s16, 0
	v_addc_co_u32_e32 v37, vcc, 0, v1, vcc
	s_cselect_b64 s[8:9], -1, 0
	s_and_b64 vcc, exec, s[8:9]
	s_waitcnt lgkmcnt(0)
	s_barrier
	s_cbranch_vccz .LBB69_120
; %bb.73:                               ;   in Loop: Header=BB69_72 Depth=1
	v_cmp_gt_i32_e32 vcc, s16, v60
	v_mov_b32_e32 v80, 0
	v_mov_b32_e32 v79, 0
	s_and_saveexec_b64 s[4:5], vcc
	s_cbranch_execz .LBB69_75
; %bb.74:                               ;   in Loop: Header=BB69_72 Depth=1
	global_load_dword v79, v[36:37], off
.LBB69_75:                              ;   in Loop: Header=BB69_72 Depth=1
	s_or_b64 exec, exec, s[4:5]
	v_cmp_gt_i32_e32 vcc, s16, v63
	s_and_saveexec_b64 s[4:5], vcc
	s_cbranch_execz .LBB69_77
; %bb.76:                               ;   in Loop: Header=BB69_72 Depth=1
	v_add_co_u32_e32 v38, vcc, v10, v0
	v_addc_co_u32_e32 v39, vcc, 0, v9, vcc
	global_load_dword v80, v[38:39], off
.LBB69_77:                              ;   in Loop: Header=BB69_72 Depth=1
	s_or_b64 exec, exec, s[4:5]
	v_cmp_gt_i32_e32 vcc, s16, v64
	v_mov_b32_e32 v82, 0
	v_mov_b32_e32 v81, 0
	s_and_saveexec_b64 s[4:5], vcc
	s_cbranch_execz .LBB69_79
; %bb.78:                               ;   in Loop: Header=BB69_72 Depth=1
	v_add_co_u32_e32 v38, vcc, v8, v0
	v_addc_co_u32_e32 v39, vcc, 0, v3, vcc
	global_load_dword v81, v[38:39], off
.LBB69_79:                              ;   in Loop: Header=BB69_72 Depth=1
	s_or_b64 exec, exec, s[4:5]
	v_cmp_gt_i32_e32 vcc, s16, v65
	s_and_saveexec_b64 s[4:5], vcc
	s_cbranch_execz .LBB69_81
; %bb.80:                               ;   in Loop: Header=BB69_72 Depth=1
	v_add_co_u32_e32 v38, vcc, v12, v0
	v_addc_co_u32_e32 v39, vcc, 0, v11, vcc
	global_load_dword v82, v[38:39], off
.LBB69_81:                              ;   in Loop: Header=BB69_72 Depth=1
	s_or_b64 exec, exec, s[4:5]
	s_branch .LBB69_83
.LBB69_82:                              ;   in Loop: Header=BB69_72 Depth=1
	global_load_dword v79, v[36:37], off
	v_add_co_u32_e32 v36, vcc, v10, v0
	v_addc_co_u32_e32 v37, vcc, 0, v9, vcc
	global_load_dword v80, v[36:37], off
	v_add_co_u32_e32 v36, vcc, v8, v0
	v_addc_co_u32_e32 v37, vcc, 0, v3, vcc
	;; [unrolled: 3-line block ×3, first 2 shown]
	global_load_dword v82, v[36:37], off
.LBB69_83:                              ;   in Loop: Header=BB69_72 Depth=1
	ds_read_b32 v36, v62
	ds_read_b32 v83, v35
	v_cndmask_b32_e64 v40, 0, 1, s[8:9]
	v_cmp_ne_u32_e64 s[4:5], 1, v40
	s_andn2_b64 vcc, exec, s[8:9]
	s_waitcnt vmcnt(0) lgkmcnt(1)
	v_mul_f32_e32 v37, v79, v36
	v_mul_f32_e32 v38, v80, v36
	ds_write_b32 v66, v37
	v_mul_f32_e32 v39, v81, v36
	ds_read_b32 v84, v35 offset:4
	ds_write_b32 v66, v38 offset:268
	ds_read_b32 v85, v35 offset:8
	ds_write_b32 v66, v39 offset:536
	v_mul_f32_e32 v36, v82, v36
	ds_read_b32 v86, v35 offset:12
	ds_write_b32 v66, v36 offset:804
	s_waitcnt lgkmcnt(0)
	s_barrier
	ds_read2_b32 v[38:39], v57 offset1:1
	ds_read2_b32 v[36:37], v57 offset0:2 offset1:3
	v_add_co_u32_e64 v40, s[8:9], v14, v0
	v_addc_co_u32_e64 v41, s[8:9], 0, v13, s[8:9]
	s_waitcnt lgkmcnt(0)
	s_barrier
	s_cbranch_vccnz .LBB69_121
; %bb.84:                               ;   in Loop: Header=BB69_72 Depth=1
	v_cmp_gt_i32_e32 vcc, s16, v67
	v_mov_b32_e32 v88, 0
	v_mov_b32_e32 v87, 0
	s_and_saveexec_b64 s[8:9], vcc
	s_cbranch_execz .LBB69_86
; %bb.85:                               ;   in Loop: Header=BB69_72 Depth=1
	global_load_dword v87, v[40:41], off
.LBB69_86:                              ;   in Loop: Header=BB69_72 Depth=1
	s_or_b64 exec, exec, s[8:9]
	v_cmp_gt_i32_e32 vcc, s16, v68
	s_and_saveexec_b64 s[8:9], vcc
	s_cbranch_execz .LBB69_88
; %bb.87:                               ;   in Loop: Header=BB69_72 Depth=1
	v_add_co_u32_e32 v42, vcc, v6, v0
	v_addc_co_u32_e32 v43, vcc, 0, v7, vcc
	global_load_dword v88, v[42:43], off
.LBB69_88:                              ;   in Loop: Header=BB69_72 Depth=1
	s_or_b64 exec, exec, s[8:9]
	v_cmp_gt_i32_e32 vcc, s16, v69
	v_mov_b32_e32 v90, 0
	v_mov_b32_e32 v89, 0
	s_and_saveexec_b64 s[8:9], vcc
	s_cbranch_execz .LBB69_90
; %bb.89:                               ;   in Loop: Header=BB69_72 Depth=1
	v_add_co_u32_e32 v42, vcc, v16, v0
	v_addc_co_u32_e32 v43, vcc, 0, v15, vcc
	global_load_dword v89, v[42:43], off
.LBB69_90:                              ;   in Loop: Header=BB69_72 Depth=1
	s_or_b64 exec, exec, s[8:9]
	v_cmp_gt_i32_e32 vcc, s16, v70
	s_and_saveexec_b64 s[8:9], vcc
	s_cbranch_execz .LBB69_92
; %bb.91:                               ;   in Loop: Header=BB69_72 Depth=1
	v_add_co_u32_e32 v42, vcc, v18, v0
	v_addc_co_u32_e32 v43, vcc, 0, v17, vcc
	global_load_dword v90, v[42:43], off
.LBB69_92:                              ;   in Loop: Header=BB69_72 Depth=1
	s_or_b64 exec, exec, s[8:9]
	s_branch .LBB69_94
.LBB69_93:                              ;   in Loop: Header=BB69_72 Depth=1
	global_load_dword v87, v[40:41], off
	v_add_co_u32_e32 v40, vcc, v6, v0
	v_addc_co_u32_e32 v41, vcc, 0, v7, vcc
	global_load_dword v88, v[40:41], off
	v_add_co_u32_e32 v40, vcc, v16, v0
	v_addc_co_u32_e32 v41, vcc, 0, v15, vcc
	;; [unrolled: 3-line block ×3, first 2 shown]
	global_load_dword v90, v[40:41], off
.LBB69_94:                              ;   in Loop: Header=BB69_72 Depth=1
	ds_read_b32 v40, v62
	ds_read_b32 v91, v35 offset:64
	v_add_co_u32_e64 v44, s[8:9], v20, v0
	s_and_b64 vcc, exec, s[4:5]
	s_waitcnt vmcnt(0) lgkmcnt(1)
	v_mul_f32_e32 v41, v87, v40
	v_mul_f32_e32 v42, v88, v40
	ds_write_b32 v66, v41
	v_mul_f32_e32 v43, v89, v40
	ds_read_b32 v92, v35 offset:68
	ds_write_b32 v66, v42 offset:268
	ds_read_b32 v93, v35 offset:72
	ds_write_b32 v66, v43 offset:536
	v_mul_f32_e32 v40, v90, v40
	ds_read_b32 v94, v35 offset:76
	ds_write_b32 v66, v40 offset:804
	s_waitcnt lgkmcnt(0)
	s_barrier
	ds_read2_b32 v[42:43], v57 offset1:1
	ds_read2_b32 v[40:41], v57 offset0:2 offset1:3
	v_addc_co_u32_e64 v45, s[8:9], 0, v19, s[8:9]
	s_waitcnt lgkmcnt(0)
	s_barrier
	s_cbranch_vccnz .LBB69_122
; %bb.95:                               ;   in Loop: Header=BB69_72 Depth=1
	v_cmp_gt_i32_e32 vcc, s16, v71
	v_mov_b32_e32 v96, 0
	v_mov_b32_e32 v95, 0
	s_and_saveexec_b64 s[8:9], vcc
	s_cbranch_execz .LBB69_97
; %bb.96:                               ;   in Loop: Header=BB69_72 Depth=1
	global_load_dword v95, v[44:45], off
.LBB69_97:                              ;   in Loop: Header=BB69_72 Depth=1
	s_or_b64 exec, exec, s[8:9]
	v_cmp_gt_i32_e32 vcc, s16, v72
	s_and_saveexec_b64 s[8:9], vcc
	s_cbranch_execz .LBB69_99
; %bb.98:                               ;   in Loop: Header=BB69_72 Depth=1
	v_add_co_u32_e32 v46, vcc, v22, v0
	v_addc_co_u32_e32 v47, vcc, 0, v21, vcc
	global_load_dword v96, v[46:47], off
.LBB69_99:                              ;   in Loop: Header=BB69_72 Depth=1
	s_or_b64 exec, exec, s[8:9]
	v_cmp_gt_i32_e32 vcc, s16, v73
	v_mov_b32_e32 v98, 0
	v_mov_b32_e32 v97, 0
	s_and_saveexec_b64 s[8:9], vcc
	s_cbranch_execz .LBB69_101
; %bb.100:                              ;   in Loop: Header=BB69_72 Depth=1
	v_add_co_u32_e32 v46, vcc, v24, v0
	v_addc_co_u32_e32 v47, vcc, 0, v23, vcc
	global_load_dword v97, v[46:47], off
.LBB69_101:                             ;   in Loop: Header=BB69_72 Depth=1
	s_or_b64 exec, exec, s[8:9]
	v_cmp_gt_i32_e32 vcc, s16, v74
	s_and_saveexec_b64 s[8:9], vcc
	s_cbranch_execz .LBB69_103
; %bb.102:                              ;   in Loop: Header=BB69_72 Depth=1
	v_add_co_u32_e32 v46, vcc, v26, v0
	v_addc_co_u32_e32 v47, vcc, 0, v25, vcc
	global_load_dword v98, v[46:47], off
.LBB69_103:                             ;   in Loop: Header=BB69_72 Depth=1
	s_or_b64 exec, exec, s[8:9]
	s_branch .LBB69_105
.LBB69_104:                             ;   in Loop: Header=BB69_72 Depth=1
	global_load_dword v95, v[44:45], off
	v_add_co_u32_e32 v44, vcc, v22, v0
	v_addc_co_u32_e32 v45, vcc, 0, v21, vcc
	global_load_dword v96, v[44:45], off
	v_add_co_u32_e32 v44, vcc, v24, v0
	v_addc_co_u32_e32 v45, vcc, 0, v23, vcc
	;; [unrolled: 3-line block ×3, first 2 shown]
	global_load_dword v98, v[44:45], off
.LBB69_105:                             ;   in Loop: Header=BB69_72 Depth=1
	ds_read_b32 v44, v62
	ds_read_b32 v99, v35 offset:128
	s_and_b64 vcc, exec, s[4:5]
	v_add_co_u32_e64 v48, s[4:5], v28, v0
	s_waitcnt vmcnt(0) lgkmcnt(1)
	v_mul_f32_e32 v45, v95, v44
	v_mul_f32_e32 v46, v96, v44
	ds_write_b32 v66, v45
	v_mul_f32_e32 v47, v97, v44
	ds_read_b32 v100, v35 offset:132
	ds_write_b32 v66, v46 offset:268
	ds_read_b32 v101, v35 offset:136
	ds_write_b32 v66, v47 offset:536
	v_mul_f32_e32 v44, v98, v44
	ds_read_b32 v102, v35 offset:140
	ds_write_b32 v66, v44 offset:804
	s_waitcnt lgkmcnt(0)
	s_barrier
	ds_read2_b32 v[46:47], v57 offset1:1
	ds_read2_b32 v[44:45], v57 offset0:2 offset1:3
	v_addc_co_u32_e64 v49, s[4:5], 0, v27, s[4:5]
	s_waitcnt lgkmcnt(0)
	s_barrier
	s_cbranch_vccnz .LBB69_123
; %bb.106:                              ;   in Loop: Header=BB69_72 Depth=1
	v_cmp_gt_i32_e32 vcc, s16, v75
	v_mov_b32_e32 v104, 0
	v_mov_b32_e32 v103, 0
	s_and_saveexec_b64 s[4:5], vcc
	s_cbranch_execz .LBB69_108
; %bb.107:                              ;   in Loop: Header=BB69_72 Depth=1
	global_load_dword v103, v[48:49], off
.LBB69_108:                             ;   in Loop: Header=BB69_72 Depth=1
	s_or_b64 exec, exec, s[4:5]
	v_cmp_gt_i32_e32 vcc, s16, v76
	s_and_saveexec_b64 s[4:5], vcc
	s_cbranch_execz .LBB69_110
; %bb.109:                              ;   in Loop: Header=BB69_72 Depth=1
	v_add_co_u32_e32 v104, vcc, v30, v0
	v_addc_co_u32_e32 v105, vcc, 0, v29, vcc
	global_load_dword v104, v[104:105], off
.LBB69_110:                             ;   in Loop: Header=BB69_72 Depth=1
	s_or_b64 exec, exec, s[4:5]
	v_cmp_gt_i32_e32 vcc, s16, v77
	v_mov_b32_e32 v106, 0
	v_mov_b32_e32 v105, 0
	s_and_saveexec_b64 s[4:5], vcc
	s_cbranch_execz .LBB69_112
; %bb.111:                              ;   in Loop: Header=BB69_72 Depth=1
	v_add_co_u32_e32 v108, vcc, v32, v0
	v_addc_co_u32_e32 v109, vcc, 0, v31, vcc
	global_load_dword v105, v[108:109], off
.LBB69_112:                             ;   in Loop: Header=BB69_72 Depth=1
	s_or_b64 exec, exec, s[4:5]
	v_cmp_gt_i32_e32 vcc, s16, v78
	s_and_saveexec_b64 s[4:5], vcc
	s_cbranch_execz .LBB69_114
; %bb.113:                              ;   in Loop: Header=BB69_72 Depth=1
	v_add_co_u32_e32 v106, vcc, v34, v0
	v_addc_co_u32_e32 v107, vcc, 0, v33, vcc
	global_load_dword v106, v[106:107], off
.LBB69_114:                             ;   in Loop: Header=BB69_72 Depth=1
	s_or_b64 exec, exec, s[4:5]
	s_branch .LBB69_116
.LBB69_115:                             ;   in Loop: Header=BB69_72 Depth=1
	global_load_dword v103, v[48:49], off
	v_add_co_u32_e32 v48, vcc, v30, v0
	v_addc_co_u32_e32 v49, vcc, 0, v29, vcc
	global_load_dword v104, v[48:49], off
	v_add_co_u32_e32 v48, vcc, v32, v0
	v_addc_co_u32_e32 v49, vcc, 0, v31, vcc
	;; [unrolled: 3-line block ×3, first 2 shown]
	global_load_dword v106, v[48:49], off
.LBB69_116:                             ;   in Loop: Header=BB69_72 Depth=1
	v_add_f32_e32 v42, 0, v42
	v_add_f32_e32 v42, v42, v43
	ds_read_b32 v43, v62
	v_add_f32_e32 v46, 0, v46
	v_add_f32_e32 v46, v46, v47
	;; [unrolled: 1-line block ×6, first 2 shown]
	ds_read_b32 v38, v35 offset:192
	s_waitcnt vmcnt(0) lgkmcnt(1)
	v_mul_f32_e32 v40, v103, v43
	ds_write_b32 v66, v40
	v_mul_f32_e32 v41, v104, v43
	ds_read_b32 v40, v35 offset:196
	ds_write_b32 v66, v41 offset:268
	v_mul_f32_e32 v42, v105, v43
	ds_read_b32 v41, v35 offset:200
	ds_write_b32 v66, v42 offset:536
	v_mul_f32_e32 v43, v106, v43
	v_add_f32_e32 v48, v44, v45
	ds_read_b32 v42, v35 offset:204
	ds_write_b32 v66, v43 offset:804
	s_waitcnt lgkmcnt(0)
	s_barrier
	ds_read2_b32 v[44:45], v57 offset1:1
	v_add_f32_e32 v39, v46, v39
	ds_read2_b32 v[46:47], v57 offset0:2 offset1:3
	v_add_f32_e32 v36, v39, v36
	v_add_f32_e32 v36, v36, v37
	s_waitcnt lgkmcnt(1)
	v_add_f32_e32 v37, 0, v44
	v_cmp_gt_i32_e32 vcc, s16, v50
	v_add_f32_e32 v37, v37, v45
	s_or_b64 s[4:5], s[12:13], vcc
	s_waitcnt lgkmcnt(0)
	v_add_f32_e32 v37, v37, v46
	s_and_b64 s[8:9], s[2:3], s[4:5]
	v_add_f32_e32 v37, v37, v47
	s_barrier
	ds_write2_b32 v59, v36, v49 offset1:16
	ds_write2_b32 v59, v48, v37 offset0:32 offset1:48
	s_waitcnt lgkmcnt(0)
	s_barrier
	s_and_saveexec_b64 s[4:5], s[8:9]
	s_cbranch_execz .LBB69_118
; %bb.117:                              ;   in Loop: Header=BB69_72 Depth=1
	ds_read2_b32 v[36:37], v55 offset1:1
	ds_read2_b32 v[44:45], v55 offset0:2 offset1:3
	ds_read2_b32 v[46:47], v55 offset0:4 offset1:5
	;; [unrolled: 1-line block ×3, first 2 shown]
	s_waitcnt lgkmcnt(3)
	v_add_f32_e32 v36, v36, v37
	s_waitcnt lgkmcnt(2)
	v_add_f32_e32 v36, v36, v44
	v_add_f32_e32 v36, v36, v45
	s_waitcnt lgkmcnt(1)
	v_add_f32_e32 v36, v36, v46
	;; [unrolled: 3-line block ×3, first 2 shown]
	ds_read2_b32 v[36:37], v55 offset0:8 offset1:9
	v_add_f32_e32 v39, v39, v49
	ds_read2_b32 v[44:45], v55 offset0:10 offset1:11
	ds_read2_b32 v[46:47], v55 offset0:12 offset1:13
	ds_read_b32 v43, v55 offset:56
	s_waitcnt lgkmcnt(3)
	v_add_f32_e32 v36, v39, v36
	v_add_f32_e32 v36, v36, v37
	s_waitcnt lgkmcnt(2)
	v_add_f32_e32 v36, v36, v44
	ds_read_b32 v37, v56
	v_add_f32_e32 v36, v36, v45
	s_waitcnt lgkmcnt(2)
	v_add_f32_e32 v36, v36, v46
	v_add_f32_e32 v36, v36, v47
	s_waitcnt lgkmcnt(1)
	v_add_f32_e32 v36, v36, v43
	s_waitcnt lgkmcnt(0)
	v_add_f32_e32 v39, v36, v37
	v_add_u32_e32 v36, s21, v58
	v_ashrrev_i32_e32 v37, 31, v36
	v_lshlrev_b64 v[36:37], 2, v[36:37]
	v_mov_b32_e32 v43, s14
	v_add_co_u32_e32 v36, vcc, s7, v36
	v_addc_co_u32_e32 v37, vcc, v43, v37, vcc
	global_store_dword v[36:37], v39, off
.LBB69_118:                             ;   in Loop: Header=BB69_72 Depth=1
	s_or_b64 exec, exec, s[4:5]
	v_mov_b32_e32 v36, s11
	v_add_co_u32_e32 v2, vcc, s10, v2
	v_addc_co_u32_e32 v1, vcc, v1, v36, vcc
	v_add_co_u32_e32 v8, vcc, s10, v8
	v_addc_co_u32_e32 v3, vcc, v3, v36, vcc
	;; [unrolled: 2-line block ×8, first 2 shown]
	v_fmac_f32_e32 v52, v79, v83
	v_add_co_u32_e32 v20, vcc, s10, v20
	v_fmac_f32_e32 v52, v80, v84
	v_addc_co_u32_e32 v19, vcc, v19, v36, vcc
	v_fmac_f32_e32 v52, v81, v85
	v_add_co_u32_e32 v22, vcc, s10, v22
	v_fmac_f32_e32 v52, v82, v86
	v_addc_co_u32_e32 v21, vcc, v21, v36, vcc
	;; [unrolled: 4-line block ×7, first 2 shown]
	v_fmac_f32_e32 v52, v105, v41
	s_add_i32 s4, s6, 1
	s_add_i32 s21, s21, 64
	;; [unrolled: 1-line block ×3, first 2 shown]
	v_add_co_u32_e32 v34, vcc, s10, v34
	v_fmac_f32_e32 v52, v106, v42
	s_cmp_ge_u32 s5, s33
	v_addc_co_u32_e32 v33, vcc, v33, v36, vcc
	s_barrier
	s_cbranch_scc1 .LBB69_124
; %bb.119:                              ;   in Loop: Header=BB69_72 Depth=1
	s_mov_b32 s6, s4
	s_cmp_eq_u32 s15, s6
	s_cselect_b32 s16, s38, 0
	s_and_saveexec_b64 s[4:5], s[0:1]
	s_cbranch_execnz .LBB69_69
	s_branch .LBB69_72
.LBB69_120:                             ;   in Loop: Header=BB69_72 Depth=1
                                        ; implicit-def: $vgpr82
                                        ; implicit-def: $vgpr81
                                        ; implicit-def: $vgpr80
                                        ; implicit-def: $vgpr79
	s_cbranch_execnz .LBB69_82
	s_branch .LBB69_83
.LBB69_121:                             ;   in Loop: Header=BB69_72 Depth=1
                                        ; implicit-def: $vgpr90
                                        ; implicit-def: $vgpr89
                                        ; implicit-def: $vgpr88
                                        ; implicit-def: $vgpr87
	s_cbranch_execnz .LBB69_93
	s_branch .LBB69_94
.LBB69_122:                             ;   in Loop: Header=BB69_72 Depth=1
                                        ; implicit-def: $vgpr98
                                        ; implicit-def: $vgpr97
                                        ; implicit-def: $vgpr96
                                        ; implicit-def: $vgpr95
	s_cbranch_execnz .LBB69_104
	s_branch .LBB69_105
.LBB69_123:                             ;   in Loop: Header=BB69_72 Depth=1
                                        ; implicit-def: $vgpr106
                                        ; implicit-def: $vgpr105
                                        ; implicit-def: $vgpr104
                                        ; implicit-def: $vgpr103
	s_cbranch_execnz .LBB69_115
	s_branch .LBB69_116
.LBB69_124:
	s_movk_i32 s2, 0x10c
	v_cmp_gt_i32_e32 vcc, s20, v50
	v_mad_u32_u24 v1, v51, s2, v0
	s_or_b64 s[2:3], s[18:19], vcc
	s_and_b64 s[0:1], s[0:1], s[2:3]
	ds_write_b32 v1, v52
	s_waitcnt lgkmcnt(0)
	s_barrier
	s_and_saveexec_b64 s[2:3], s[0:1]
	s_cbranch_execz .LBB69_126
; %bb.125:
	ds_read2_b32 v[2:3], v0 offset1:67
	ds_read2_b32 v[0:1], v0 offset0:134 offset1:201
	v_lshlrev_b64 v[4:5], 2, v[4:5]
	v_mov_b32_e32 v6, s14
	s_waitcnt lgkmcnt(1)
	v_add_f32_e32 v2, v2, v3
	s_waitcnt lgkmcnt(0)
	v_add_f32_e32 v0, v2, v0
	v_add_f32_e32 v2, v0, v1
	v_add_co_u32_e32 v0, vcc, s7, v4
	v_addc_co_u32_e32 v1, vcc, v6, v5, vcc
	global_store_dword v[0:1], v2, off
.LBB69_126:
	s_endpgm
	.section	.rodata,"a",@progbits
	.p2align	6, 0x0
	.amdhsa_kernel _ZL26rocblas_hemvn_kernel_upperILb0ELi64ELi4ELi33ELi32ELi16ElPKfS1_PfEviT6_lT7_lT5_lS4_lS5_lS3_lT8_i
		.amdhsa_group_segment_fixed_size 4800
		.amdhsa_private_segment_fixed_size 0
		.amdhsa_kernarg_size 376
		.amdhsa_user_sgpr_count 6
		.amdhsa_user_sgpr_private_segment_buffer 1
		.amdhsa_user_sgpr_dispatch_ptr 0
		.amdhsa_user_sgpr_queue_ptr 0
		.amdhsa_user_sgpr_kernarg_segment_ptr 1
		.amdhsa_user_sgpr_dispatch_id 0
		.amdhsa_user_sgpr_flat_scratch_init 0
		.amdhsa_user_sgpr_kernarg_preload_length 0
		.amdhsa_user_sgpr_kernarg_preload_offset 0
		.amdhsa_user_sgpr_private_segment_size 0
		.amdhsa_uses_dynamic_stack 0
		.amdhsa_system_sgpr_private_segment_wavefront_offset 0
		.amdhsa_system_sgpr_workgroup_id_x 1
		.amdhsa_system_sgpr_workgroup_id_y 0
		.amdhsa_system_sgpr_workgroup_id_z 1
		.amdhsa_system_sgpr_workgroup_info 0
		.amdhsa_system_vgpr_workitem_id 1
		.amdhsa_next_free_vgpr 110
		.amdhsa_next_free_sgpr 44
		.amdhsa_accum_offset 112
		.amdhsa_reserve_vcc 1
		.amdhsa_reserve_flat_scratch 0
		.amdhsa_float_round_mode_32 0
		.amdhsa_float_round_mode_16_64 0
		.amdhsa_float_denorm_mode_32 3
		.amdhsa_float_denorm_mode_16_64 3
		.amdhsa_dx10_clamp 1
		.amdhsa_ieee_mode 1
		.amdhsa_fp16_overflow 0
		.amdhsa_tg_split 0
		.amdhsa_exception_fp_ieee_invalid_op 0
		.amdhsa_exception_fp_denorm_src 0
		.amdhsa_exception_fp_ieee_div_zero 0
		.amdhsa_exception_fp_ieee_overflow 0
		.amdhsa_exception_fp_ieee_underflow 0
		.amdhsa_exception_fp_ieee_inexact 0
		.amdhsa_exception_int_div_zero 0
	.end_amdhsa_kernel
	.section	.text._ZL26rocblas_hemvn_kernel_upperILb0ELi64ELi4ELi33ELi32ELi16ElPKfS1_PfEviT6_lT7_lT5_lS4_lS5_lS3_lT8_i,"axG",@progbits,_ZL26rocblas_hemvn_kernel_upperILb0ELi64ELi4ELi33ELi32ELi16ElPKfS1_PfEviT6_lT7_lT5_lS4_lS5_lS3_lT8_i,comdat
.Lfunc_end69:
	.size	_ZL26rocblas_hemvn_kernel_upperILb0ELi64ELi4ELi33ELi32ELi16ElPKfS1_PfEviT6_lT7_lT5_lS4_lS5_lS3_lT8_i, .Lfunc_end69-_ZL26rocblas_hemvn_kernel_upperILb0ELi64ELi4ELi33ELi32ELi16ElPKfS1_PfEviT6_lT7_lT5_lS4_lS5_lS3_lT8_i
                                        ; -- End function
	.section	.AMDGPU.csdata,"",@progbits
; Kernel info:
; codeLenInByte = 6832
; NumSgprs: 48
; NumVgprs: 110
; NumAgprs: 0
; TotalNumVgprs: 110
; ScratchSize: 0
; MemoryBound: 0
; FloatMode: 240
; IeeeMode: 1
; LDSByteSize: 4800 bytes/workgroup (compile time only)
; SGPRBlocks: 5
; VGPRBlocks: 13
; NumSGPRsForWavesPerEU: 48
; NumVGPRsForWavesPerEU: 110
; AccumOffset: 112
; Occupancy: 4
; WaveLimiterHint : 0
; COMPUTE_PGM_RSRC2:SCRATCH_EN: 0
; COMPUTE_PGM_RSRC2:USER_SGPR: 6
; COMPUTE_PGM_RSRC2:TRAP_HANDLER: 0
; COMPUTE_PGM_RSRC2:TGID_X_EN: 1
; COMPUTE_PGM_RSRC2:TGID_Y_EN: 0
; COMPUTE_PGM_RSRC2:TGID_Z_EN: 1
; COMPUTE_PGM_RSRC2:TIDIG_COMP_CNT: 1
; COMPUTE_PGM_RSRC3_GFX90A:ACCUM_OFFSET: 27
; COMPUTE_PGM_RSRC3_GFX90A:TG_SPLIT: 0
	.section	.text._ZL36rocblas_hemvn_kernel_upper_block_sumILi64ElPKfPffEviT1_lS3_lT2_lT0_lPT3_i,"axG",@progbits,_ZL36rocblas_hemvn_kernel_upper_block_sumILi64ElPKfPffEviT1_lS3_lT2_lT0_lPT3_i,comdat
	.globl	_ZL36rocblas_hemvn_kernel_upper_block_sumILi64ElPKfPffEviT1_lS3_lT2_lT0_lPT3_i ; -- Begin function _ZL36rocblas_hemvn_kernel_upper_block_sumILi64ElPKfPffEviT1_lS3_lT2_lT0_lPT3_i
	.p2align	8
	.type	_ZL36rocblas_hemvn_kernel_upper_block_sumILi64ElPKfPffEviT1_lS3_lT2_lT0_lPT3_i,@function
_ZL36rocblas_hemvn_kernel_upper_block_sumILi64ElPKfPffEviT1_lS3_lT2_lT0_lPT3_i: ; @_ZL36rocblas_hemvn_kernel_upper_block_sumILi64ElPKfPffEviT1_lS3_lT2_lT0_lPT3_i
; %bb.0:
	s_load_dwordx8 s[8:15], s[4:5], 0x8
	s_waitcnt lgkmcnt(0)
	s_mul_i32 s0, s7, s11
	s_mul_hi_u32 s1, s7, s10
	s_add_i32 s1, s1, s0
	s_mul_i32 s0, s7, s10
	s_lshl_b64 s[0:1], s[0:1], 2
	s_add_u32 s0, s8, s0
	s_addc_u32 s1, s9, s1
	s_load_dword s18, s[0:1], 0x0
	s_mul_i32 s0, s7, s15
	s_mul_hi_u32 s1, s7, s14
	s_add_i32 s1, s1, s0
	s_mul_i32 s0, s7, s14
	s_lshl_b64 s[0:1], s[0:1], 2
	s_add_u32 s0, s12, s0
	s_addc_u32 s1, s13, s1
	s_load_dword s21, s[0:1], 0x0
	s_waitcnt lgkmcnt(0)
	v_cmp_eq_f32_e64 s[0:1], s18, 0
	v_cmp_eq_f32_e64 s[2:3], s21, 1.0
	s_and_b64 s[0:1], s[0:1], s[2:3]
	s_and_b64 vcc, exec, s[0:1]
	s_cbranch_vccnz .LBB70_19
; %bb.1:
	s_load_dwordx8 s[8:15], s[4:5], 0x30
	s_load_dwordx2 s[0:1], s[4:5], 0x28
	s_load_dword s16, s[4:5], 0x0
	v_lshl_or_b32 v0, s6, 6, v0
	s_waitcnt lgkmcnt(0)
	s_mul_i32 s3, s7, s13
	s_mul_hi_u32 s13, s7, s12
	s_mul_i32 s2, s7, s12
	s_add_i32 s3, s13, s3
	s_lshl_b64 s[2:3], s[2:3], 2
	s_add_u32 s2, s0, s2
	s_addc_u32 s3, s1, s3
	s_lshl_b64 s[0:1], s[8:9], 2
	s_add_u32 s19, s2, s0
	s_addc_u32 s20, s3, s1
	v_cmp_neq_f32_e64 s[0:1], s18, 0
	s_and_b64 vcc, exec, s[0:1]
	v_cmp_gt_i32_e64 s[0:1], s16, v0
	s_cbranch_vccnz .LBB70_6
; %bb.2:
	s_mov_b64 s[8:9], 0
	s_mov_b64 s[2:3], 0
                                        ; implicit-def: $vgpr1
                                        ; implicit-def: $vgpr2_vgpr3
	s_and_saveexec_b64 s[12:13], s[0:1]
	s_cbranch_execz .LBB70_7
; %bb.3:
	v_ashrrev_i32_e32 v2, 31, v0
	v_cmp_eq_f32_e64 s[0:1], s21, 0
	v_mul_lo_u32 v4, v0, s11
	v_mul_lo_u32 v5, v2, s10
	v_mad_u64_u32 v[2:3], s[2:3], v0, s10, 0
	v_mov_b32_e32 v1, 0
	v_add3_u32 v3, v3, v4, v5
	s_and_b64 vcc, exec, s[0:1]
	s_cbranch_vccnz .LBB70_5
; %bb.4:
	v_lshlrev_b64 v[4:5], 2, v[2:3]
	v_mov_b32_e32 v1, s20
	v_add_co_u32_e32 v4, vcc, s19, v4
	v_addc_co_u32_e32 v5, vcc, v1, v5, vcc
	global_load_dword v1, v[4:5], off
	s_waitcnt vmcnt(0)
	v_mul_f32_e32 v1, s21, v1
.LBB70_5:
	s_mov_b64 s[2:3], exec
	s_or_b64 exec, exec, s[12:13]
	s_and_b64 vcc, exec, s[8:9]
	s_cbranch_vccnz .LBB70_8
	s_branch .LBB70_17
.LBB70_6:
	s_mov_b64 s[2:3], 0
                                        ; implicit-def: $vgpr1
                                        ; implicit-def: $vgpr2_vgpr3
	s_cbranch_execnz .LBB70_8
	s_branch .LBB70_17
.LBB70_7:
	s_or_b64 exec, exec, s[12:13]
	s_and_b64 vcc, exec, s[8:9]
	s_cbranch_vccz .LBB70_17
.LBB70_8:
	v_cmp_gt_i32_e32 vcc, s16, v0
                                        ; implicit-def: $vgpr1
                                        ; implicit-def: $vgpr2_vgpr3
	s_and_saveexec_b64 s[0:1], vcc
	s_cbranch_execz .LBB70_16
; %bb.9:
	v_ashrrev_i32_e32 v1, 31, v0
	s_cmp_lt_i32 s6, 0
	v_mov_b32_e32 v4, 0
	s_cbranch_scc1 .LBB70_12
; %bb.10:
	s_load_dword s4, s[4:5], 0x58
	s_ashr_i32 s17, s16, 31
	s_mul_hi_u32 s5, s16, s7
	s_mul_i32 s8, s17, s7
	s_add_i32 s5, s5, s8
	s_mul_i32 s7, s16, s7
	s_waitcnt lgkmcnt(0)
	s_mul_i32 s5, s5, s4
	s_mul_hi_u32 s8, s7, s4
	s_add_i32 s5, s8, s5
	s_mul_i32 s4, s7, s4
	s_lshl_b64 s[4:5], s[4:5], 2
	s_add_u32 s4, s14, s4
	s_addc_u32 s5, s15, s5
	v_lshlrev_b64 v[2:3], 2, v[0:1]
	v_mov_b32_e32 v4, s5
	v_add_co_u32_e32 v2, vcc, s4, v2
	s_lshl_b64 s[4:5], s[16:17], 2
	v_addc_co_u32_e32 v3, vcc, v4, v3, vcc
	s_add_i32 s6, s6, 1
	v_mov_b32_e32 v4, 0
	v_mov_b32_e32 v5, s5
.LBB70_11:                              ; =>This Inner Loop Header: Depth=1
	global_load_dword v6, v[2:3], off
	s_add_i32 s6, s6, -1
	v_add_co_u32_e32 v2, vcc, s4, v2
	v_addc_co_u32_e32 v3, vcc, v3, v5, vcc
	s_cmp_eq_u32 s6, 0
	s_waitcnt vmcnt(0)
	v_add_f32_e32 v4, v4, v6
	s_cbranch_scc0 .LBB70_11
.LBB70_12:
	v_cmp_eq_f32_e64 s[4:5], s21, 0
	s_and_b64 vcc, exec, s[4:5]
	v_mul_lo_u32 v5, v1, s10
	v_mul_lo_u32 v6, v0, s11
	s_cbranch_vccz .LBB70_20
; %bb.13:
	v_mad_u64_u32 v[2:3], s[4:5], v0, s10, 0
	v_mul_f32_e32 v1, s18, v4
	v_add3_u32 v3, v3, v6, v5
	s_cbranch_execnz .LBB70_15
.LBB70_14:
	v_mad_u64_u32 v[2:3], s[4:5], v0, s10, 0
	v_add3_u32 v3, v3, v6, v5
	v_lshlrev_b64 v[0:1], 2, v[2:3]
	v_mov_b32_e32 v5, s20
	v_add_co_u32_e32 v0, vcc, s19, v0
	v_addc_co_u32_e32 v1, vcc, v5, v1, vcc
	global_load_dword v0, v[0:1], off
	s_waitcnt vmcnt(0)
	v_mul_f32_e32 v1, s21, v0
	v_fmac_f32_e32 v1, s18, v4
.LBB70_15:
	s_or_b64 s[2:3], s[2:3], exec
.LBB70_16:
	s_or_b64 exec, exec, s[0:1]
.LBB70_17:
	s_and_saveexec_b64 s[0:1], s[2:3]
	s_cbranch_execz .LBB70_19
; %bb.18:
	v_lshlrev_b64 v[2:3], 2, v[2:3]
	v_mov_b32_e32 v0, s20
	v_add_co_u32_e32 v2, vcc, s19, v2
	v_addc_co_u32_e32 v3, vcc, v0, v3, vcc
	global_store_dword v[2:3], v1, off
.LBB70_19:
	s_endpgm
.LBB70_20:
                                        ; implicit-def: $vgpr1
                                        ; implicit-def: $vgpr2_vgpr3
	s_branch .LBB70_14
	.section	.rodata,"a",@progbits
	.p2align	6, 0x0
	.amdhsa_kernel _ZL36rocblas_hemvn_kernel_upper_block_sumILi64ElPKfPffEviT1_lS3_lT2_lT0_lPT3_i
		.amdhsa_group_segment_fixed_size 0
		.amdhsa_private_segment_fixed_size 0
		.amdhsa_kernarg_size 344
		.amdhsa_user_sgpr_count 6
		.amdhsa_user_sgpr_private_segment_buffer 1
		.amdhsa_user_sgpr_dispatch_ptr 0
		.amdhsa_user_sgpr_queue_ptr 0
		.amdhsa_user_sgpr_kernarg_segment_ptr 1
		.amdhsa_user_sgpr_dispatch_id 0
		.amdhsa_user_sgpr_flat_scratch_init 0
		.amdhsa_user_sgpr_kernarg_preload_length 0
		.amdhsa_user_sgpr_kernarg_preload_offset 0
		.amdhsa_user_sgpr_private_segment_size 0
		.amdhsa_uses_dynamic_stack 0
		.amdhsa_system_sgpr_private_segment_wavefront_offset 0
		.amdhsa_system_sgpr_workgroup_id_x 1
		.amdhsa_system_sgpr_workgroup_id_y 0
		.amdhsa_system_sgpr_workgroup_id_z 1
		.amdhsa_system_sgpr_workgroup_info 0
		.amdhsa_system_vgpr_workitem_id 0
		.amdhsa_next_free_vgpr 7
		.amdhsa_next_free_sgpr 22
		.amdhsa_accum_offset 8
		.amdhsa_reserve_vcc 1
		.amdhsa_reserve_flat_scratch 0
		.amdhsa_float_round_mode_32 0
		.amdhsa_float_round_mode_16_64 0
		.amdhsa_float_denorm_mode_32 3
		.amdhsa_float_denorm_mode_16_64 3
		.amdhsa_dx10_clamp 1
		.amdhsa_ieee_mode 1
		.amdhsa_fp16_overflow 0
		.amdhsa_tg_split 0
		.amdhsa_exception_fp_ieee_invalid_op 0
		.amdhsa_exception_fp_denorm_src 0
		.amdhsa_exception_fp_ieee_div_zero 0
		.amdhsa_exception_fp_ieee_overflow 0
		.amdhsa_exception_fp_ieee_underflow 0
		.amdhsa_exception_fp_ieee_inexact 0
		.amdhsa_exception_int_div_zero 0
	.end_amdhsa_kernel
	.section	.text._ZL36rocblas_hemvn_kernel_upper_block_sumILi64ElPKfPffEviT1_lS3_lT2_lT0_lPT3_i,"axG",@progbits,_ZL36rocblas_hemvn_kernel_upper_block_sumILi64ElPKfPffEviT1_lS3_lT2_lT0_lPT3_i,comdat
.Lfunc_end70:
	.size	_ZL36rocblas_hemvn_kernel_upper_block_sumILi64ElPKfPffEviT1_lS3_lT2_lT0_lPT3_i, .Lfunc_end70-_ZL36rocblas_hemvn_kernel_upper_block_sumILi64ElPKfPffEviT1_lS3_lT2_lT0_lPT3_i
                                        ; -- End function
	.section	.AMDGPU.csdata,"",@progbits
; Kernel info:
; codeLenInByte = 692
; NumSgprs: 26
; NumVgprs: 7
; NumAgprs: 0
; TotalNumVgprs: 7
; ScratchSize: 0
; MemoryBound: 0
; FloatMode: 240
; IeeeMode: 1
; LDSByteSize: 0 bytes/workgroup (compile time only)
; SGPRBlocks: 3
; VGPRBlocks: 0
; NumSGPRsForWavesPerEU: 26
; NumVGPRsForWavesPerEU: 7
; AccumOffset: 8
; Occupancy: 8
; WaveLimiterHint : 0
; COMPUTE_PGM_RSRC2:SCRATCH_EN: 0
; COMPUTE_PGM_RSRC2:USER_SGPR: 6
; COMPUTE_PGM_RSRC2:TRAP_HANDLER: 0
; COMPUTE_PGM_RSRC2:TGID_X_EN: 1
; COMPUTE_PGM_RSRC2:TGID_Y_EN: 0
; COMPUTE_PGM_RSRC2:TGID_Z_EN: 1
; COMPUTE_PGM_RSRC2:TIDIG_COMP_CNT: 0
; COMPUTE_PGM_RSRC3_GFX90A:ACCUM_OFFSET: 1
; COMPUTE_PGM_RSRC3_GFX90A:TG_SPLIT: 0
	.section	.text._ZL26rocblas_hemvn_kernel_upperILb0ELi64ELi4ELi33ELi32ELi16EiPKfS1_PfEviT6_lT7_lT5_lS4_lS5_lS3_lT8_i,"axG",@progbits,_ZL26rocblas_hemvn_kernel_upperILb0ELi64ELi4ELi33ELi32ELi16EiPKfS1_PfEviT6_lT7_lT5_lS4_lS5_lS3_lT8_i,comdat
	.globl	_ZL26rocblas_hemvn_kernel_upperILb0ELi64ELi4ELi33ELi32ELi16EiPKfS1_PfEviT6_lT7_lT5_lS4_lS5_lS3_lT8_i ; -- Begin function _ZL26rocblas_hemvn_kernel_upperILb0ELi64ELi4ELi33ELi32ELi16EiPKfS1_PfEviT6_lT7_lT5_lS4_lS5_lS3_lT8_i
	.p2align	8
	.type	_ZL26rocblas_hemvn_kernel_upperILb0ELi64ELi4ELi33ELi32ELi16EiPKfS1_PfEviT6_lT7_lT5_lS4_lS5_lS3_lT8_i,@function
_ZL26rocblas_hemvn_kernel_upperILb0ELi64ELi4ELi33ELi32ELi16EiPKfS1_PfEviT6_lT7_lT5_lS4_lS5_lS3_lT8_i: ; @_ZL26rocblas_hemvn_kernel_upperILb0ELi64ELi4ELi33ELi32ELi16EiPKfS1_PfEviT6_lT7_lT5_lS4_lS5_lS3_lT8_i
; %bb.0:
	s_load_dwordx2 s[2:3], s[4:5], 0x84
	s_add_u32 s0, s4, 0x78
	s_addc_u32 s1, s5, 0
	s_waitcnt lgkmcnt(0)
	s_lshr_b32 s8, s2, 16
	s_and_b32 s2, s2, 0xffff
	s_and_b32 s3, s3, 0xffff
	s_mul_i32 s2, s8, s2
	s_mul_i32 s2, s2, s3
	s_cmpk_lg_i32 s2, 0x100
	s_cbranch_scc1 .LBB71_126
; %bb.1:
	s_load_dwordx8 s[20:27], s[4:5], 0x8
	s_load_dwordx8 s[12:19], s[4:5], 0x50
	s_waitcnt lgkmcnt(0)
	s_mul_i32 s3, s7, s23
	s_mul_hi_u32 s8, s7, s22
	s_mul_i32 s2, s7, s22
	s_add_i32 s3, s8, s3
	s_lshl_b64 s[2:3], s[2:3], 2
	s_add_u32 s2, s20, s2
	s_addc_u32 s3, s21, s3
	s_mul_i32 s9, s7, s17
	s_load_dword s8, s[2:3], 0x0
	s_mul_hi_u32 s2, s7, s16
	s_add_i32 s3, s2, s9
	s_mul_i32 s2, s7, s16
	s_lshl_b64 s[2:3], s[2:3], 2
	s_add_u32 s2, s14, s2
	s_addc_u32 s3, s15, s3
	s_load_dword s9, s[2:3], 0x0
	s_waitcnt lgkmcnt(0)
	v_cmp_eq_f32_e64 s[2:3], s8, 0
	v_cmp_eq_f32_e64 s[8:9], s9, 1.0
	s_and_b64 s[8:9], s[2:3], s[8:9]
	s_and_b64 vcc, exec, s[8:9]
	s_cbranch_vccnz .LBB71_126
; %bb.2:
	s_and_b64 vcc, exec, s[2:3]
	s_cbranch_vccnz .LBB71_126
; %bb.3:
	s_load_dword s33, s[0:1], 0x0
	s_load_dword s40, s[4:5], 0x0
	s_load_dwordx4 s[8:11], s[4:5], 0x30
	s_load_dwordx2 s[2:3], s[4:5], 0x40
	s_load_dword s39, s[4:5], 0x48
	s_mul_i32 s0, s7, s13
	s_mul_hi_u32 s1, s7, s12
	s_add_i32 s1, s1, s0
	s_mul_i32 s0, s7, s12
	s_lshl_b64 s[0:1], s[0:1], 2
	s_waitcnt lgkmcnt(0)
	s_add_u32 s10, s10, s0
	s_addc_u32 s11, s11, s1
	s_lshl_b64 s[0:1], s[2:3], 2
	s_add_u32 s0, s10, s0
	s_addc_u32 s1, s11, s1
	v_and_b32_e32 v6, 0x3ff, v0
	s_lshl_b32 s22, s6, 6
	s_ashr_i32 s41, s40, 31
	s_lshr_b32 s3, s41, 26
	v_add_u32_e32 v4, s22, v6
	v_bfe_u32 v51, v0, 10, 10
	s_add_i32 s3, s40, s3
	v_mul_lo_u32 v0, v4, s39
	s_andn2_b32 s3, s3, 63
	v_ashrrev_i32_e32 v1, 31, v0
	s_add_i32 s2, s33, -1
	s_sub_i32 s38, s40, s3
	v_lshlrev_b64 v[0:1], 2, v[0:1]
	s_cmp_eq_u32 s6, s2
	v_mov_b32_e32 v2, s1
	v_add_co_u32_e32 v12, vcc, s0, v0
	s_cselect_b32 s16, s38, 0
	v_addc_co_u32_e32 v13, vcc, v2, v1, vcc
	v_cmp_eq_u32_e64 s[0:1], 0, v51
	s_and_saveexec_b64 s[2:3], s[0:1]
	s_cbranch_execz .LBB71_7
; %bb.4:
	s_cmp_eq_u32 s16, 0
	s_cselect_b64 s[10:11], -1, 0
	v_cmp_gt_i32_e32 vcc, s16, v6
	s_or_b64 s[12:13], s[10:11], vcc
	v_mov_b32_e32 v0, 0
	s_and_saveexec_b64 s[10:11], s[12:13]
	s_cbranch_execz .LBB71_6
; %bb.5:
	global_load_dword v0, v[12:13], off
.LBB71_6:
	s_or_b64 exec, exec, s[10:11]
	v_lshlrev_b32_e32 v1, 2, v6
	s_waitcnt vmcnt(0)
	ds_write_b32 v1, v0 offset:4544
.LBB71_7:
	s_or_b64 exec, exec, s[2:3]
	s_mul_i32 s2, s7, s9
	s_mul_hi_u32 s3, s7, s8
	s_add_i32 s3, s3, s2
	s_mul_i32 s2, s7, s8
	s_lshl_b64 s[2:3], s[2:3], 2
	s_add_u32 s8, s24, s2
	s_addc_u32 s9, s25, s3
	s_lshl_b64 s[2:3], s[26:27], 2
	s_load_dword s24, s[4:5], 0x28
	s_add_u32 s8, s8, s2
	s_addc_u32 s9, s9, s3
	s_ashr_i32 s23, s22, 31
	v_lshl_add_u32 v54, v51, 6, v6
	s_lshl_b64 s[2:3], s[22:23], 2
	v_and_b32_e32 v0, 31, v6
	v_lshrrev_b32_e32 v1, 5, v54
	s_add_u32 s4, s8, s2
	s_addc_u32 s5, s9, s3
	s_waitcnt lgkmcnt(0)
	v_mad_u64_u32 v[8:9], s[2:3], v1, s24, v[0:1]
	s_mul_i32 s2, s22, s24
	s_ashr_i32 s3, s2, 31
	s_lshl_b64 s[2:3], s[2:3], 2
	s_add_u32 s2, s2, s4
	v_ashrrev_i32_e32 v9, 31, v8
	s_addc_u32 s3, s3, s5
	v_lshlrev_b64 v[10:11], 2, v[8:9]
	s_cmp_eq_u32 s16, 0
	v_mov_b32_e32 v3, s3
	v_add_co_u32_e32 v2, vcc, s2, v10
	s_cselect_b64 s[20:21], -1, 0
	s_cmp_lg_u32 s16, 0
	v_addc_co_u32_e32 v3, vcc, v3, v11, vcc
	s_cselect_b64 s[30:31], -1, 0
	s_and_b64 vcc, exec, s[30:31]
	v_cmp_gt_i32_e64 s[2:3], s16, v0
	v_lshlrev_b32_e32 v5, 2, v0
	s_cbranch_vccz .LBB71_17
; %bb.8:
	v_sub_co_u32_e32 v7, vcc, v2, v5
	s_ashr_i32 s17, s16, 31
	v_subbrev_co_u32_e32 v9, vcc, 0, v3, vcc
	s_lshl_b64 s[4:5], s[16:17], 2
	v_mov_b32_e32 v14, s5
	v_add_co_u32_e32 v7, vcc, s4, v7
	v_addc_co_u32_e32 v9, vcc, v9, v14, vcc
	v_add_co_u32_e32 v7, vcc, -4, v7
	v_addc_co_u32_e32 v9, vcc, -1, v9, vcc
	v_cndmask_b32_e64 v15, v9, v3, s[2:3]
	v_cndmask_b32_e64 v14, v7, v2, s[2:3]
	v_cmp_gt_i32_e32 vcc, s16, v1
	v_mov_b32_e32 v9, 0
	v_mov_b32_e32 v16, 0
	s_and_saveexec_b64 s[8:9], vcc
	s_cbranch_execz .LBB71_10
; %bb.9:
	global_load_dword v16, v[14:15], off
.LBB71_10:
	s_or_b64 exec, exec, s[8:9]
	v_mul_u32_u24_e32 v7, 33, v1
	v_add_lshl_u32 v7, v7, v0, 2
	s_waitcnt vmcnt(0)
	ds_write_b32 v7, v16
	v_add_u32_e32 v16, 8, v1
	v_cmp_gt_i32_e32 vcc, s16, v16
	s_and_saveexec_b64 s[8:9], vcc
	s_cbranch_execz .LBB71_12
; %bb.11:
	s_lshl_b32 s10, s24, 3
	s_ashr_i32 s11, s10, 31
	s_lshl_b64 s[10:11], s[10:11], 2
	v_mov_b32_e32 v9, s11
	v_add_co_u32_e32 v16, vcc, s10, v14
	v_addc_co_u32_e32 v17, vcc, v15, v9, vcc
	global_load_dword v9, v[16:17], off
.LBB71_12:
	s_or_b64 exec, exec, s[8:9]
	s_waitcnt vmcnt(0)
	ds_write_b32 v7, v9 offset:1056
	v_add_u32_e32 v9, 16, v1
	v_cmp_gt_i32_e32 vcc, s16, v9
	v_mov_b32_e32 v9, 0
	v_mov_b32_e32 v16, 0
	s_and_saveexec_b64 s[8:9], vcc
	s_cbranch_execz .LBB71_14
; %bb.13:
	s_lshl_b32 s10, s24, 4
	s_ashr_i32 s11, s10, 31
	s_lshl_b64 s[10:11], s[10:11], 2
	v_mov_b32_e32 v17, s11
	v_add_co_u32_e32 v16, vcc, s10, v14
	v_addc_co_u32_e32 v17, vcc, v15, v17, vcc
	global_load_dword v16, v[16:17], off
.LBB71_14:
	s_or_b64 exec, exec, s[8:9]
	s_waitcnt vmcnt(0)
	ds_write_b32 v7, v16 offset:2112
	v_add_u32_e32 v16, 24, v1
	v_cmp_gt_i32_e32 vcc, s16, v16
	s_and_saveexec_b64 s[8:9], vcc
	s_cbranch_execz .LBB71_16
; %bb.15:
	s_mul_i32 s10, s24, 24
	s_ashr_i32 s11, s10, 31
	s_lshl_b64 s[10:11], s[10:11], 2
	v_mov_b32_e32 v9, s11
	v_add_co_u32_e32 v16, vcc, s10, v14
	v_addc_co_u32_e32 v17, vcc, v15, v9, vcc
	global_load_dword v9, v[16:17], off
.LBB71_16:
	s_or_b64 exec, exec, s[8:9]
	s_waitcnt vmcnt(0)
	ds_write_b32 v7, v9 offset:3168
	v_add_co_u32_e32 v7, vcc, v14, v5
	v_addc_co_u32_e32 v9, vcc, 0, v15, vcc
	v_mov_b32_e32 v14, s5
	v_subrev_co_u32_e32 v7, vcc, s4, v7
	v_subb_co_u32_e32 v9, vcc, v9, v14, vcc
	v_add_co_u32_e32 v7, vcc, 4, v7
	v_addc_co_u32_e32 v9, vcc, 0, v9, vcc
	v_cndmask_b32_e64 v15, v9, v3, s[2:3]
	v_cndmask_b32_e64 v14, v7, v2, s[2:3]
	v_mul_u32_u24_e32 v7, 33, v1
	s_branch .LBB71_19
.LBB71_17:
                                        ; implicit-def: $vgpr14_vgpr15
	v_mul_u32_u24_e32 v7, 33, v1
	s_cbranch_execz .LBB71_19
; %bb.18:
	s_lshl_b32 s2, s24, 3
	s_ashr_i32 s3, s2, 31
	s_lshl_b64 s[2:3], s[2:3], 2
	v_mov_b32_e32 v9, s3
	v_add_co_u32_e32 v14, vcc, s2, v2
	s_ashr_i32 s25, s24, 31
	v_addc_co_u32_e32 v15, vcc, v3, v9, vcc
	s_lshl_b64 s[2:3], s[24:25], 5
	global_load_dword v9, v[2:3], off
	global_load_dword v16, v[14:15], off
	v_mov_b32_e32 v17, s3
	v_add_co_u32_e32 v14, vcc, s2, v14
	v_addc_co_u32_e32 v15, vcc, v15, v17, vcc
	global_load_dword v18, v[14:15], off
	v_add_co_u32_e32 v14, vcc, s2, v14
	v_addc_co_u32_e32 v15, vcc, v15, v17, vcc
	global_load_dword v14, v[14:15], off
	v_add_lshl_u32 v15, v7, v0, 2
	s_waitcnt vmcnt(3)
	ds_write_b32 v15, v9
	s_waitcnt vmcnt(2)
	ds_write_b32 v15, v16 offset:1056
	s_waitcnt vmcnt(1)
	ds_write_b32 v15, v18 offset:2112
	;; [unrolled: 2-line block ×3, first 2 shown]
	v_pk_mov_b32 v[14:15], v[2:3], v[2:3] op_sel:[0,1]
.LBB71_19:
	v_lshlrev_b32_e32 v9, 2, v1
	v_mul_u32_u24_e32 v18, 33, v0
	v_cmp_gt_u32_e64 s[4:5], v9, v0
	v_add_lshl_u32 v24, v9, v18, 2
	s_waitcnt lgkmcnt(0)
	s_barrier
	s_and_saveexec_b64 s[2:3], s[4:5]
	s_cbranch_execz .LBB71_21
; %bb.20:
	v_mul_u32_u24_e32 v2, 0x84, v1
	v_add_lshl_u32 v2, v2, v0, 2
	ds_read_b32 v2, v2
	s_waitcnt lgkmcnt(0)
	ds_write_b32 v24, v2
.LBB71_21:
	s_or_b64 exec, exec, s[2:3]
	v_cmp_ge_u32_e64 s[14:15], v9, v0
	s_and_saveexec_b64 s[2:3], s[14:15]
	s_cbranch_execz .LBB71_23
; %bb.22:
	v_or_b32_e32 v2, 1, v9
	v_mul_u32_u24_e32 v2, 33, v2
	v_add_lshl_u32 v2, v2, v0, 2
	ds_read_b32 v2, v2
	s_waitcnt lgkmcnt(0)
	ds_write_b32 v24, v2 offset:4
.LBB71_23:
	s_or_b64 exec, exec, s[2:3]
	v_or_b32_e32 v2, 2, v9
	v_cmp_gt_u32_e64 s[8:9], v2, v0
	s_and_saveexec_b64 s[2:3], s[8:9]
	s_cbranch_execz .LBB71_25
; %bb.24:
	v_mul_u32_u24_e32 v2, 33, v2
	v_add_lshl_u32 v2, v2, v0, 2
	ds_read_b32 v2, v2
	s_waitcnt lgkmcnt(0)
	ds_write_b32 v24, v2 offset:8
.LBB71_25:
	s_or_b64 exec, exec, s[2:3]
	v_or_b32_e32 v2, 3, v9
	v_cmp_gt_u32_e64 s[10:11], v2, v0
	v_mad_u32_u24 v2, v2, 33, v0
	v_lshlrev_b32_e32 v21, 2, v2
	s_and_saveexec_b64 s[2:3], s[10:11]
	s_cbranch_execz .LBB71_27
; %bb.26:
	ds_read_b32 v2, v21
	s_waitcnt lgkmcnt(0)
	ds_write_b32 v24, v2 offset:12
.LBB71_27:
	s_or_b64 exec, exec, s[2:3]
	v_mul_u32_u24_e32 v2, 0x84, v1
	v_add_u32_e32 v23, 0xfffffef8, v21
	s_waitcnt lgkmcnt(0)
	s_barrier
	v_add_lshl_u32 v22, v2, v0, 2
	v_lshlrev_b32_e32 v25, 2, v9
	ds_read2_b32 v[2:3], v23 offset1:33
	ds_read_b32 v16, v22
	ds_read_b128 v[26:29], v25 offset:4544
	ds_read_b32 v31, v21
	v_add_lshl_u32 v20, v1, v18, 2
	s_waitcnt lgkmcnt(3)
	v_mov_b32_e32 v17, v2
	v_mov_b32_e32 v30, v3
	s_waitcnt lgkmcnt(1)
	v_pk_mul_f32 v[16:17], v[16:17], v[26:27]
	v_add_f32_e32 v2, 0, v16
	v_add_f32_e32 v16, v2, v17
	s_waitcnt lgkmcnt(0)
	v_pk_mul_f32 v[2:3], v[30:31], v[28:29]
	v_add_f32_e32 v2, v16, v2
	v_add_f32_e32 v2, v2, v3
	v_cmp_gt_u32_e64 s[2:3], 32, v54
	v_mov_b32_e32 v70, 0
	v_lshlrev_b32_e32 v19, 2, v18
	s_barrier
	ds_write_b32 v20, v2
	s_waitcnt lgkmcnt(0)
	s_barrier
	s_and_saveexec_b64 s[12:13], s[2:3]
	s_cbranch_execz .LBB71_29
; %bb.28:
	ds_read2_b32 v[2:3], v19 offset1:1
	ds_read2_b32 v[16:17], v19 offset0:2 offset1:3
	ds_read2_b32 v[26:27], v19 offset0:4 offset1:5
	ds_read2_b32 v[28:29], v19 offset0:6 offset1:7
	s_waitcnt lgkmcnt(3)
	v_add_f32_e32 v2, v2, v3
	s_waitcnt lgkmcnt(2)
	v_add_f32_e32 v2, v2, v16
	v_add_f32_e32 v2, v2, v17
	s_waitcnt lgkmcnt(1)
	v_add_f32_e32 v2, v2, v26
	;; [unrolled: 3-line block ×3, first 2 shown]
	v_add_f32_e32 v70, v2, v29
.LBB71_29:
	s_or_b64 exec, exec, s[12:13]
	s_lshl_b32 s28, s24, 5
	s_ashr_i32 s29, s28, 31
	s_lshl_b64 s[26:27], s[28:29], 2
	v_mov_b32_e32 v2, s27
	v_add_co_u32_e32 v16, vcc, s26, v14
	v_addc_co_u32_e32 v17, vcc, v15, v2, vcc
	v_add_co_u32_e32 v14, vcc, 0x80, v16
	v_addc_co_u32_e32 v15, vcc, 0, v17, vcc
	s_and_b64 vcc, exec, s[30:31]
	s_barrier
	s_cbranch_vccz .LBB71_39
; %bb.30:
	v_sub_co_u32_e32 v3, vcc, v14, v5
	s_ashr_i32 s17, s16, 31
	v_subbrev_co_u32_e32 v26, vcc, 0, v15, vcc
	s_lshl_b64 s[34:35], s[16:17], 2
	v_mov_b32_e32 v27, s35
	v_add_co_u32_e32 v3, vcc, s34, v3
	v_addc_co_u32_e32 v26, vcc, v26, v27, vcc
	v_or_b32_e32 v2, 32, v0
	v_add_co_u32_e32 v27, vcc, 0xffffff7c, v3
	v_addc_co_u32_e32 v3, vcc, -1, v26, vcc
	v_cmp_gt_i32_e64 s[12:13], s16, v2
	s_sub_i32 s17, s16, 32
	v_cndmask_b32_e64 v3, v3, v15, s[12:13]
	v_cndmask_b32_e64 v2, v27, v14, s[12:13]
	v_cmp_gt_i32_e32 vcc, s17, v1
	v_mov_b32_e32 v27, 0
	v_mov_b32_e32 v28, 0
	s_and_saveexec_b64 s[36:37], vcc
	s_cbranch_execz .LBB71_32
; %bb.31:
	global_load_dword v28, v[2:3], off
.LBB71_32:
	s_or_b64 exec, exec, s[36:37]
	v_add_lshl_u32 v26, v7, v0, 2
	s_waitcnt vmcnt(0)
	ds_write_b32 v26, v28
	v_add_u32_e32 v28, 8, v1
	v_cmp_gt_i32_e32 vcc, s17, v28
	s_and_saveexec_b64 s[36:37], vcc
	s_cbranch_execz .LBB71_34
; %bb.33:
	s_lshl_b32 s42, s24, 3
	s_ashr_i32 s43, s42, 31
	s_lshl_b64 s[42:43], s[42:43], 2
	v_mov_b32_e32 v27, s43
	v_add_co_u32_e32 v28, vcc, s42, v2
	v_addc_co_u32_e32 v29, vcc, v3, v27, vcc
	global_load_dword v27, v[28:29], off
.LBB71_34:
	s_or_b64 exec, exec, s[36:37]
	s_waitcnt vmcnt(0)
	ds_write_b32 v26, v27 offset:1056
	v_add_u32_e32 v27, 16, v1
	v_cmp_gt_i32_e32 vcc, s17, v27
	v_mov_b32_e32 v27, 0
	v_mov_b32_e32 v28, 0
	s_and_saveexec_b64 s[36:37], vcc
	s_cbranch_execz .LBB71_36
; %bb.35:
	s_lshl_b32 s42, s24, 4
	s_ashr_i32 s43, s42, 31
	s_lshl_b64 s[42:43], s[42:43], 2
	v_mov_b32_e32 v29, s43
	v_add_co_u32_e32 v28, vcc, s42, v2
	v_addc_co_u32_e32 v29, vcc, v3, v29, vcc
	global_load_dword v28, v[28:29], off
.LBB71_36:
	s_or_b64 exec, exec, s[36:37]
	s_waitcnt vmcnt(0)
	ds_write_b32 v26, v28 offset:2112
	v_add_u32_e32 v28, 24, v1
	v_cmp_gt_i32_e32 vcc, s17, v28
	s_and_saveexec_b64 s[36:37], vcc
	s_cbranch_execz .LBB71_38
; %bb.37:
	s_mul_i32 s42, s24, 24
	s_ashr_i32 s43, s42, 31
	s_lshl_b64 s[42:43], s[42:43], 2
	v_mov_b32_e32 v27, s43
	v_add_co_u32_e32 v28, vcc, s42, v2
	v_addc_co_u32_e32 v29, vcc, v3, v27, vcc
	global_load_dword v27, v[28:29], off
.LBB71_38:
	s_or_b64 exec, exec, s[36:37]
	v_add_co_u32_e32 v2, vcc, v2, v5
	v_addc_co_u32_e32 v3, vcc, 0, v3, vcc
	s_waitcnt vmcnt(0)
	ds_write_b32 v26, v27 offset:3168
	v_mov_b32_e32 v26, s35
	v_subrev_co_u32_e32 v2, vcc, s34, v2
	v_subb_co_u32_e32 v3, vcc, v3, v26, vcc
	v_add_co_u32_e32 v2, vcc, 0x84, v2
	v_addc_co_u32_e32 v3, vcc, 0, v3, vcc
	v_cndmask_b32_e64 v3, v3, v15, s[12:13]
	v_cndmask_b32_e64 v2, v2, v14, s[12:13]
	s_branch .LBB71_41
.LBB71_39:
                                        ; implicit-def: $vgpr2_vgpr3
	s_cbranch_execz .LBB71_41
; %bb.40:
	s_lshl_b32 s12, s24, 3
	s_ashr_i32 s13, s12, 31
	s_lshl_b64 s[12:13], s[12:13], 2
	v_mov_b32_e32 v3, s13
	v_add_co_u32_e32 v2, vcc, s12, v16
	s_ashr_i32 s25, s24, 31
	v_addc_co_u32_e32 v3, vcc, v17, v3, vcc
	s_lshl_b64 s[12:13], s[24:25], 5
	v_mov_b32_e32 v29, s13
	v_add_co_u32_e32 v26, vcc, s12, v2
	v_addc_co_u32_e32 v27, vcc, v3, v29, vcc
	v_add_co_u32_e32 v28, vcc, s12, v26
	v_addc_co_u32_e32 v29, vcc, v27, v29, vcc
	global_load_dword v30, v[16:17], off offset:128
	global_load_dword v31, v[2:3], off offset:128
	;; [unrolled: 1-line block ×4, first 2 shown]
	v_add_lshl_u32 v2, v7, v0, 2
	s_waitcnt vmcnt(3)
	ds_write_b32 v2, v30
	s_waitcnt vmcnt(2)
	ds_write_b32 v2, v31 offset:1056
	s_waitcnt vmcnt(1)
	ds_write_b32 v2, v32 offset:2112
	;; [unrolled: 2-line block ×3, first 2 shown]
	v_pk_mov_b32 v[2:3], v[14:15], v[14:15] op_sel:[0,1]
.LBB71_41:
	s_waitcnt lgkmcnt(0)
	s_barrier
	s_and_saveexec_b64 s[12:13], s[4:5]
	s_cbranch_execnz .LBB71_58
; %bb.42:
	s_or_b64 exec, exec, s[12:13]
	s_and_saveexec_b64 s[4:5], s[14:15]
	s_cbranch_execnz .LBB71_59
.LBB71_43:
	s_or_b64 exec, exec, s[4:5]
	s_and_saveexec_b64 s[4:5], s[8:9]
	s_cbranch_execnz .LBB71_60
.LBB71_44:
	s_or_b64 exec, exec, s[4:5]
	v_add_u32_e32 v25, 0x11c0, v25
	s_and_saveexec_b64 s[4:5], s[10:11]
	s_cbranch_execz .LBB71_46
.LBB71_45:
	ds_read_b32 v14, v21
	s_waitcnt lgkmcnt(0)
	ds_write_b32 v24, v14 offset:12
.LBB71_46:
	s_or_b64 exec, exec, s[4:5]
	s_waitcnt lgkmcnt(0)
	s_barrier
	ds_read_b32 v24, v22
	ds_read_b128 v[14:17], v25 offset:128
	ds_read2_b32 v[26:27], v23 offset1:33
	ds_read_b32 v28, v21
	v_cmp_eq_u32_e64 s[4:5], 1, v1
	s_waitcnt lgkmcnt(0)
	v_fma_f32 v14, v24, v14, 0
	v_fmac_f32_e32 v14, v26, v15
	v_fmac_f32_e32 v14, v27, v16
	;; [unrolled: 1-line block ×3, first 2 shown]
	s_barrier
	ds_write_b32 v20, v14
	s_waitcnt lgkmcnt(0)
	s_barrier
	s_and_saveexec_b64 s[8:9], s[4:5]
	s_cbranch_execz .LBB71_48
; %bb.47:
	ds_read2_b32 v[14:15], v19 offset1:1
	ds_read2_b32 v[16:17], v19 offset0:2 offset1:3
	ds_read2_b32 v[26:27], v19 offset0:4 offset1:5
	;; [unrolled: 1-line block ×3, first 2 shown]
	s_waitcnt lgkmcnt(3)
	v_add_f32_e32 v14, v14, v15
	s_waitcnt lgkmcnt(2)
	v_add_f32_e32 v14, v14, v16
	v_add_f32_e32 v14, v14, v17
	s_waitcnt lgkmcnt(1)
	v_add_f32_e32 v14, v14, v26
	;; [unrolled: 3-line block ×3, first 2 shown]
	v_add_f32_e32 v70, v14, v29
.LBB71_48:
	s_or_b64 exec, exec, s[8:9]
	v_add_co_u32_e32 v14, vcc, 0xffffff80, v2
	v_addc_co_u32_e32 v15, vcc, -1, v3, vcc
	s_and_b64 vcc, exec, s[30:31]
	s_barrier
	s_cbranch_vccz .LBB71_61
; %bb.49:
	v_sub_co_u32_e32 v16, vcc, v2, v5
	s_ashr_i32 s17, s16, 31
	v_subbrev_co_u32_e32 v17, vcc, 0, v3, vcc
	s_lshl_b64 s[10:11], s[16:17], 2
	v_mov_b32_e32 v24, s11
	v_add_co_u32_e32 v16, vcc, s10, v16
	v_addc_co_u32_e32 v17, vcc, v17, v24, vcc
	v_add_co_u32_e32 v16, vcc, 0xffffff7c, v16
	v_addc_co_u32_e32 v17, vcc, -1, v17, vcc
	v_cmp_gt_i32_e32 vcc, s16, v0
	s_sub_i32 s14, s16, 32
	v_cndmask_b32_e32 v17, v17, v15, vcc
	v_cndmask_b32_e32 v16, v16, v14, vcc
	v_cmp_gt_i32_e64 s[8:9], s14, v1
	v_mov_b32_e32 v26, 0
	v_mov_b32_e32 v24, 0
	s_and_saveexec_b64 s[12:13], s[8:9]
	s_cbranch_execz .LBB71_51
; %bb.50:
	global_load_dword v24, v[16:17], off
.LBB71_51:
	s_or_b64 exec, exec, s[12:13]
	v_add_lshl_u32 v28, v7, v0, 2
	s_waitcnt vmcnt(0)
	ds_write_b32 v28, v24
	v_add_u32_e32 v24, 8, v1
	v_cmp_gt_i32_e64 s[8:9], s14, v24
	s_and_saveexec_b64 s[12:13], s[8:9]
	s_cbranch_execz .LBB71_53
; %bb.52:
	s_lshl_b32 s8, s24, 3
	s_ashr_i32 s9, s8, 31
	s_lshl_b64 s[8:9], s[8:9], 2
	v_mov_b32_e32 v27, s9
	v_add_co_u32_e64 v26, s[8:9], s8, v16
	v_addc_co_u32_e64 v27, s[8:9], v17, v27, s[8:9]
	global_load_dword v26, v[26:27], off
.LBB71_53:
	s_or_b64 exec, exec, s[12:13]
	s_waitcnt vmcnt(0)
	ds_write_b32 v28, v26 offset:1056
	v_add_u32_e32 v26, 16, v1
	v_cmp_gt_i32_e64 s[8:9], s14, v26
	v_mov_b32_e32 v29, 0
	v_mov_b32_e32 v27, 0
	s_and_saveexec_b64 s[12:13], s[8:9]
	s_cbranch_execz .LBB71_55
; %bb.54:
	s_lshl_b32 s8, s24, 4
	s_ashr_i32 s9, s8, 31
	s_lshl_b64 s[8:9], s[8:9], 2
	v_mov_b32_e32 v27, s9
	v_add_co_u32_e64 v30, s[8:9], s8, v16
	v_addc_co_u32_e64 v31, s[8:9], v17, v27, s[8:9]
	global_load_dword v27, v[30:31], off
.LBB71_55:
	s_or_b64 exec, exec, s[12:13]
	s_waitcnt vmcnt(0)
	ds_write_b32 v28, v27 offset:2112
	v_add_u32_e32 v27, 24, v1
	v_cmp_gt_i32_e64 s[8:9], s14, v27
	s_and_saveexec_b64 s[12:13], s[8:9]
	s_cbranch_execz .LBB71_57
; %bb.56:
	s_mul_i32 s8, s24, 24
	s_ashr_i32 s9, s8, 31
	s_lshl_b64 s[8:9], s[8:9], 2
	v_mov_b32_e32 v29, s9
	v_add_co_u32_e64 v30, s[8:9], s8, v16
	v_addc_co_u32_e64 v31, s[8:9], v17, v29, s[8:9]
	global_load_dword v29, v[30:31], off
.LBB71_57:
	s_or_b64 exec, exec, s[12:13]
	v_add_co_u32_e64 v5, s[8:9], v16, v5
	v_addc_co_u32_e64 v16, s[8:9], 0, v17, s[8:9]
	v_mov_b32_e32 v17, s11
	v_subrev_co_u32_e64 v5, s[8:9], s10, v5
	v_subb_co_u32_e64 v16, s[8:9], v16, v17, s[8:9]
	v_add_co_u32_e64 v5, s[8:9], 4, v5
	v_addc_co_u32_e64 v16, s[8:9], 0, v16, s[8:9]
	s_waitcnt vmcnt(0)
	ds_write_b32 v28, v29 offset:3168
	v_cndmask_b32_e32 v53, v16, v15, vcc
	v_cndmask_b32_e32 v52, v5, v14, vcc
	s_branch .LBB71_63
.LBB71_58:
	ds_read_b32 v14, v22
	s_waitcnt lgkmcnt(0)
	ds_write_b32 v24, v14
	s_or_b64 exec, exec, s[12:13]
	s_and_saveexec_b64 s[4:5], s[14:15]
	s_cbranch_execz .LBB71_43
.LBB71_59:
	ds_read_b32 v14, v23
	s_waitcnt lgkmcnt(0)
	ds_write_b32 v24, v14 offset:4
	s_or_b64 exec, exec, s[4:5]
	s_and_saveexec_b64 s[4:5], s[8:9]
	s_cbranch_execz .LBB71_44
.LBB71_60:
	ds_read_b32 v14, v23 offset:132
	s_waitcnt lgkmcnt(0)
	ds_write_b32 v24, v14 offset:8
	s_or_b64 exec, exec, s[4:5]
	v_add_u32_e32 v25, 0x11c0, v25
	s_and_saveexec_b64 s[4:5], s[10:11]
	s_cbranch_execnz .LBB71_45
	s_branch .LBB71_46
.LBB71_61:
                                        ; implicit-def: $vgpr52_vgpr53
                                        ; implicit-def: $vgpr24
                                        ; implicit-def: $vgpr26
                                        ; implicit-def: $vgpr27
	s_cbranch_execz .LBB71_63
; %bb.62:
	s_lshl_b32 s8, s24, 3
	s_ashr_i32 s9, s8, 31
	s_lshl_b64 s[8:9], s[8:9], 2
	global_load_dword v5, v[2:3], off offset:-128
	v_mov_b32_e32 v16, s9
	v_add_co_u32_e32 v2, vcc, s8, v2
	s_ashr_i32 s25, s24, 31
	v_addc_co_u32_e32 v3, vcc, v3, v16, vcc
	s_lshl_b64 s[8:9], s[24:25], 5
	v_mov_b32_e32 v24, s9
	v_add_co_u32_e32 v16, vcc, s8, v2
	v_addc_co_u32_e32 v17, vcc, v3, v24, vcc
	global_load_dword v28, v[2:3], off offset:-128
	global_load_dword v29, v[16:17], off offset:-128
	v_add_co_u32_e32 v2, vcc, s8, v16
	v_addc_co_u32_e32 v3, vcc, v17, v24, vcc
	global_load_dword v2, v[2:3], off offset:-128
	v_add_lshl_u32 v0, v7, v0, 2
	v_add_u32_e32 v24, 8, v1
	v_add_u32_e32 v26, 16, v1
	;; [unrolled: 1-line block ×3, first 2 shown]
	v_pk_mov_b32 v[52:53], v[14:15], v[14:15] op_sel:[0,1]
	s_waitcnt vmcnt(3)
	ds_write_b32 v0, v5
	s_waitcnt vmcnt(2)
	ds_write_b32 v0, v28 offset:1056
	s_waitcnt vmcnt(1)
	ds_write_b32 v0, v29 offset:2112
	s_waitcnt vmcnt(0)
	ds_write_b32 v0, v2 offset:3168
.LBB71_63:
	v_add_lshl_u32 v7, v24, v18, 2
	v_lshlrev_b32_e32 v16, 2, v24
	v_add_lshl_u32 v17, v26, v18, 2
	v_lshlrev_b32_e32 v24, 2, v26
	v_add_lshl_u32 v18, v27, v18, 2
	s_waitcnt lgkmcnt(0)
	s_barrier
	v_lshlrev_b32_e32 v26, 2, v27
	ds_read_b32 v9, v9 offset:4544
	ds_read_b32 v5, v22
	ds_read_b32 v22, v20
	ds_read_b128 v[0:3], v25 offset:128
	ds_read2_b32 v[14:15], v23 offset1:33
	ds_read_b32 v23, v7
	ds_read_b32 v16, v16 offset:4544
	ds_read_b32 v17, v17
	ds_read_b32 v24, v24 offset:4544
	;; [unrolled: 2-line block ×3, first 2 shown]
	ds_read_b32 v7, v21
	s_waitcnt lgkmcnt(9)
	v_fma_f32 v9, v22, v9, 0
	s_waitcnt lgkmcnt(5)
	v_fmac_f32_e32 v9, v23, v16
	s_waitcnt lgkmcnt(3)
	v_fmac_f32_e32 v9, v17, v24
	;; [unrolled: 2-line block ×3, first 2 shown]
	s_waitcnt lgkmcnt(0)
	s_barrier
	ds_write_b32 v20, v9
	s_waitcnt lgkmcnt(0)
	s_barrier
	s_and_saveexec_b64 s[8:9], s[4:5]
	s_cbranch_execz .LBB71_65
; %bb.64:
	ds_read2_b32 v[16:17], v19 offset1:1
	ds_read2_b32 v[22:23], v19 offset0:2 offset1:3
	ds_read2_b32 v[24:25], v19 offset0:4 offset1:5
	;; [unrolled: 1-line block ×3, first 2 shown]
	s_waitcnt lgkmcnt(3)
	v_add_f32_e32 v9, v70, v16
	v_add_f32_e32 v9, v9, v17
	s_waitcnt lgkmcnt(2)
	v_add_f32_e32 v9, v9, v22
	v_add_f32_e32 v9, v9, v23
	;; [unrolled: 3-line block ×4, first 2 shown]
.LBB71_65:
	s_or_b64 exec, exec, s[8:9]
	v_fma_f32 v0, v5, v0, 0
	v_fmac_f32_e32 v0, v14, v1
	v_fmac_f32_e32 v0, v15, v2
	;; [unrolled: 1-line block ×3, first 2 shown]
	s_barrier
	ds_write_b32 v20, v0
	s_waitcnt lgkmcnt(0)
	s_barrier
	s_and_saveexec_b64 s[4:5], s[2:3]
	s_cbranch_execz .LBB71_67
; %bb.66:
	ds_read2_b32 v[0:1], v19 offset1:1
	ds_read2_b32 v[2:3], v19 offset0:2 offset1:3
	ds_read2_b32 v[14:15], v19 offset0:4 offset1:5
	ds_read2_b32 v[16:17], v19 offset0:6 offset1:7
	s_waitcnt lgkmcnt(3)
	v_add_f32_e32 v0, v70, v0
	v_add_f32_e32 v0, v0, v1
	s_waitcnt lgkmcnt(2)
	v_add_f32_e32 v0, v0, v2
	v_add_f32_e32 v0, v0, v3
	;; [unrolled: 3-line block ×4, first 2 shown]
.LBB71_67:
	s_or_b64 exec, exec, s[4:5]
	s_mul_hi_u32 s2, s40, s7
	s_mul_i32 s41, s41, s7
	s_add_i32 s2, s2, s41
	s_mul_i32 s4, s40, s7
	s_mul_i32 s2, s2, s33
	s_mul_hi_u32 s3, s4, s33
	s_add_i32 s3, s3, s2
	s_mul_i32 s2, s4, s33
	s_lshl_b64 s[2:3], s[2:3], 2
	s_add_u32 s4, s18, s2
	s_addc_u32 s5, s19, s3
	s_mul_hi_i32 s3, s40, s6
	s_mul_i32 s2, s40, s6
	s_lshl_b64 s[2:3], s[2:3], 2
	s_add_u32 s7, s4, s2
	s_addc_u32 s17, s5, s3
	s_add_i32 s4, s6, 1
	s_cmp_ge_u32 s4, s33
	v_lshlrev_b32_e32 v71, 2, v6
	s_barrier
	s_cbranch_scc1 .LBB71_124
; %bb.68:
	s_mul_i32 s2, s22, s39
	s_ashr_i32 s3, s2, 31
	v_lshlrev_b32_e32 v72, 2, v51
	s_lshl_b64 s[2:3], s[2:3], 2
	v_mov_b32_e32 v0, s3
	v_subrev_co_u32_e32 v73, vcc, s2, v12
	v_mad_u64_u32 v[18:19], s[2:3], v72, s24, v[6:7]
	v_ashrrev_i32_e32 v19, 31, v18
	v_subb_co_u32_e32 v74, vcc, v13, v0, vcc
	s_lshl_b32 s2, s24, 4
	v_lshlrev_b64 v[2:3], 2, v[18:19]
	v_mov_b32_e32 v1, s27
	v_add_co_u32_e32 v0, vcc, s26, v52
	s_lshl_b32 s30, s39, 6
	s_ashr_i32 s3, s2, 31
	s_ashr_i32 s25, s24, 31
	s_lshl_b32 s14, s24, 1
	s_mul_i32 s18, s24, 3
	s_mul_i32 s39, s39, s4
	v_mad_i64_i32 v[2:3], s[4:5], v8, -4, v[2:3]
	v_addc_co_u32_e32 v1, vcc, v53, v1, vcc
	s_add_i32 s23, s33, -2
	s_ashr_i32 s15, s14, 31
	s_ashr_i32 s19, s18, 31
	s_lshl_b64 s[8:9], s[24:25], 2
	s_lshl_b32 s10, s39, 6
	s_lshl_b64 s[12:13], s[2:3], 4
	s_lshl_b64 s[4:5], s[24:25], 3
	v_sub_co_u32_e32 v75, vcc, 0, v10
	s_add_u32 s11, s4, s26
	v_subb_co_u32_e32 v76, vcc, 0, v11, vcc
	s_addc_u32 s31, s5, s27
	v_mov_b32_e32 v5, s31
	v_add_co_u32_e32 v8, vcc, s11, v52
	v_addc_co_u32_e32 v5, vcc, v53, v5, vcc
	v_mov_b32_e32 v7, s29
	v_add_co_u32_e32 v10, vcc, s28, v18
	v_addc_co_u32_e32 v11, vcc, v7, v19, vcc
	v_lshlrev_b64 v[22:23], 2, v[10:11]
	v_mad_i64_i32 v[10:11], s[34:35], s24, 12, v[22:23]
	v_add_co_u32_e32 v10, vcc, v52, v10
	s_add_u32 s39, s8, s26
	v_addc_co_u32_e32 v7, vcc, v53, v11, vcc
	s_addc_u32 s40, s9, s27
	s_lshl_b64 s[14:15], s[14:15], 2
	v_mov_b32_e32 v9, s40
	v_add_co_u32_e32 v12, vcc, s39, v52
	s_add_u32 s34, s26, s14
	v_addc_co_u32_e32 v9, vcc, v53, v9, vcc
	s_addc_u32 s35, s27, s15
	s_lshl_b64 s[18:19], s[18:19], 2
	v_mov_b32_e32 v11, s35
	v_add_co_u32_e32 v14, vcc, s34, v52
	s_add_u32 s34, s26, s18
	v_addc_co_u32_e32 v11, vcc, v53, v11, vcc
	s_addc_u32 s35, s27, s19
	v_mov_b32_e32 v13, s35
	v_add_co_u32_e32 v16, vcc, s34, v52
	s_lshl_b64 s[34:35], s[2:3], 2
	s_add_u32 s41, s26, s34
	s_addc_u32 s42, s27, s35
	s_add_u32 s39, s39, s34
	s_addc_u32 s40, s40, s35
	;; [unrolled: 2-line block ×5, first 2 shown]
	s_add_u32 s28, s28, s2
	v_addc_co_u32_e32 v13, vcc, v53, v13, vcc
	s_addc_u32 s29, s29, s3
	v_mov_b32_e32 v15, s29
	v_add_co_u32_e32 v18, vcc, s28, v18
	v_addc_co_u32_e32 v19, vcc, v15, v19, vcc
	v_lshlrev_b64 v[18:19], 2, v[18:19]
	v_mad_i64_i32 v[18:19], s[28:29], s24, 12, v[18:19]
	s_lshl_b64 s[28:29], s[2:3], 3
	s_add_u32 s47, s28, s26
	s_addc_u32 s48, s29, s27
	s_add_u32 s49, s47, s8
	s_addc_u32 s50, s48, s9
	;; [unrolled: 2-line block ×4, first 2 shown]
	s_add_u32 s11, s11, s28
	s_mul_i32 s37, s24, 12
	s_addc_u32 s31, s31, s29
	s_mul_hi_i32 s36, s24, 12
	v_add_co_u32_e32 v18, vcc, v52, v18
	s_add_u32 s26, s37, s28
	v_addc_co_u32_e32 v15, vcc, v53, v19, vcc
	s_addc_u32 s27, s36, s29
	v_mov_b32_e32 v17, s27
	v_add_co_u32_e32 v41, vcc, s26, v22
	v_addc_co_u32_e32 v43, vcc, v17, v23, vcc
	v_mad_i64_i32 v[24:25], s[26:27], s2, 12, v[22:23]
	v_add_co_u32_e32 v20, vcc, v52, v24
	v_addc_co_u32_e32 v17, vcc, v53, v25, vcc
	v_mov_b32_e32 v19, s9
	v_add_co_u32_e32 v45, vcc, s8, v24
	v_addc_co_u32_e32 v47, vcc, v25, v19, vcc
	v_mov_b32_e32 v19, s15
	v_add_co_u32_e32 v48, vcc, s14, v24
	s_mul_i32 s28, s24, 0xc0
	v_addc_co_u32_e32 v49, vcc, v25, v19, vcc
	s_mul_hi_i32 s29, s2, 12
	v_mov_b32_e32 v19, s19
	v_add_co_u32_e32 v50, vcc, s18, v24
	s_add_u32 s4, s28, s4
	v_addc_co_u32_e32 v55, vcc, v25, v19, vcc
	s_addc_u32 s5, s29, s5
	v_mov_b32_e32 v19, s5
	v_add_co_u32_e32 v56, vcc, s4, v22
	s_add_u32 s2, s24, s2
	v_addc_co_u32_e32 v57, vcc, v19, v23, vcc
	s_addc_u32 s4, s25, s3
	v_mad_u64_u32 v[22:23], s[2:3], s2, 12, v[22:23]
	v_mov_b32_e32 v24, v23
	v_mad_u64_u32 v[24:25], s[2:3], s4, 12, v[24:25]
	v_mov_b32_e32 v19, v24
	v_add_co_u32_e32 v22, vcc, v52, v22
	v_addc_co_u32_e32 v19, vcc, v53, v19, vcc
	v_mov_b32_e32 v21, s42
	v_add_co_u32_e32 v24, vcc, s41, v52
	v_addc_co_u32_e32 v21, vcc, v53, v21, vcc
	;; [unrolled: 3-line block ×11, first 2 shown]
	v_add_co_u32_e32 v44, vcc, v52, v41
	v_addc_co_u32_e32 v41, vcc, v53, v43, vcc
	v_add_co_u32_e32 v46, vcc, v52, v45
	v_addc_co_u32_e32 v43, vcc, v53, v47, vcc
	;; [unrolled: 2-line block ×5, first 2 shown]
	s_movk_i32 s4, 0x10c
	v_and_b32_e32 v55, 15, v6
	v_or_b32_e32 v57, 60, v71
	v_cmp_gt_u32_e64 s[2:3], 64, v54
	v_and_b32_e32 v56, 48, v6
	v_mad_u32_u24 v77, v55, s4, v57
	v_lshrrev_b32_e32 v57, 4, v54
	v_and_b32_e32 v54, 0x1fff0, v54
	v_lshlrev_b32_e32 v53, 2, v56
	v_mad_u32_u24 v78, v55, s4, v54
	v_mov_b32_e32 v54, 0x10c0
	v_mad_u32_u24 v53, v55, s4, v53
	v_lshl_add_u32 v79, v51, 4, v54
	s_movk_i32 s4, 0x430
	v_mul_i32_i24_e32 v57, -12, v57
	v_add_u32_e32 v54, s22, v56
	v_add3_u32 v54, v54, v55, 64
	v_add_u32_e32 v80, v78, v57
	v_add_u32_e32 v81, 0x10c0, v71
	;; [unrolled: 1-line block ×3, first 2 shown]
	v_or_b32_e32 v83, 1, v72
	v_or_b32_e32 v84, 2, v72
	;; [unrolled: 1-line block ×3, first 2 shown]
	v_mad_u32_u24 v86, v51, s4, v71
	v_add_u32_e32 v87, 16, v72
	v_add_u32_e32 v88, 17, v72
	;; [unrolled: 1-line block ×12, first 2 shown]
	s_cmp_eq_u32 s23, s6
	s_cselect_b32 s18, s38, 0
	s_and_saveexec_b64 s[4:5], s[0:1]
	s_cbranch_execz .LBB71_72
.LBB71_69:
	s_cmp_eq_u32 s18, 0
	s_cselect_b64 s[8:9], -1, 0
	v_cmp_gt_i32_e32 vcc, s18, v6
	s_or_b64 s[14:15], s[8:9], vcc
	v_mov_b32_e32 v55, 0
	s_and_saveexec_b64 s[8:9], s[14:15]
	s_cbranch_execz .LBB71_71
; %bb.70:
	s_ashr_i32 s11, s10, 31
	s_lshl_b64 s[14:15], s[10:11], 2
	v_mov_b32_e32 v55, s15
	v_add_co_u32_e32 v56, vcc, s14, v73
	v_addc_co_u32_e32 v57, vcc, v74, v55, vcc
	global_load_dword v55, v[56:57], off
.LBB71_71:
	s_or_b64 exec, exec, s[8:9]
	s_waitcnt vmcnt(0)
	ds_write_b32 v81, v55
.LBB71_72:                              ; =>This Inner Loop Header: Depth=1
	s_or_b64 exec, exec, s[4:5]
	s_cmp_eq_u32 s18, 0
	v_add_co_u32_e32 v56, vcc, v0, v2
	s_cselect_b64 s[14:15], -1, 0
	s_cmp_lg_u32 s18, 0
	v_addc_co_u32_e32 v57, vcc, v1, v3, vcc
	s_cselect_b64 s[8:9], -1, 0
	s_and_b64 vcc, exec, s[8:9]
	s_waitcnt lgkmcnt(0)
	s_barrier
	s_cbranch_vccz .LBB71_120
; %bb.73:                               ;   in Loop: Header=BB71_72 Depth=1
	v_cmp_gt_i32_e32 vcc, s18, v72
	v_mov_b32_e32 v100, 0
	v_mov_b32_e32 v99, 0
	s_and_saveexec_b64 s[4:5], vcc
	s_cbranch_execz .LBB71_75
; %bb.74:                               ;   in Loop: Header=BB71_72 Depth=1
	global_load_dword v99, v[56:57], off
.LBB71_75:                              ;   in Loop: Header=BB71_72 Depth=1
	s_or_b64 exec, exec, s[4:5]
	v_cmp_gt_i32_e32 vcc, s18, v83
	s_and_saveexec_b64 s[4:5], vcc
	s_cbranch_execz .LBB71_77
; %bb.76:                               ;   in Loop: Header=BB71_72 Depth=1
	v_add_co_u32_e32 v58, vcc, v12, v2
	v_addc_co_u32_e32 v59, vcc, v9, v3, vcc
	global_load_dword v100, v[58:59], off
.LBB71_77:                              ;   in Loop: Header=BB71_72 Depth=1
	s_or_b64 exec, exec, s[4:5]
	v_cmp_gt_i32_e32 vcc, s18, v84
	v_mov_b32_e32 v102, 0
	v_mov_b32_e32 v101, 0
	s_and_saveexec_b64 s[4:5], vcc
	s_cbranch_execz .LBB71_79
; %bb.78:                               ;   in Loop: Header=BB71_72 Depth=1
	v_add_co_u32_e32 v58, vcc, v14, v2
	v_addc_co_u32_e32 v59, vcc, v11, v3, vcc
	global_load_dword v101, v[58:59], off
.LBB71_79:                              ;   in Loop: Header=BB71_72 Depth=1
	s_or_b64 exec, exec, s[4:5]
	v_cmp_gt_i32_e32 vcc, s18, v85
	s_and_saveexec_b64 s[4:5], vcc
	s_cbranch_execz .LBB71_81
; %bb.80:                               ;   in Loop: Header=BB71_72 Depth=1
	v_add_co_u32_e32 v58, vcc, v16, v2
	v_addc_co_u32_e32 v59, vcc, v13, v3, vcc
	global_load_dword v102, v[58:59], off
.LBB71_81:                              ;   in Loop: Header=BB71_72 Depth=1
	s_or_b64 exec, exec, s[4:5]
	s_branch .LBB71_83
.LBB71_82:                              ;   in Loop: Header=BB71_72 Depth=1
	global_load_dword v99, v[56:57], off
	v_add_co_u32_e32 v56, vcc, v12, v2
	v_addc_co_u32_e32 v57, vcc, v9, v3, vcc
	global_load_dword v100, v[56:57], off
	v_add_co_u32_e32 v56, vcc, v8, v2
	v_addc_co_u32_e32 v57, vcc, v5, v3, vcc
	;; [unrolled: 3-line block ×3, first 2 shown]
	global_load_dword v102, v[56:57], off
.LBB71_83:                              ;   in Loop: Header=BB71_72 Depth=1
	ds_read_b32 v55, v82
	ds_read_b32 v103, v79
	s_andn2_b64 vcc, exec, s[8:9]
	s_waitcnt vmcnt(0) lgkmcnt(1)
	v_mul_f32_e32 v56, v99, v55
	v_mul_f32_e32 v57, v100, v55
	ds_write_b32 v86, v56
	v_mul_f32_e32 v58, v101, v55
	ds_read_b32 v104, v79 offset:4
	ds_write_b32 v86, v57 offset:268
	ds_read_b32 v105, v79 offset:8
	ds_write_b32 v86, v58 offset:536
	v_mul_f32_e32 v55, v102, v55
	ds_read_b32 v106, v79 offset:12
	ds_write_b32 v86, v55 offset:804
	s_waitcnt lgkmcnt(0)
	s_barrier
	ds_read2_b32 v[58:59], v78 offset1:1
	ds_read2_b32 v[56:57], v78 offset0:2 offset1:3
	v_cndmask_b32_e64 v55, 0, 1, s[8:9]
	v_add_co_u32_e64 v60, s[8:9], v24, v2
	v_cmp_ne_u32_e64 s[4:5], 1, v55
	v_addc_co_u32_e64 v61, s[8:9], v21, v3, s[8:9]
	s_waitcnt lgkmcnt(0)
	s_barrier
	s_cbranch_vccnz .LBB71_121
; %bb.84:                               ;   in Loop: Header=BB71_72 Depth=1
	v_cmp_gt_i32_e32 vcc, s18, v87
	v_mov_b32_e32 v108, 0
	v_mov_b32_e32 v107, 0
	s_and_saveexec_b64 s[8:9], vcc
	s_cbranch_execz .LBB71_86
; %bb.85:                               ;   in Loop: Header=BB71_72 Depth=1
	global_load_dword v107, v[60:61], off
.LBB71_86:                              ;   in Loop: Header=BB71_72 Depth=1
	s_or_b64 exec, exec, s[8:9]
	v_cmp_gt_i32_e32 vcc, s18, v88
	s_and_saveexec_b64 s[8:9], vcc
	s_cbranch_execz .LBB71_88
; %bb.87:                               ;   in Loop: Header=BB71_72 Depth=1
	v_add_co_u32_e32 v62, vcc, v26, v2
	v_addc_co_u32_e32 v63, vcc, v23, v3, vcc
	global_load_dword v108, v[62:63], off
.LBB71_88:                              ;   in Loop: Header=BB71_72 Depth=1
	s_or_b64 exec, exec, s[8:9]
	v_cmp_gt_i32_e32 vcc, s18, v89
	v_mov_b32_e32 v110, 0
	v_mov_b32_e32 v109, 0
	s_and_saveexec_b64 s[8:9], vcc
	s_cbranch_execz .LBB71_90
; %bb.89:                               ;   in Loop: Header=BB71_72 Depth=1
	v_add_co_u32_e32 v62, vcc, v28, v2
	v_addc_co_u32_e32 v63, vcc, v25, v3, vcc
	global_load_dword v109, v[62:63], off
.LBB71_90:                              ;   in Loop: Header=BB71_72 Depth=1
	s_or_b64 exec, exec, s[8:9]
	v_cmp_gt_i32_e32 vcc, s18, v90
	s_and_saveexec_b64 s[8:9], vcc
	s_cbranch_execz .LBB71_92
; %bb.91:                               ;   in Loop: Header=BB71_72 Depth=1
	v_add_co_u32_e32 v62, vcc, v30, v2
	v_addc_co_u32_e32 v63, vcc, v27, v3, vcc
	global_load_dword v110, v[62:63], off
.LBB71_92:                              ;   in Loop: Header=BB71_72 Depth=1
	s_or_b64 exec, exec, s[8:9]
	s_branch .LBB71_94
.LBB71_93:                              ;   in Loop: Header=BB71_72 Depth=1
	global_load_dword v107, v[60:61], off
	v_add_co_u32_e32 v60, vcc, v26, v2
	v_addc_co_u32_e32 v61, vcc, v23, v3, vcc
	global_load_dword v108, v[60:61], off
	v_add_co_u32_e32 v60, vcc, v32, v2
	v_addc_co_u32_e32 v61, vcc, v29, v3, vcc
	;; [unrolled: 3-line block ×3, first 2 shown]
	global_load_dword v110, v[60:61], off
.LBB71_94:                              ;   in Loop: Header=BB71_72 Depth=1
	ds_read_b32 v55, v82
	ds_read_b32 v111, v79 offset:64
	v_add_co_u32_e64 v64, s[8:9], v34, v2
	s_and_b64 vcc, exec, s[4:5]
	s_waitcnt vmcnt(0) lgkmcnt(1)
	v_mul_f32_e32 v60, v107, v55
	v_mul_f32_e32 v61, v108, v55
	ds_write_b32 v86, v60
	v_mul_f32_e32 v62, v109, v55
	ds_read_b32 v112, v79 offset:68
	ds_write_b32 v86, v61 offset:268
	ds_read_b32 v113, v79 offset:72
	ds_write_b32 v86, v62 offset:536
	v_mul_f32_e32 v55, v110, v55
	ds_read_b32 v114, v79 offset:76
	ds_write_b32 v86, v55 offset:804
	s_waitcnt lgkmcnt(0)
	s_barrier
	ds_read2_b32 v[62:63], v78 offset1:1
	ds_read2_b32 v[60:61], v78 offset0:2 offset1:3
	v_addc_co_u32_e64 v65, s[8:9], v31, v3, s[8:9]
	s_waitcnt lgkmcnt(0)
	s_barrier
	s_cbranch_vccnz .LBB71_122
; %bb.95:                               ;   in Loop: Header=BB71_72 Depth=1
	v_cmp_gt_i32_e32 vcc, s18, v91
	v_mov_b32_e32 v116, 0
	v_mov_b32_e32 v115, 0
	s_and_saveexec_b64 s[8:9], vcc
	s_cbranch_execz .LBB71_97
; %bb.96:                               ;   in Loop: Header=BB71_72 Depth=1
	global_load_dword v115, v[64:65], off
.LBB71_97:                              ;   in Loop: Header=BB71_72 Depth=1
	s_or_b64 exec, exec, s[8:9]
	v_cmp_gt_i32_e32 vcc, s18, v92
	s_and_saveexec_b64 s[8:9], vcc
	s_cbranch_execz .LBB71_99
; %bb.98:                               ;   in Loop: Header=BB71_72 Depth=1
	v_add_co_u32_e32 v66, vcc, v36, v2
	v_addc_co_u32_e32 v67, vcc, v33, v3, vcc
	global_load_dword v116, v[66:67], off
.LBB71_99:                              ;   in Loop: Header=BB71_72 Depth=1
	s_or_b64 exec, exec, s[8:9]
	v_cmp_gt_i32_e32 vcc, s18, v93
	v_mov_b32_e32 v118, 0
	v_mov_b32_e32 v117, 0
	s_and_saveexec_b64 s[8:9], vcc
	s_cbranch_execz .LBB71_101
; %bb.100:                              ;   in Loop: Header=BB71_72 Depth=1
	v_add_co_u32_e32 v66, vcc, v38, v2
	v_addc_co_u32_e32 v67, vcc, v35, v3, vcc
	global_load_dword v117, v[66:67], off
.LBB71_101:                             ;   in Loop: Header=BB71_72 Depth=1
	s_or_b64 exec, exec, s[8:9]
	v_cmp_gt_i32_e32 vcc, s18, v94
	s_and_saveexec_b64 s[8:9], vcc
	s_cbranch_execz .LBB71_103
; %bb.102:                              ;   in Loop: Header=BB71_72 Depth=1
	v_add_co_u32_e32 v66, vcc, v40, v2
	v_addc_co_u32_e32 v67, vcc, v37, v3, vcc
	global_load_dword v118, v[66:67], off
.LBB71_103:                             ;   in Loop: Header=BB71_72 Depth=1
	s_or_b64 exec, exec, s[8:9]
	s_branch .LBB71_105
.LBB71_104:                             ;   in Loop: Header=BB71_72 Depth=1
	global_load_dword v115, v[64:65], off
	v_add_co_u32_e32 v64, vcc, v36, v2
	v_addc_co_u32_e32 v65, vcc, v33, v3, vcc
	global_load_dword v116, v[64:65], off
	v_add_co_u32_e32 v64, vcc, v42, v2
	v_addc_co_u32_e32 v65, vcc, v39, v3, vcc
	;; [unrolled: 3-line block ×3, first 2 shown]
	global_load_dword v118, v[64:65], off
.LBB71_105:                             ;   in Loop: Header=BB71_72 Depth=1
	ds_read_b32 v55, v82
	ds_read_b32 v119, v79 offset:128
	s_and_b64 vcc, exec, s[4:5]
	v_add_co_u32_e64 v68, s[4:5], v20, v75
	s_waitcnt vmcnt(0) lgkmcnt(1)
	v_mul_f32_e32 v64, v115, v55
	v_mul_f32_e32 v65, v116, v55
	ds_write_b32 v86, v64
	v_mul_f32_e32 v66, v117, v55
	ds_read_b32 v120, v79 offset:132
	ds_write_b32 v86, v65 offset:268
	ds_read_b32 v121, v79 offset:136
	ds_write_b32 v86, v66 offset:536
	v_mul_f32_e32 v55, v118, v55
	ds_read_b32 v122, v79 offset:140
	ds_write_b32 v86, v55 offset:804
	s_waitcnt lgkmcnt(0)
	s_barrier
	ds_read2_b32 v[66:67], v78 offset1:1
	ds_read2_b32 v[64:65], v78 offset0:2 offset1:3
	v_addc_co_u32_e64 v69, s[4:5], v17, v76, s[4:5]
	s_waitcnt lgkmcnt(0)
	s_barrier
	s_cbranch_vccnz .LBB71_123
; %bb.106:                              ;   in Loop: Header=BB71_72 Depth=1
	v_cmp_gt_i32_e32 vcc, s18, v95
	v_mov_b32_e32 v124, 0
	v_mov_b32_e32 v123, 0
	s_and_saveexec_b64 s[4:5], vcc
	s_cbranch_execz .LBB71_108
; %bb.107:                              ;   in Loop: Header=BB71_72 Depth=1
	global_load_dword v123, v[68:69], off
.LBB71_108:                             ;   in Loop: Header=BB71_72 Depth=1
	s_or_b64 exec, exec, s[4:5]
	v_cmp_gt_i32_e32 vcc, s18, v96
	s_and_saveexec_b64 s[4:5], vcc
	s_cbranch_execz .LBB71_110
; %bb.109:                              ;   in Loop: Header=BB71_72 Depth=1
	v_add_co_u32_e32 v124, vcc, v46, v75
	v_addc_co_u32_e32 v125, vcc, v43, v76, vcc
	global_load_dword v124, v[124:125], off
.LBB71_110:                             ;   in Loop: Header=BB71_72 Depth=1
	s_or_b64 exec, exec, s[4:5]
	v_cmp_gt_i32_e32 vcc, s18, v97
	v_mov_b32_e32 v126, 0
	v_mov_b32_e32 v125, 0
	s_and_saveexec_b64 s[4:5], vcc
	s_cbranch_execz .LBB71_112
; %bb.111:                              ;   in Loop: Header=BB71_72 Depth=1
	v_add_co_u32_e32 v128, vcc, v48, v75
	v_addc_co_u32_e32 v129, vcc, v45, v76, vcc
	global_load_dword v125, v[128:129], off
.LBB71_112:                             ;   in Loop: Header=BB71_72 Depth=1
	s_or_b64 exec, exec, s[4:5]
	v_cmp_gt_i32_e32 vcc, s18, v98
	s_and_saveexec_b64 s[4:5], vcc
	s_cbranch_execz .LBB71_114
; %bb.113:                              ;   in Loop: Header=BB71_72 Depth=1
	v_add_co_u32_e32 v126, vcc, v50, v75
	v_addc_co_u32_e32 v127, vcc, v47, v76, vcc
	global_load_dword v126, v[126:127], off
.LBB71_114:                             ;   in Loop: Header=BB71_72 Depth=1
	s_or_b64 exec, exec, s[4:5]
	s_branch .LBB71_116
.LBB71_115:                             ;   in Loop: Header=BB71_72 Depth=1
	global_load_dword v123, v[68:69], off
	v_add_co_u32_e32 v68, vcc, v46, v75
	v_addc_co_u32_e32 v69, vcc, v43, v76, vcc
	global_load_dword v124, v[68:69], off
	v_add_co_u32_e32 v68, vcc, v52, v75
	v_addc_co_u32_e32 v69, vcc, v49, v76, vcc
	;; [unrolled: 3-line block ×3, first 2 shown]
	global_load_dword v126, v[68:69], off
.LBB71_116:                             ;   in Loop: Header=BB71_72 Depth=1
	v_add_f32_e32 v62, 0, v62
	v_add_f32_e32 v62, v62, v63
	ds_read_b32 v63, v82
	v_add_f32_e32 v60, v62, v60
	v_add_f32_e32 v55, 0, v66
	;; [unrolled: 1-line block ×4, first 2 shown]
	ds_read_b32 v58, v79 offset:192
	s_waitcnt vmcnt(0) lgkmcnt(1)
	v_mul_f32_e32 v60, v123, v63
	ds_write_b32 v86, v60
	v_mul_f32_e32 v61, v124, v63
	v_add_f32_e32 v55, v55, v67
	ds_read_b32 v60, v79 offset:196
	ds_write_b32 v86, v61 offset:268
	v_mul_f32_e32 v62, v125, v63
	v_add_f32_e32 v55, v55, v64
	ds_read_b32 v61, v79 offset:200
	ds_write_b32 v86, v62 offset:536
	v_mul_f32_e32 v63, v126, v63
	v_add_f32_e32 v55, v55, v65
	ds_read_b32 v62, v79 offset:204
	ds_write_b32 v86, v63 offset:804
	s_waitcnt lgkmcnt(0)
	s_barrier
	ds_read2_b32 v[64:65], v78 offset1:1
	v_add_f32_e32 v59, v66, v59
	ds_read2_b32 v[66:67], v78 offset0:2 offset1:3
	v_add_f32_e32 v56, v59, v56
	v_add_f32_e32 v56, v56, v57
	s_waitcnt lgkmcnt(1)
	v_add_f32_e32 v57, 0, v64
	v_cmp_gt_i32_e32 vcc, s18, v6
	v_add_f32_e32 v57, v57, v65
	s_or_b64 s[4:5], s[14:15], vcc
	s_waitcnt lgkmcnt(0)
	v_add_f32_e32 v57, v57, v66
	s_and_b64 s[8:9], s[2:3], s[4:5]
	v_add_f32_e32 v57, v57, v67
	s_barrier
	ds_write2_b32 v80, v56, v68 offset1:16
	ds_write2_b32 v80, v55, v57 offset0:32 offset1:48
	s_waitcnt lgkmcnt(0)
	s_barrier
	s_and_saveexec_b64 s[4:5], s[8:9]
	s_cbranch_execz .LBB71_118
; %bb.117:                              ;   in Loop: Header=BB71_72 Depth=1
	ds_read2_b32 v[56:57], v53 offset1:1
	ds_read2_b32 v[64:65], v53 offset0:2 offset1:3
	ds_read2_b32 v[66:67], v53 offset0:4 offset1:5
	;; [unrolled: 1-line block ×3, first 2 shown]
	s_waitcnt lgkmcnt(3)
	v_add_f32_e32 v55, v56, v57
	s_waitcnt lgkmcnt(2)
	v_add_f32_e32 v55, v55, v64
	v_add_f32_e32 v55, v55, v65
	ds_read2_b32 v[56:57], v53 offset0:8 offset1:9
	s_waitcnt lgkmcnt(2)
	v_add_f32_e32 v55, v55, v66
	v_add_f32_e32 v55, v55, v67
	s_waitcnt lgkmcnt(1)
	v_add_f32_e32 v55, v55, v68
	v_add_f32_e32 v55, v55, v69
	ds_read2_b32 v[64:65], v53 offset0:10 offset1:11
	ds_read2_b32 v[66:67], v53 offset0:12 offset1:13
	ds_read_b32 v59, v53 offset:56
	s_waitcnt lgkmcnt(3)
	v_add_f32_e32 v55, v55, v56
	v_add_f32_e32 v55, v55, v57
	s_waitcnt lgkmcnt(2)
	v_add_f32_e32 v55, v55, v64
	ds_read_b32 v56, v77
	v_add_f32_e32 v55, v55, v65
	s_waitcnt lgkmcnt(2)
	v_add_f32_e32 v55, v55, v66
	v_add_f32_e32 v55, v55, v67
	s_waitcnt lgkmcnt(1)
	v_add_f32_e32 v55, v55, v59
	s_waitcnt lgkmcnt(0)
	v_add_f32_e32 v59, v55, v56
	v_ashrrev_i32_e32 v55, 31, v54
	v_lshlrev_b64 v[56:57], 2, v[54:55]
	v_mov_b32_e32 v55, s17
	v_add_co_u32_e32 v56, vcc, s7, v56
	v_addc_co_u32_e32 v57, vcc, v55, v57, vcc
	global_store_dword v[56:57], v59, off
.LBB71_118:                             ;   in Loop: Header=BB71_72 Depth=1
	s_or_b64 exec, exec, s[4:5]
	v_mov_b32_e32 v55, s13
	v_add_co_u32_e32 v0, vcc, s12, v0
	v_addc_co_u32_e32 v1, vcc, v1, v55, vcc
	v_add_co_u32_e32 v8, vcc, s12, v8
	v_addc_co_u32_e32 v5, vcc, v5, v55, vcc
	;; [unrolled: 2-line block ×16, first 2 shown]
	v_fmac_f32_e32 v70, v99, v103
	v_add_co_u32_e32 v42, vcc, s12, v42
	v_fmac_f32_e32 v70, v100, v104
	v_addc_co_u32_e32 v39, vcc, v39, v55, vcc
	v_fmac_f32_e32 v70, v101, v105
	v_add_co_u32_e32 v44, vcc, s12, v44
	v_fmac_f32_e32 v70, v102, v106
	v_addc_co_u32_e32 v41, vcc, v41, v55, vcc
	;; [unrolled: 4-line block ×7, first 2 shown]
	v_fmac_f32_e32 v70, v125, v61
	s_add_i32 s4, s6, 1
	s_add_i32 s10, s10, s30
	;; [unrolled: 1-line block ×3, first 2 shown]
	v_add_co_u32_e32 v22, vcc, s12, v22
	v_fmac_f32_e32 v70, v126, v62
	v_add_u32_e32 v54, 64, v54
	s_cmp_ge_u32 s5, s33
	v_addc_co_u32_e32 v19, vcc, v19, v55, vcc
	s_barrier
	s_cbranch_scc1 .LBB71_124
; %bb.119:                              ;   in Loop: Header=BB71_72 Depth=1
	s_mov_b32 s6, s4
	s_cmp_eq_u32 s23, s6
	s_cselect_b32 s18, s38, 0
	s_and_saveexec_b64 s[4:5], s[0:1]
	s_cbranch_execnz .LBB71_69
	s_branch .LBB71_72
.LBB71_120:                             ;   in Loop: Header=BB71_72 Depth=1
                                        ; implicit-def: $vgpr102
                                        ; implicit-def: $vgpr101
                                        ; implicit-def: $vgpr100
                                        ; implicit-def: $vgpr99
	s_cbranch_execnz .LBB71_82
	s_branch .LBB71_83
.LBB71_121:                             ;   in Loop: Header=BB71_72 Depth=1
                                        ; implicit-def: $vgpr110
                                        ; implicit-def: $vgpr109
                                        ; implicit-def: $vgpr108
                                        ; implicit-def: $vgpr107
	s_cbranch_execnz .LBB71_93
	s_branch .LBB71_94
.LBB71_122:                             ;   in Loop: Header=BB71_72 Depth=1
                                        ; implicit-def: $vgpr118
                                        ; implicit-def: $vgpr117
                                        ; implicit-def: $vgpr116
                                        ; implicit-def: $vgpr115
	s_cbranch_execnz .LBB71_104
	s_branch .LBB71_105
.LBB71_123:                             ;   in Loop: Header=BB71_72 Depth=1
                                        ; implicit-def: $vgpr126
                                        ; implicit-def: $vgpr125
                                        ; implicit-def: $vgpr124
                                        ; implicit-def: $vgpr123
	s_cbranch_execnz .LBB71_115
	s_branch .LBB71_116
.LBB71_124:
	s_movk_i32 s2, 0x10c
	v_cmp_gt_i32_e32 vcc, s16, v6
	v_mad_u32_u24 v0, v51, s2, v71
	s_or_b64 s[2:3], s[20:21], vcc
	s_and_b64 s[0:1], s[0:1], s[2:3]
	ds_write_b32 v0, v70
	s_waitcnt lgkmcnt(0)
	s_barrier
	s_and_saveexec_b64 s[2:3], s[0:1]
	s_cbranch_execz .LBB71_126
; %bb.125:
	ds_read2_b32 v[0:1], v71 offset1:67
	ds_read2_b32 v[2:3], v71 offset0:134 offset1:201
	v_ashrrev_i32_e32 v5, 31, v4
	v_lshlrev_b64 v[4:5], 2, v[4:5]
	v_mov_b32_e32 v6, s17
	s_waitcnt lgkmcnt(1)
	v_add_f32_e32 v0, v0, v1
	s_waitcnt lgkmcnt(0)
	v_add_f32_e32 v0, v0, v2
	v_add_f32_e32 v2, v0, v3
	v_add_co_u32_e32 v0, vcc, s7, v4
	v_addc_co_u32_e32 v1, vcc, v6, v5, vcc
	global_store_dword v[0:1], v2, off
.LBB71_126:
	s_endpgm
	.section	.rodata,"a",@progbits
	.p2align	6, 0x0
	.amdhsa_kernel _ZL26rocblas_hemvn_kernel_upperILb0ELi64ELi4ELi33ELi32ELi16EiPKfS1_PfEviT6_lT7_lT5_lS4_lS5_lS3_lT8_i
		.amdhsa_group_segment_fixed_size 4800
		.amdhsa_private_segment_fixed_size 0
		.amdhsa_kernarg_size 376
		.amdhsa_user_sgpr_count 6
		.amdhsa_user_sgpr_private_segment_buffer 1
		.amdhsa_user_sgpr_dispatch_ptr 0
		.amdhsa_user_sgpr_queue_ptr 0
		.amdhsa_user_sgpr_kernarg_segment_ptr 1
		.amdhsa_user_sgpr_dispatch_id 0
		.amdhsa_user_sgpr_flat_scratch_init 0
		.amdhsa_user_sgpr_kernarg_preload_length 0
		.amdhsa_user_sgpr_kernarg_preload_offset 0
		.amdhsa_user_sgpr_private_segment_size 0
		.amdhsa_uses_dynamic_stack 0
		.amdhsa_system_sgpr_private_segment_wavefront_offset 0
		.amdhsa_system_sgpr_workgroup_id_x 1
		.amdhsa_system_sgpr_workgroup_id_y 0
		.amdhsa_system_sgpr_workgroup_id_z 1
		.amdhsa_system_sgpr_workgroup_info 0
		.amdhsa_system_vgpr_workitem_id 1
		.amdhsa_next_free_vgpr 130
		.amdhsa_next_free_sgpr 55
		.amdhsa_accum_offset 132
		.amdhsa_reserve_vcc 1
		.amdhsa_reserve_flat_scratch 0
		.amdhsa_float_round_mode_32 0
		.amdhsa_float_round_mode_16_64 0
		.amdhsa_float_denorm_mode_32 3
		.amdhsa_float_denorm_mode_16_64 3
		.amdhsa_dx10_clamp 1
		.amdhsa_ieee_mode 1
		.amdhsa_fp16_overflow 0
		.amdhsa_tg_split 0
		.amdhsa_exception_fp_ieee_invalid_op 0
		.amdhsa_exception_fp_denorm_src 0
		.amdhsa_exception_fp_ieee_div_zero 0
		.amdhsa_exception_fp_ieee_overflow 0
		.amdhsa_exception_fp_ieee_underflow 0
		.amdhsa_exception_fp_ieee_inexact 0
		.amdhsa_exception_int_div_zero 0
	.end_amdhsa_kernel
	.section	.text._ZL26rocblas_hemvn_kernel_upperILb0ELi64ELi4ELi33ELi32ELi16EiPKfS1_PfEviT6_lT7_lT5_lS4_lS5_lS3_lT8_i,"axG",@progbits,_ZL26rocblas_hemvn_kernel_upperILb0ELi64ELi4ELi33ELi32ELi16EiPKfS1_PfEviT6_lT7_lT5_lS4_lS5_lS3_lT8_i,comdat
.Lfunc_end71:
	.size	_ZL26rocblas_hemvn_kernel_upperILb0ELi64ELi4ELi33ELi32ELi16EiPKfS1_PfEviT6_lT7_lT5_lS4_lS5_lS3_lT8_i, .Lfunc_end71-_ZL26rocblas_hemvn_kernel_upperILb0ELi64ELi4ELi33ELi32ELi16EiPKfS1_PfEviT6_lT7_lT5_lS4_lS5_lS3_lT8_i
                                        ; -- End function
	.section	.AMDGPU.csdata,"",@progbits
; Kernel info:
; codeLenInByte = 6852
; NumSgprs: 59
; NumVgprs: 130
; NumAgprs: 0
; TotalNumVgprs: 130
; ScratchSize: 0
; MemoryBound: 0
; FloatMode: 240
; IeeeMode: 1
; LDSByteSize: 4800 bytes/workgroup (compile time only)
; SGPRBlocks: 7
; VGPRBlocks: 16
; NumSGPRsForWavesPerEU: 59
; NumVGPRsForWavesPerEU: 130
; AccumOffset: 132
; Occupancy: 3
; WaveLimiterHint : 1
; COMPUTE_PGM_RSRC2:SCRATCH_EN: 0
; COMPUTE_PGM_RSRC2:USER_SGPR: 6
; COMPUTE_PGM_RSRC2:TRAP_HANDLER: 0
; COMPUTE_PGM_RSRC2:TGID_X_EN: 1
; COMPUTE_PGM_RSRC2:TGID_Y_EN: 0
; COMPUTE_PGM_RSRC2:TGID_Z_EN: 1
; COMPUTE_PGM_RSRC2:TIDIG_COMP_CNT: 1
; COMPUTE_PGM_RSRC3_GFX90A:ACCUM_OFFSET: 32
; COMPUTE_PGM_RSRC3_GFX90A:TG_SPLIT: 0
	.section	.text._ZL36rocblas_hemvn_kernel_upper_block_sumILi64EiPKfPffEviT1_lS3_lT2_lT0_lPT3_i,"axG",@progbits,_ZL36rocblas_hemvn_kernel_upper_block_sumILi64EiPKfPffEviT1_lS3_lT2_lT0_lPT3_i,comdat
	.globl	_ZL36rocblas_hemvn_kernel_upper_block_sumILi64EiPKfPffEviT1_lS3_lT2_lT0_lPT3_i ; -- Begin function _ZL36rocblas_hemvn_kernel_upper_block_sumILi64EiPKfPffEviT1_lS3_lT2_lT0_lPT3_i
	.p2align	8
	.type	_ZL36rocblas_hemvn_kernel_upper_block_sumILi64EiPKfPffEviT1_lS3_lT2_lT0_lPT3_i,@function
_ZL36rocblas_hemvn_kernel_upper_block_sumILi64EiPKfPffEviT1_lS3_lT2_lT0_lPT3_i: ; @_ZL36rocblas_hemvn_kernel_upper_block_sumILi64EiPKfPffEviT1_lS3_lT2_lT0_lPT3_i
; %bb.0:
	s_load_dwordx8 s[8:15], s[4:5], 0x8
	s_waitcnt lgkmcnt(0)
	s_mul_i32 s0, s7, s11
	s_mul_hi_u32 s1, s7, s10
	s_add_i32 s1, s1, s0
	s_mul_i32 s0, s7, s10
	s_lshl_b64 s[0:1], s[0:1], 2
	s_add_u32 s0, s8, s0
	s_addc_u32 s1, s9, s1
	s_load_dword s16, s[0:1], 0x0
	s_mul_i32 s0, s7, s15
	s_mul_hi_u32 s1, s7, s14
	s_add_i32 s1, s1, s0
	s_mul_i32 s0, s7, s14
	s_lshl_b64 s[0:1], s[0:1], 2
	s_add_u32 s0, s12, s0
	s_addc_u32 s1, s13, s1
	s_load_dword s19, s[0:1], 0x0
	s_waitcnt lgkmcnt(0)
	v_cmp_eq_f32_e64 s[0:1], s16, 0
	v_cmp_eq_f32_e64 s[2:3], s19, 1.0
	s_and_b64 s[0:1], s[0:1], s[2:3]
	s_and_b64 vcc, exec, s[0:1]
	s_cbranch_vccnz .LBB72_19
; %bb.1:
	s_load_dwordx4 s[0:3], s[4:5], 0x40
	s_load_dword s20, s[4:5], 0x38
	s_load_dwordx4 s[12:15], s[4:5], 0x28
	s_load_dword s10, s[4:5], 0x0
	v_lshl_or_b32 v0, s6, 6, v0
	s_waitcnt lgkmcnt(0)
	s_mul_i32 s1, s7, s1
	s_mul_hi_u32 s8, s7, s0
	s_add_i32 s1, s8, s1
	s_mul_i32 s0, s7, s0
	s_lshl_b64 s[0:1], s[0:1], 2
	s_add_u32 s8, s12, s0
	s_addc_u32 s9, s13, s1
	s_lshl_b64 s[0:1], s[14:15], 2
	s_add_u32 s17, s8, s0
	s_addc_u32 s18, s9, s1
	v_cmp_neq_f32_e64 s[0:1], s16, 0
	s_and_b64 vcc, exec, s[0:1]
	v_cmp_gt_i32_e64 s[0:1], s10, v0
	s_cbranch_vccnz .LBB72_6
; %bb.2:
	s_mov_b64 s[12:13], 0
	s_mov_b64 s[8:9], 0
                                        ; implicit-def: $vgpr4
                                        ; implicit-def: $vgpr2_vgpr3
	s_and_saveexec_b64 s[14:15], s[0:1]
	s_cbranch_execz .LBB72_7
; %bb.3:
	v_cmp_eq_f32_e64 s[0:1], s19, 0
	v_mul_lo_u32 v2, v0, s20
	v_mov_b32_e32 v4, 0
	v_ashrrev_i32_e32 v3, 31, v2
	s_and_b64 vcc, exec, s[0:1]
	s_cbranch_vccnz .LBB72_5
; %bb.4:
	v_lshlrev_b64 v[4:5], 2, v[2:3]
	v_mov_b32_e32 v1, s18
	v_add_co_u32_e32 v4, vcc, s17, v4
	v_addc_co_u32_e32 v5, vcc, v1, v5, vcc
	global_load_dword v1, v[4:5], off
	s_waitcnt vmcnt(0)
	v_mul_f32_e32 v4, s19, v1
.LBB72_5:
	s_mov_b64 s[8:9], exec
	s_or_b64 exec, exec, s[14:15]
	s_and_b64 vcc, exec, s[12:13]
	s_cbranch_vccnz .LBB72_8
	s_branch .LBB72_17
.LBB72_6:
	s_mov_b64 s[8:9], 0
                                        ; implicit-def: $vgpr4
                                        ; implicit-def: $vgpr2_vgpr3
	s_cbranch_execnz .LBB72_8
	s_branch .LBB72_17
.LBB72_7:
	s_or_b64 exec, exec, s[14:15]
	s_and_b64 vcc, exec, s[12:13]
	s_cbranch_vccz .LBB72_17
.LBB72_8:
	v_cmp_gt_i32_e32 vcc, s10, v0
                                        ; implicit-def: $vgpr4
                                        ; implicit-def: $vgpr2_vgpr3
	s_and_saveexec_b64 s[0:1], vcc
	s_cbranch_execz .LBB72_16
; %bb.9:
	s_cmp_lt_i32 s6, 0
	v_mov_b32_e32 v1, 0
	s_cbranch_scc1 .LBB72_12
; %bb.10:
	s_load_dword s4, s[4:5], 0x58
	s_ashr_i32 s11, s10, 31
	s_mul_hi_u32 s5, s10, s7
	s_mul_i32 s12, s11, s7
	s_add_i32 s5, s5, s12
	s_mul_i32 s7, s10, s7
	s_waitcnt lgkmcnt(0)
	s_mul_i32 s5, s5, s4
	s_mul_hi_u32 s12, s7, s4
	s_add_i32 s5, s12, s5
	s_mul_i32 s4, s7, s4
	s_lshl_b64 s[4:5], s[4:5], 2
	s_add_u32 s2, s2, s4
	v_mov_b32_e32 v1, 0
	s_addc_u32 s3, s3, s5
	v_lshlrev_b64 v[2:3], 2, v[0:1]
	v_mov_b32_e32 v4, s3
	v_add_co_u32_e32 v2, vcc, s2, v2
	s_lshl_b64 s[2:3], s[10:11], 2
	v_addc_co_u32_e32 v3, vcc, v4, v3, vcc
	s_add_i32 s4, s6, 1
	v_mov_b32_e32 v4, s3
.LBB72_11:                              ; =>This Inner Loop Header: Depth=1
	global_load_dword v5, v[2:3], off
	s_add_i32 s4, s4, -1
	v_add_co_u32_e32 v2, vcc, s2, v2
	v_addc_co_u32_e32 v3, vcc, v3, v4, vcc
	s_cmp_eq_u32 s4, 0
	s_waitcnt vmcnt(0)
	v_add_f32_e32 v1, v1, v5
	s_cbranch_scc0 .LBB72_11
.LBB72_12:
	v_cmp_eq_f32_e64 s[2:3], s19, 0
	v_mul_lo_u32 v2, v0, s20
	s_and_b64 vcc, exec, s[2:3]
	v_ashrrev_i32_e32 v3, 31, v2
	s_cbranch_vccz .LBB72_20
; %bb.13:
	v_mul_f32_e32 v4, s16, v1
	s_cbranch_execnz .LBB72_15
.LBB72_14:
	v_lshlrev_b64 v[4:5], 2, v[2:3]
	v_mov_b32_e32 v0, s18
	v_add_co_u32_e32 v4, vcc, s17, v4
	v_addc_co_u32_e32 v5, vcc, v0, v5, vcc
	global_load_dword v0, v[4:5], off
	s_waitcnt vmcnt(0)
	v_mul_f32_e32 v4, s19, v0
	v_fmac_f32_e32 v4, s16, v1
.LBB72_15:
	s_or_b64 s[8:9], s[8:9], exec
.LBB72_16:
	s_or_b64 exec, exec, s[0:1]
.LBB72_17:
	s_and_saveexec_b64 s[0:1], s[8:9]
	s_cbranch_execz .LBB72_19
; %bb.18:
	v_lshlrev_b64 v[0:1], 2, v[2:3]
	v_mov_b32_e32 v2, s18
	v_add_co_u32_e32 v0, vcc, s17, v0
	v_addc_co_u32_e32 v1, vcc, v2, v1, vcc
	global_store_dword v[0:1], v4, off
.LBB72_19:
	s_endpgm
.LBB72_20:
                                        ; implicit-def: $vgpr4
	s_branch .LBB72_14
	.section	.rodata,"a",@progbits
	.p2align	6, 0x0
	.amdhsa_kernel _ZL36rocblas_hemvn_kernel_upper_block_sumILi64EiPKfPffEviT1_lS3_lT2_lT0_lPT3_i
		.amdhsa_group_segment_fixed_size 0
		.amdhsa_private_segment_fixed_size 0
		.amdhsa_kernarg_size 344
		.amdhsa_user_sgpr_count 6
		.amdhsa_user_sgpr_private_segment_buffer 1
		.amdhsa_user_sgpr_dispatch_ptr 0
		.amdhsa_user_sgpr_queue_ptr 0
		.amdhsa_user_sgpr_kernarg_segment_ptr 1
		.amdhsa_user_sgpr_dispatch_id 0
		.amdhsa_user_sgpr_flat_scratch_init 0
		.amdhsa_user_sgpr_kernarg_preload_length 0
		.amdhsa_user_sgpr_kernarg_preload_offset 0
		.amdhsa_user_sgpr_private_segment_size 0
		.amdhsa_uses_dynamic_stack 0
		.amdhsa_system_sgpr_private_segment_wavefront_offset 0
		.amdhsa_system_sgpr_workgroup_id_x 1
		.amdhsa_system_sgpr_workgroup_id_y 0
		.amdhsa_system_sgpr_workgroup_id_z 1
		.amdhsa_system_sgpr_workgroup_info 0
		.amdhsa_system_vgpr_workitem_id 0
		.amdhsa_next_free_vgpr 6
		.amdhsa_next_free_sgpr 21
		.amdhsa_accum_offset 8
		.amdhsa_reserve_vcc 1
		.amdhsa_reserve_flat_scratch 0
		.amdhsa_float_round_mode_32 0
		.amdhsa_float_round_mode_16_64 0
		.amdhsa_float_denorm_mode_32 3
		.amdhsa_float_denorm_mode_16_64 3
		.amdhsa_dx10_clamp 1
		.amdhsa_ieee_mode 1
		.amdhsa_fp16_overflow 0
		.amdhsa_tg_split 0
		.amdhsa_exception_fp_ieee_invalid_op 0
		.amdhsa_exception_fp_denorm_src 0
		.amdhsa_exception_fp_ieee_div_zero 0
		.amdhsa_exception_fp_ieee_overflow 0
		.amdhsa_exception_fp_ieee_underflow 0
		.amdhsa_exception_fp_ieee_inexact 0
		.amdhsa_exception_int_div_zero 0
	.end_amdhsa_kernel
	.section	.text._ZL36rocblas_hemvn_kernel_upper_block_sumILi64EiPKfPffEviT1_lS3_lT2_lT0_lPT3_i,"axG",@progbits,_ZL36rocblas_hemvn_kernel_upper_block_sumILi64EiPKfPffEviT1_lS3_lT2_lT0_lPT3_i,comdat
.Lfunc_end72:
	.size	_ZL36rocblas_hemvn_kernel_upper_block_sumILi64EiPKfPffEviT1_lS3_lT2_lT0_lPT3_i, .Lfunc_end72-_ZL36rocblas_hemvn_kernel_upper_block_sumILi64EiPKfPffEviT1_lS3_lT2_lT0_lPT3_i
                                        ; -- End function
	.section	.AMDGPU.csdata,"",@progbits
; Kernel info:
; codeLenInByte = 636
; NumSgprs: 25
; NumVgprs: 6
; NumAgprs: 0
; TotalNumVgprs: 6
; ScratchSize: 0
; MemoryBound: 0
; FloatMode: 240
; IeeeMode: 1
; LDSByteSize: 0 bytes/workgroup (compile time only)
; SGPRBlocks: 3
; VGPRBlocks: 0
; NumSGPRsForWavesPerEU: 25
; NumVGPRsForWavesPerEU: 6
; AccumOffset: 8
; Occupancy: 8
; WaveLimiterHint : 0
; COMPUTE_PGM_RSRC2:SCRATCH_EN: 0
; COMPUTE_PGM_RSRC2:USER_SGPR: 6
; COMPUTE_PGM_RSRC2:TRAP_HANDLER: 0
; COMPUTE_PGM_RSRC2:TGID_X_EN: 1
; COMPUTE_PGM_RSRC2:TGID_Y_EN: 0
; COMPUTE_PGM_RSRC2:TGID_Z_EN: 1
; COMPUTE_PGM_RSRC2:TIDIG_COMP_CNT: 0
; COMPUTE_PGM_RSRC3_GFX90A:ACCUM_OFFSET: 1
; COMPUTE_PGM_RSRC3_GFX90A:TG_SPLIT: 0
	.section	.text._ZL26rocblas_hemvn_kernel_upperILb0ELi64ELi4ELi33ELi32ELi16ElfPKfPfEviT6_lT7_lT5_lS4_lS5_lS3_lT8_i,"axG",@progbits,_ZL26rocblas_hemvn_kernel_upperILb0ELi64ELi4ELi33ELi32ELi16ElfPKfPfEviT6_lT7_lT5_lS4_lS5_lS3_lT8_i,comdat
	.globl	_ZL26rocblas_hemvn_kernel_upperILb0ELi64ELi4ELi33ELi32ELi16ElfPKfPfEviT6_lT7_lT5_lS4_lS5_lS3_lT8_i ; -- Begin function _ZL26rocblas_hemvn_kernel_upperILb0ELi64ELi4ELi33ELi32ELi16ElfPKfPfEviT6_lT7_lT5_lS4_lS5_lS3_lT8_i
	.p2align	8
	.type	_ZL26rocblas_hemvn_kernel_upperILb0ELi64ELi4ELi33ELi32ELi16ElfPKfPfEviT6_lT7_lT5_lS4_lS5_lS3_lT8_i,@function
_ZL26rocblas_hemvn_kernel_upperILb0ELi64ELi4ELi33ELi32ELi16ElfPKfPfEviT6_lT7_lT5_lS4_lS5_lS3_lT8_i: ; @_ZL26rocblas_hemvn_kernel_upperILb0ELi64ELi4ELi33ELi32ELi16ElfPKfPfEviT6_lT7_lT5_lS4_lS5_lS3_lT8_i
; %bb.0:
	s_load_dwordx2 s[2:3], s[4:5], 0x7c
	s_add_u32 s0, s4, 0x70
	s_addc_u32 s1, s5, 0
	s_waitcnt lgkmcnt(0)
	s_lshr_b32 s8, s2, 16
	s_and_b32 s2, s2, 0xffff
	s_and_b32 s3, s3, 0xffff
	s_mul_i32 s2, s8, s2
	s_mul_i32 s2, s2, s3
	s_cmpk_lg_i32 s2, 0x100
	s_cbranch_scc1 .LBB73_126
; %bb.1:
	s_load_dwordx2 s[34:35], s[4:5], 0x0
	s_load_dword s8, s[4:5], 0x50
	s_waitcnt lgkmcnt(0)
	v_cmp_eq_f32_e64 s[2:3], s35, 0
	v_cmp_eq_f32_e64 s[8:9], s8, 1.0
	s_and_b64 s[8:9], s[2:3], s[8:9]
	s_and_b64 vcc, exec, s[8:9]
	s_cbranch_vccnz .LBB73_126
; %bb.2:
	s_and_b64 vcc, exec, s[2:3]
	s_cbranch_vccnz .LBB73_126
; %bb.3:
	s_load_dwordx16 s[16:31], s[4:5], 0x10
	s_load_dword s33, s[0:1], 0x0
	v_and_b32_e32 v50, 0x3ff, v0
	v_bfe_u32 v51, v0, 10, 10
	s_waitcnt lgkmcnt(0)
	s_mul_i32 s1, s7, s31
	s_mul_hi_u32 s2, s7, s30
	s_mul_i32 s0, s7, s30
	s_add_i32 s1, s2, s1
	s_lshl_b64 s[0:1], s[0:1], 2
	s_add_u32 s2, s24, s0
	s_addc_u32 s3, s25, s1
	s_lshl_b64 s[0:1], s[26:27], 2
	s_add_u32 s2, s2, s0
	s_addc_u32 s3, s3, s1
	s_ashr_i32 s40, s34, 31
	s_lshr_b32 s1, s40, 26
	s_lshl_b32 s26, s6, 6
	s_add_i32 s1, s34, s1
	s_andn2_b32 s1, s1, 63
	v_add_u32_e32 v4, s26, v50
	s_add_i32 s0, s33, -1
	s_sub_i32 s35, s34, s1
	v_ashrrev_i32_e32 v5, 31, v4
	s_cmp_eq_u32 s6, s0
	v_mul_lo_u32 v2, v5, s28
	v_mul_lo_u32 v3, v4, s29
	v_mad_u64_u32 v[0:1], s[0:1], v4, s28, 0
	v_add3_u32 v1, v1, v3, v2
	v_lshlrev_b64 v[0:1], 2, v[0:1]
	v_mov_b32_e32 v2, s3
	v_add_co_u32_e32 v8, vcc, s2, v0
	s_cselect_b32 s24, s35, 0
	v_addc_co_u32_e32 v9, vcc, v2, v1, vcc
	v_cmp_eq_u32_e64 s[0:1], 0, v51
	s_and_saveexec_b64 s[2:3], s[0:1]
	s_cbranch_execz .LBB73_7
; %bb.4:
	s_cmp_eq_u32 s24, 0
	s_cselect_b64 s[8:9], -1, 0
	v_cmp_gt_i32_e32 vcc, s24, v50
	s_or_b64 s[10:11], s[8:9], vcc
	v_mov_b32_e32 v0, 0
	s_and_saveexec_b64 s[8:9], s[10:11]
	s_cbranch_execz .LBB73_6
; %bb.5:
	global_load_dword v0, v[8:9], off
.LBB73_6:
	s_or_b64 exec, exec, s[8:9]
	v_lshlrev_b32_e32 v1, 2, v50
	s_waitcnt vmcnt(0)
	ds_write_b32 v1, v0 offset:4544
.LBB73_7:
	s_or_b64 exec, exec, s[2:3]
	s_mul_i32 s2, s7, s23
	s_mul_hi_u32 s3, s7, s22
	s_add_i32 s3, s3, s2
	s_mul_i32 s2, s7, s22
	s_lshl_b64 s[2:3], s[2:3], 2
	s_add_u32 s8, s16, s2
	s_addc_u32 s9, s17, s3
	s_lshl_b64 s[2:3], s[18:19], 2
	s_add_u32 s8, s8, s2
	s_addc_u32 s9, s9, s3
	s_ashr_i32 s27, s26, 31
	v_lshl_add_u32 v36, v51, 6, v50
	s_lshl_b64 s[2:3], s[26:27], 2
	v_and_b32_e32 v0, 31, v50
	v_lshrrev_b32_e32 v14, 5, v36
	s_add_u32 s8, s8, s2
	v_mov_b32_e32 v1, 0
	s_addc_u32 s9, s9, s3
	v_mad_u64_u32 v[2:3], s[2:3], v14, s20, v[0:1]
	v_mov_b32_e32 v6, v3
	v_mad_u64_u32 v[6:7], s[2:3], v14, s21, v[6:7]
	s_mul_i32 s2, s26, s21
	s_mul_hi_u32 s3, s26, s20
	s_add_i32 s2, s3, s2
	s_mul_i32 s3, s27, s20
	s_add_i32 s3, s2, s3
	s_mul_i32 s2, s26, s20
	s_lshl_b64 s[2:3], s[2:3], 2
	s_add_u32 s2, s2, s8
	v_mov_b32_e32 v3, v6
	s_addc_u32 s3, s3, s9
	v_lshlrev_b64 v[6:7], 2, v[2:3]
	s_cmp_eq_u32 s24, 0
	v_mov_b32_e32 v3, s3
	v_add_co_u32_e32 v2, vcc, s2, v6
	s_cselect_b64 s[18:19], -1, 0
	s_cmp_lg_u32 s24, 0
	v_addc_co_u32_e32 v3, vcc, v3, v7, vcc
	s_cselect_b64 s[22:23], -1, 0
	s_and_b64 vcc, exec, s[22:23]
	v_cmp_gt_i32_e64 s[2:3], s24, v0
	v_lshlrev_b32_e32 v15, 2, v0
	s_mul_i32 s41, s21, 0x60
	s_cbranch_vccz .LBB73_17
; %bb.8:
	v_sub_co_u32_e32 v10, vcc, v2, v15
	s_ashr_i32 s25, s24, 31
	v_subbrev_co_u32_e32 v11, vcc, 0, v3, vcc
	s_lshl_b64 s[8:9], s[24:25], 2
	v_mov_b32_e32 v12, s9
	v_add_co_u32_e32 v10, vcc, s8, v10
	v_addc_co_u32_e32 v11, vcc, v11, v12, vcc
	v_add_co_u32_e32 v10, vcc, -4, v10
	v_addc_co_u32_e32 v11, vcc, -1, v11, vcc
	v_cndmask_b32_e64 v11, v11, v3, s[2:3]
	v_cndmask_b32_e64 v10, v10, v2, s[2:3]
	v_cmp_gt_i32_e32 vcc, s24, v14
	s_and_saveexec_b64 s[10:11], vcc
	s_cbranch_execz .LBB73_10
; %bb.9:
	global_load_dword v1, v[10:11], off
.LBB73_10:
	s_or_b64 exec, exec, s[10:11]
	v_mul_u32_u24_e32 v12, 33, v14
	v_add_lshl_u32 v12, v12, v0, 2
	s_waitcnt vmcnt(0)
	ds_write_b32 v12, v1
	v_add_u32_e32 v1, 8, v14
	v_cmp_gt_i32_e32 vcc, s24, v1
	v_mov_b32_e32 v1, 0
	v_mov_b32_e32 v13, 0
	s_and_saveexec_b64 s[10:11], vcc
	s_cbranch_execz .LBB73_12
; %bb.11:
	s_lshl_b64 s[12:13], s[20:21], 5
	v_mov_b32_e32 v13, s13
	v_add_co_u32_e32 v16, vcc, s12, v10
	v_addc_co_u32_e32 v17, vcc, v11, v13, vcc
	global_load_dword v13, v[16:17], off
.LBB73_12:
	s_or_b64 exec, exec, s[10:11]
	s_waitcnt vmcnt(0)
	ds_write_b32 v12, v13 offset:1056
	v_add_u32_e32 v13, 16, v14
	v_cmp_gt_i32_e32 vcc, s24, v13
	s_and_saveexec_b64 s[10:11], vcc
	s_cbranch_execz .LBB73_14
; %bb.13:
	s_lshl_b64 s[12:13], s[20:21], 6
	v_mov_b32_e32 v1, s13
	v_add_co_u32_e32 v16, vcc, s12, v10
	v_addc_co_u32_e32 v17, vcc, v11, v1, vcc
	global_load_dword v1, v[16:17], off
.LBB73_14:
	s_or_b64 exec, exec, s[10:11]
	s_waitcnt vmcnt(0)
	ds_write_b32 v12, v1 offset:2112
	v_add_u32_e32 v1, 24, v14
	v_cmp_gt_i32_e32 vcc, s24, v1
	v_mov_b32_e32 v1, 0
	s_and_saveexec_b64 s[10:11], vcc
	s_cbranch_execz .LBB73_16
; %bb.15:
	v_mov_b32_e32 v1, 0x60
	v_mad_u64_u32 v[16:17], s[12:13], s20, v1, v[10:11]
	v_add_u32_e32 v17, s41, v17
	global_load_dword v1, v[16:17], off
.LBB73_16:
	s_or_b64 exec, exec, s[10:11]
	s_waitcnt vmcnt(0)
	ds_write_b32 v12, v1 offset:3168
	v_add_co_u32_e32 v1, vcc, v10, v15
	v_addc_co_u32_e32 v10, vcc, 0, v11, vcc
	v_mov_b32_e32 v11, s9
	v_subrev_co_u32_e32 v1, vcc, s8, v1
	v_subb_co_u32_e32 v10, vcc, v10, v11, vcc
	v_add_co_u32_e32 v1, vcc, 4, v1
	v_addc_co_u32_e32 v10, vcc, 0, v10, vcc
	v_cndmask_b32_e64 v11, v10, v3, s[2:3]
	v_cndmask_b32_e64 v10, v1, v2, s[2:3]
	v_mul_u32_u24_e32 v1, 33, v14
	s_branch .LBB73_19
.LBB73_17:
                                        ; implicit-def: $vgpr10_vgpr11
	v_mul_u32_u24_e32 v1, 33, v14
	s_cbranch_execz .LBB73_19
; %bb.18:
	s_lshl_b64 s[2:3], s[20:21], 5
	v_mov_b32_e32 v12, s3
	v_add_co_u32_e32 v10, vcc, s2, v2
	v_addc_co_u32_e32 v11, vcc, v3, v12, vcc
	global_load_dword v16, v[2:3], off
	global_load_dword v17, v[10:11], off
	v_add_co_u32_e32 v10, vcc, s2, v10
	v_addc_co_u32_e32 v11, vcc, v11, v12, vcc
	v_mov_b32_e32 v12, 0x60
	v_mad_u64_u32 v[12:13], s[2:3], s20, v12, v[2:3]
	v_add_u32_e32 v13, s41, v13
	global_load_dword v18, v[12:13], off
	global_load_dword v19, v[10:11], off
	v_add_lshl_u32 v10, v1, v0, 2
	s_waitcnt vmcnt(3)
	ds_write_b32 v10, v16
	s_waitcnt vmcnt(2)
	ds_write_b32 v10, v17 offset:1056
	s_waitcnt vmcnt(1)
	ds_write_b32 v10, v18 offset:3168
	;; [unrolled: 2-line block ×3, first 2 shown]
	v_pk_mov_b32 v[10:11], v[2:3], v[2:3] op_sel:[0,1]
.LBB73_19:
	v_lshlrev_b32_e32 v16, 2, v14
	v_mul_u32_u24_e32 v17, 33, v0
	v_cmp_gt_u32_e64 s[16:17], v16, v0
	v_add_lshl_u32 v23, v16, v17, 2
	s_waitcnt lgkmcnt(0)
	s_barrier
	s_and_saveexec_b64 s[2:3], s[16:17]
	s_cbranch_execz .LBB73_21
; %bb.20:
	v_mul_u32_u24_e32 v2, 0x84, v14
	v_add_lshl_u32 v2, v2, v0, 2
	ds_read_b32 v2, v2
	s_waitcnt lgkmcnt(0)
	ds_write_b32 v23, v2
.LBB73_21:
	s_or_b64 exec, exec, s[2:3]
	v_cmp_ge_u32_e64 s[8:9], v16, v0
	s_and_saveexec_b64 s[2:3], s[8:9]
	s_cbranch_execz .LBB73_23
; %bb.22:
	v_or_b32_e32 v2, 1, v16
	v_mul_u32_u24_e32 v2, 33, v2
	v_add_lshl_u32 v2, v2, v0, 2
	ds_read_b32 v2, v2
	s_waitcnt lgkmcnt(0)
	ds_write_b32 v23, v2 offset:4
.LBB73_23:
	s_or_b64 exec, exec, s[2:3]
	v_or_b32_e32 v2, 2, v16
	v_cmp_gt_u32_e64 s[10:11], v2, v0
	s_and_saveexec_b64 s[2:3], s[10:11]
	s_cbranch_execz .LBB73_25
; %bb.24:
	v_mul_u32_u24_e32 v2, 33, v2
	v_add_lshl_u32 v2, v2, v0, 2
	ds_read_b32 v2, v2
	s_waitcnt lgkmcnt(0)
	ds_write_b32 v23, v2 offset:8
.LBB73_25:
	s_or_b64 exec, exec, s[2:3]
	v_or_b32_e32 v2, 3, v16
	v_cmp_gt_u32_e64 s[12:13], v2, v0
	v_mad_u32_u24 v2, v2, 33, v0
	v_lshlrev_b32_e32 v20, 2, v2
	s_and_saveexec_b64 s[2:3], s[12:13]
	s_cbranch_execz .LBB73_27
; %bb.26:
	ds_read_b32 v2, v20
	s_waitcnt lgkmcnt(0)
	ds_write_b32 v23, v2 offset:12
.LBB73_27:
	s_or_b64 exec, exec, s[2:3]
	v_mul_u32_u24_e32 v2, 0x84, v14
	v_add_u32_e32 v22, 0xfffffef8, v20
	s_waitcnt lgkmcnt(0)
	s_barrier
	v_add_lshl_u32 v21, v2, v0, 2
	v_lshlrev_b32_e32 v24, 2, v16
	ds_read2_b32 v[2:3], v22 offset1:33
	ds_read_b32 v12, v21
	ds_read_b128 v[26:29], v24 offset:4544
	ds_read_b32 v19, v20
	v_cmp_gt_u32_e64 s[2:3], 32, v36
	s_waitcnt lgkmcnt(3)
	v_mov_b32_e32 v13, v2
	v_mov_b32_e32 v18, v3
	s_waitcnt lgkmcnt(1)
	v_pk_mul_f32 v[12:13], v[12:13], v[26:27]
	v_add_f32_e32 v2, 0, v12
	v_add_f32_e32 v12, v2, v13
	s_waitcnt lgkmcnt(0)
	v_pk_mul_f32 v[2:3], v[18:19], v[28:29]
	v_add_f32_e32 v2, v12, v2
	v_add_f32_e32 v2, v2, v3
	v_add_lshl_u32 v19, v14, v17, 2
	v_mov_b32_e32 v52, 0
	v_lshlrev_b32_e32 v18, 2, v17
	s_barrier
	ds_write_b32 v19, v2
	s_waitcnt lgkmcnt(0)
	s_barrier
	s_and_saveexec_b64 s[14:15], s[2:3]
	s_cbranch_execz .LBB73_29
; %bb.28:
	ds_read2_b32 v[2:3], v18 offset1:1
	ds_read2_b32 v[12:13], v18 offset0:2 offset1:3
	ds_read2_b32 v[26:27], v18 offset0:4 offset1:5
	;; [unrolled: 1-line block ×3, first 2 shown]
	s_waitcnt lgkmcnt(3)
	v_add_f32_e32 v2, v2, v3
	s_waitcnt lgkmcnt(2)
	v_add_f32_e32 v2, v2, v12
	v_add_f32_e32 v2, v2, v13
	s_waitcnt lgkmcnt(1)
	v_add_f32_e32 v2, v2, v26
	;; [unrolled: 3-line block ×3, first 2 shown]
	v_add_f32_e32 v52, v2, v29
.LBB73_29:
	s_or_b64 exec, exec, s[14:15]
	s_lshl_b64 s[14:15], s[20:21], 7
	v_mov_b32_e32 v2, s15
	v_add_co_u32_e32 v12, vcc, s14, v10
	v_addc_co_u32_e32 v13, vcc, v11, v2, vcc
	v_add_co_u32_e32 v10, vcc, 0x80, v12
	v_addc_co_u32_e32 v11, vcc, 0, v13, vcc
	s_lshl_b64 s[30:31], s[20:21], 5
	s_and_b64 vcc, exec, s[22:23]
	s_barrier
	s_cbranch_vccz .LBB73_39
; %bb.30:
	v_sub_co_u32_e32 v3, vcc, v10, v15
	s_ashr_i32 s25, s24, 31
	v_subbrev_co_u32_e32 v25, vcc, 0, v11, vcc
	s_lshl_b64 s[36:37], s[24:25], 2
	v_mov_b32_e32 v27, s37
	v_add_co_u32_e32 v3, vcc, s36, v3
	v_addc_co_u32_e32 v25, vcc, v25, v27, vcc
	v_or_b32_e32 v2, 32, v0
	v_add_co_u32_e32 v27, vcc, 0xffffff7c, v3
	v_addc_co_u32_e32 v3, vcc, -1, v25, vcc
	v_cmp_gt_i32_e64 s[14:15], s24, v2
	s_sub_i32 s25, s24, 32
	v_mov_b32_e32 v26, 0
	v_cndmask_b32_e64 v3, v3, v11, s[14:15]
	v_cndmask_b32_e64 v2, v27, v10, s[14:15]
	v_cmp_gt_i32_e32 vcc, s25, v14
	v_mov_b32_e32 v27, 0
	s_and_saveexec_b64 s[38:39], vcc
	s_cbranch_execz .LBB73_32
; %bb.31:
	global_load_dword v27, v[2:3], off
.LBB73_32:
	s_or_b64 exec, exec, s[38:39]
	v_add_lshl_u32 v25, v1, v0, 2
	s_waitcnt vmcnt(0)
	ds_write_b32 v25, v27
	v_add_u32_e32 v27, 8, v14
	v_cmp_gt_i32_e32 vcc, s25, v27
	s_and_saveexec_b64 s[38:39], vcc
	s_cbranch_execz .LBB73_34
; %bb.33:
	v_mov_b32_e32 v27, s31
	v_add_co_u32_e32 v26, vcc, s30, v2
	v_addc_co_u32_e32 v27, vcc, v3, v27, vcc
	global_load_dword v26, v[26:27], off
.LBB73_34:
	s_or_b64 exec, exec, s[38:39]
	s_waitcnt vmcnt(0)
	ds_write_b32 v25, v26 offset:1056
	v_add_u32_e32 v26, 16, v14
	v_cmp_gt_i32_e32 vcc, s25, v26
	v_mov_b32_e32 v26, 0
	v_mov_b32_e32 v27, 0
	s_and_saveexec_b64 s[38:39], vcc
	s_cbranch_execz .LBB73_36
; %bb.35:
	s_lshl_b64 s[42:43], s[20:21], 6
	v_mov_b32_e32 v27, s43
	v_add_co_u32_e32 v28, vcc, s42, v2
	v_addc_co_u32_e32 v29, vcc, v3, v27, vcc
	global_load_dword v27, v[28:29], off
.LBB73_36:
	s_or_b64 exec, exec, s[38:39]
	s_waitcnt vmcnt(0)
	ds_write_b32 v25, v27 offset:2112
	v_add_u32_e32 v27, 24, v14
	v_cmp_gt_i32_e32 vcc, s25, v27
	s_and_saveexec_b64 s[38:39], vcc
	s_cbranch_execz .LBB73_38
; %bb.37:
	v_mov_b32_e32 v26, 0x60
	v_mad_u64_u32 v[26:27], s[42:43], s20, v26, v[2:3]
	v_add_u32_e32 v27, s41, v27
	global_load_dword v26, v[26:27], off
.LBB73_38:
	s_or_b64 exec, exec, s[38:39]
	v_add_co_u32_e32 v2, vcc, v2, v15
	v_addc_co_u32_e32 v3, vcc, 0, v3, vcc
	s_waitcnt vmcnt(0)
	ds_write_b32 v25, v26 offset:3168
	v_mov_b32_e32 v25, s37
	v_subrev_co_u32_e32 v2, vcc, s36, v2
	v_subb_co_u32_e32 v3, vcc, v3, v25, vcc
	v_add_co_u32_e32 v2, vcc, 0x84, v2
	v_addc_co_u32_e32 v3, vcc, 0, v3, vcc
	v_cndmask_b32_e64 v3, v3, v11, s[14:15]
	v_cndmask_b32_e64 v2, v2, v10, s[14:15]
	s_branch .LBB73_41
.LBB73_39:
                                        ; implicit-def: $vgpr2_vgpr3
	s_cbranch_execz .LBB73_41
; %bb.40:
	v_mov_b32_e32 v25, s31
	v_add_co_u32_e32 v2, vcc, s30, v12
	v_addc_co_u32_e32 v3, vcc, v13, v25, vcc
	v_add_co_u32_e32 v26, vcc, s30, v2
	v_addc_co_u32_e32 v27, vcc, v3, v25, vcc
	v_mov_b32_e32 v25, 0x60
	v_mad_u64_u32 v[28:29], s[14:15], s20, v25, v[12:13]
	v_add_u32_e32 v29, s41, v29
	global_load_dword v25, v[12:13], off offset:128
	global_load_dword v30, v[2:3], off offset:128
	;; [unrolled: 1-line block ×4, first 2 shown]
	v_add_lshl_u32 v2, v1, v0, 2
	s_waitcnt vmcnt(3)
	ds_write_b32 v2, v25
	s_waitcnt vmcnt(2)
	ds_write_b32 v2, v30 offset:1056
	s_waitcnt vmcnt(1)
	ds_write_b32 v2, v31 offset:2112
	;; [unrolled: 2-line block ×3, first 2 shown]
	v_pk_mov_b32 v[2:3], v[10:11], v[10:11] op_sel:[0,1]
.LBB73_41:
	s_waitcnt lgkmcnt(0)
	s_barrier
	s_and_saveexec_b64 s[14:15], s[16:17]
	s_cbranch_execnz .LBB73_58
; %bb.42:
	s_or_b64 exec, exec, s[14:15]
	s_and_saveexec_b64 s[14:15], s[8:9]
	s_cbranch_execnz .LBB73_59
.LBB73_43:
	s_or_b64 exec, exec, s[14:15]
	s_and_saveexec_b64 s[8:9], s[10:11]
	s_cbranch_execnz .LBB73_60
.LBB73_44:
	s_or_b64 exec, exec, s[8:9]
	v_add_u32_e32 v24, 0x11c0, v24
	s_and_saveexec_b64 s[8:9], s[12:13]
	s_cbranch_execz .LBB73_46
.LBB73_45:
	ds_read_b32 v10, v20
	s_waitcnt lgkmcnt(0)
	ds_write_b32 v23, v10 offset:12
.LBB73_46:
	s_or_b64 exec, exec, s[8:9]
	s_waitcnt lgkmcnt(0)
	s_barrier
	ds_read_b32 v23, v21
	ds_read_b128 v[10:13], v24 offset:128
	ds_read2_b32 v[26:27], v22 offset1:33
	ds_read_b32 v25, v20
	v_cmp_eq_u32_e64 s[8:9], 1, v14
	s_waitcnt lgkmcnt(0)
	v_fma_f32 v10, v23, v10, 0
	v_fmac_f32_e32 v10, v26, v11
	v_fmac_f32_e32 v10, v27, v12
	;; [unrolled: 1-line block ×3, first 2 shown]
	s_barrier
	ds_write_b32 v19, v10
	s_waitcnt lgkmcnt(0)
	s_barrier
	s_and_saveexec_b64 s[10:11], s[8:9]
	s_cbranch_execz .LBB73_48
; %bb.47:
	ds_read2_b32 v[10:11], v18 offset1:1
	ds_read2_b32 v[12:13], v18 offset0:2 offset1:3
	ds_read2_b32 v[26:27], v18 offset0:4 offset1:5
	;; [unrolled: 1-line block ×3, first 2 shown]
	s_waitcnt lgkmcnt(3)
	v_add_f32_e32 v10, v10, v11
	s_waitcnt lgkmcnt(2)
	v_add_f32_e32 v10, v10, v12
	v_add_f32_e32 v10, v10, v13
	s_waitcnt lgkmcnt(1)
	v_add_f32_e32 v10, v10, v26
	;; [unrolled: 3-line block ×3, first 2 shown]
	v_add_f32_e32 v52, v10, v29
.LBB73_48:
	s_or_b64 exec, exec, s[10:11]
	v_add_co_u32_e32 v10, vcc, 0xffffff80, v2
	v_addc_co_u32_e32 v11, vcc, -1, v3, vcc
	s_and_b64 vcc, exec, s[22:23]
	s_barrier
	s_cbranch_vccz .LBB73_61
; %bb.49:
	v_sub_co_u32_e32 v12, vcc, v2, v15
	s_ashr_i32 s25, s24, 31
	v_subbrev_co_u32_e32 v13, vcc, 0, v3, vcc
	s_lshl_b64 s[12:13], s[24:25], 2
	v_mov_b32_e32 v23, s13
	v_add_co_u32_e32 v12, vcc, s12, v12
	v_addc_co_u32_e32 v13, vcc, v13, v23, vcc
	v_add_co_u32_e32 v12, vcc, 0xffffff7c, v12
	v_addc_co_u32_e32 v13, vcc, -1, v13, vcc
	v_cmp_gt_i32_e32 vcc, s24, v0
	s_sub_i32 s16, s24, 32
	v_mov_b32_e32 v25, 0
	v_cndmask_b32_e32 v13, v13, v11, vcc
	v_cndmask_b32_e32 v12, v12, v10, vcc
	v_cmp_gt_i32_e64 s[10:11], s16, v14
	v_mov_b32_e32 v23, 0
	s_and_saveexec_b64 s[14:15], s[10:11]
	s_cbranch_execz .LBB73_51
; %bb.50:
	global_load_dword v23, v[12:13], off
.LBB73_51:
	s_or_b64 exec, exec, s[14:15]
	v_add_lshl_u32 v27, v1, v0, 2
	s_waitcnt vmcnt(0)
	ds_write_b32 v27, v23
	v_add_u32_e32 v23, 8, v14
	v_cmp_gt_i32_e64 s[10:11], s16, v23
	s_and_saveexec_b64 s[14:15], s[10:11]
	s_cbranch_execz .LBB73_53
; %bb.52:
	v_mov_b32_e32 v25, s31
	v_add_co_u32_e64 v28, s[10:11], s30, v12
	v_addc_co_u32_e64 v29, s[10:11], v13, v25, s[10:11]
	global_load_dword v25, v[28:29], off
.LBB73_53:
	s_or_b64 exec, exec, s[14:15]
	s_waitcnt vmcnt(0)
	ds_write_b32 v27, v25 offset:1056
	v_add_u32_e32 v25, 16, v14
	v_cmp_gt_i32_e64 s[10:11], s16, v25
	v_mov_b32_e32 v28, 0
	v_mov_b32_e32 v26, 0
	s_and_saveexec_b64 s[14:15], s[10:11]
	s_cbranch_execz .LBB73_55
; %bb.54:
	s_lshl_b64 s[10:11], s[20:21], 6
	v_mov_b32_e32 v26, s11
	v_add_co_u32_e64 v30, s[10:11], s10, v12
	v_addc_co_u32_e64 v31, s[10:11], v13, v26, s[10:11]
	global_load_dword v26, v[30:31], off
.LBB73_55:
	s_or_b64 exec, exec, s[14:15]
	s_waitcnt vmcnt(0)
	ds_write_b32 v27, v26 offset:2112
	v_add_u32_e32 v26, 24, v14
	v_cmp_gt_i32_e64 s[10:11], s16, v26
	s_and_saveexec_b64 s[14:15], s[10:11]
	s_cbranch_execz .LBB73_57
; %bb.56:
	v_mov_b32_e32 v28, 0x60
	v_mad_u64_u32 v[28:29], s[10:11], s20, v28, v[12:13]
	v_add_u32_e32 v29, s41, v29
	global_load_dword v28, v[28:29], off
.LBB73_57:
	s_or_b64 exec, exec, s[14:15]
	v_add_co_u32_e64 v12, s[10:11], v12, v15
	v_addc_co_u32_e64 v13, s[10:11], 0, v13, s[10:11]
	v_mov_b32_e32 v15, s13
	v_subrev_co_u32_e64 v12, s[10:11], s12, v12
	v_subb_co_u32_e64 v13, s[10:11], v13, v15, s[10:11]
	v_add_co_u32_e64 v12, s[10:11], 4, v12
	v_addc_co_u32_e64 v13, s[10:11], 0, v13, s[10:11]
	s_waitcnt vmcnt(0)
	ds_write_b32 v27, v28 offset:3168
	v_cndmask_b32_e32 v35, v13, v11, vcc
	v_cndmask_b32_e32 v34, v12, v10, vcc
	s_branch .LBB73_63
.LBB73_58:
	ds_read_b32 v10, v21
	s_waitcnt lgkmcnt(0)
	ds_write_b32 v23, v10
	s_or_b64 exec, exec, s[14:15]
	s_and_saveexec_b64 s[14:15], s[8:9]
	s_cbranch_execz .LBB73_43
.LBB73_59:
	ds_read_b32 v10, v22
	s_waitcnt lgkmcnt(0)
	ds_write_b32 v23, v10 offset:4
	s_or_b64 exec, exec, s[14:15]
	s_and_saveexec_b64 s[8:9], s[10:11]
	s_cbranch_execz .LBB73_44
.LBB73_60:
	ds_read_b32 v10, v22 offset:132
	s_waitcnt lgkmcnt(0)
	ds_write_b32 v23, v10 offset:8
	s_or_b64 exec, exec, s[8:9]
	v_add_u32_e32 v24, 0x11c0, v24
	s_and_saveexec_b64 s[8:9], s[12:13]
	s_cbranch_execnz .LBB73_45
	s_branch .LBB73_46
.LBB73_61:
                                        ; implicit-def: $vgpr34_vgpr35
                                        ; implicit-def: $vgpr23
                                        ; implicit-def: $vgpr25
                                        ; implicit-def: $vgpr26
	s_cbranch_execz .LBB73_63
; %bb.62:
	v_mov_b32_e32 v15, s31
	v_add_co_u32_e32 v12, vcc, s30, v2
	v_addc_co_u32_e32 v13, vcc, v3, v15, vcc
	v_add_co_u32_e32 v26, vcc, s30, v12
	v_addc_co_u32_e32 v27, vcc, v13, v15, vcc
	global_load_dword v15, v[12:13], off offset:-128
	global_load_dword v28, v[26:27], off offset:-128
	v_mov_b32_e32 v12, 0x60
	global_load_dword v13, v[2:3], off offset:-128
	v_mad_u64_u32 v[2:3], s[10:11], s20, v12, v[2:3]
	v_add_u32_e32 v3, s41, v3
	global_load_dword v2, v[2:3], off offset:-128
	v_add_lshl_u32 v0, v1, v0, 2
	v_add_u32_e32 v23, 8, v14
	v_add_u32_e32 v25, 16, v14
	;; [unrolled: 1-line block ×3, first 2 shown]
	v_pk_mov_b32 v[34:35], v[10:11], v[10:11] op_sel:[0,1]
	s_waitcnt vmcnt(1)
	ds_write_b32 v0, v13
	ds_write_b32 v0, v15 offset:1056
	ds_write_b32 v0, v28 offset:2112
	s_waitcnt vmcnt(0)
	ds_write_b32 v0, v2 offset:3168
.LBB73_63:
	v_add_lshl_u32 v13, v23, v17, 2
	v_lshlrev_b32_e32 v14, 2, v23
	v_add_lshl_u32 v15, v25, v17, 2
	v_lshlrev_b32_e32 v23, 2, v25
	v_add_lshl_u32 v17, v26, v17, 2
	s_waitcnt lgkmcnt(0)
	s_barrier
	v_lshlrev_b32_e32 v25, 2, v26
	ds_read_b32 v16, v16 offset:4544
	ds_read_b32 v12, v21
	ds_read_b32 v21, v19
	ds_read_b128 v[0:3], v24 offset:128
	ds_read2_b32 v[10:11], v22 offset1:33
	ds_read_b32 v22, v13
	ds_read_b32 v14, v14 offset:4544
	ds_read_b32 v15, v15
	ds_read_b32 v23, v23 offset:4544
	ds_read_b32 v17, v17
	ds_read_b32 v24, v25 offset:4544
	ds_read_b32 v13, v20
	s_waitcnt lgkmcnt(9)
	v_fma_f32 v16, v21, v16, 0
	s_waitcnt lgkmcnt(5)
	v_fmac_f32_e32 v16, v22, v14
	s_waitcnt lgkmcnt(3)
	v_fmac_f32_e32 v16, v15, v23
	s_waitcnt lgkmcnt(1)
	v_fmac_f32_e32 v16, v17, v24
	s_waitcnt lgkmcnt(0)
	s_barrier
	ds_write_b32 v19, v16
	s_waitcnt lgkmcnt(0)
	s_barrier
	s_and_saveexec_b64 s[10:11], s[8:9]
	s_cbranch_execz .LBB73_65
; %bb.64:
	ds_read2_b32 v[14:15], v18 offset1:1
	ds_read2_b32 v[16:17], v18 offset0:2 offset1:3
	ds_read2_b32 v[20:21], v18 offset0:4 offset1:5
	;; [unrolled: 1-line block ×3, first 2 shown]
	s_waitcnt lgkmcnt(3)
	v_add_f32_e32 v14, v52, v14
	v_add_f32_e32 v14, v14, v15
	s_waitcnt lgkmcnt(2)
	v_add_f32_e32 v14, v14, v16
	v_add_f32_e32 v14, v14, v17
	;; [unrolled: 3-line block ×4, first 2 shown]
.LBB73_65:
	s_or_b64 exec, exec, s[10:11]
	v_fma_f32 v0, v12, v0, 0
	v_fmac_f32_e32 v0, v10, v1
	v_fmac_f32_e32 v0, v11, v2
	;; [unrolled: 1-line block ×3, first 2 shown]
	s_barrier
	ds_write_b32 v19, v0
	s_waitcnt lgkmcnt(0)
	s_barrier
	s_and_saveexec_b64 s[8:9], s[2:3]
	s_cbranch_execz .LBB73_67
; %bb.66:
	ds_read2_b32 v[0:1], v18 offset1:1
	ds_read2_b32 v[2:3], v18 offset0:2 offset1:3
	ds_read2_b32 v[10:11], v18 offset0:4 offset1:5
	;; [unrolled: 1-line block ×3, first 2 shown]
	s_waitcnt lgkmcnt(3)
	v_add_f32_e32 v0, v52, v0
	v_add_f32_e32 v0, v0, v1
	s_waitcnt lgkmcnt(2)
	v_add_f32_e32 v0, v0, v2
	v_add_f32_e32 v0, v0, v3
	;; [unrolled: 3-line block ×4, first 2 shown]
.LBB73_67:
	s_or_b64 exec, exec, s[8:9]
	s_load_dwordx2 s[2:3], s[4:5], 0x60
	s_mul_hi_u32 s4, s34, s7
	s_mul_i32 s40, s40, s7
	s_add_i32 s4, s4, s40
	s_mul_i32 s7, s34, s7
	s_mul_i32 s4, s4, s33
	s_mul_hi_u32 s5, s7, s33
	s_add_i32 s5, s5, s4
	s_mul_i32 s4, s7, s33
	s_lshl_b64 s[4:5], s[4:5], 2
	s_waitcnt lgkmcnt(0)
	s_add_u32 s4, s2, s4
	s_addc_u32 s5, s3, s5
	s_mul_hi_i32 s3, s34, s6
	s_mul_i32 s2, s34, s6
	s_lshl_b64 s[2:3], s[2:3], 2
	s_add_u32 s7, s4, s2
	s_addc_u32 s14, s5, s3
	s_add_i32 s2, s6, 1
	s_cmp_ge_u32 s2, s33
	v_lshlrev_b32_e32 v0, 2, v50
	s_barrier
	s_cbranch_scc1 .LBB73_124
; %bb.68:
	s_mul_i32 s2, s26, s29
	s_mul_hi_u32 s3, s26, s28
	s_add_i32 s2, s3, s2
	s_mul_i32 s3, s27, s28
	s_add_i32 s3, s2, s3
	s_mul_i32 s2, s26, s28
	s_lshl_b64 s[2:3], s[2:3], 2
	v_mov_b32_e32 v1, s3
	v_subrev_co_u32_e32 v53, vcc, s2, v8
	v_and_b32_e32 v2, 48, v50
	v_subb_co_u32_e32 v54, vcc, v9, v1, vcc
	v_and_b32_e32 v1, 15, v50
	v_lshlrev_b32_e32 v3, 2, v2
	s_movk_i32 s2, 0x10c
	v_mad_u32_u24 v55, v1, s2, v3
	v_or_b32_e32 v3, 60, v0
	v_mad_u32_u24 v56, v1, s2, v3
	v_and_b32_e32 v3, 0x1fff0, v36
	v_lshlrev_b32_e32 v37, 4, v51
	v_mad_u32_u24 v57, v1, s2, v3
	v_or_b32_e32 v58, v2, v1
	v_add_u32_e32 v1, 0x80, v37
	v_mad_u64_u32 v[2:3], s[2:3], s20, v1, 0
	v_mov_b32_e32 v8, v3
	v_mad_u64_u32 v[8:9], s[2:3], s21, v1, v[8:9]
	v_mov_b32_e32 v1, v8
	v_sub_co_u32_e32 v2, vcc, v2, v6
	v_add_u32_e32 v3, 0x88, v37
	v_subb_co_u32_e32 v1, vcc, v1, v7, vcc
	v_mad_u64_u32 v[8:9], s[2:3], s20, v3, 0
	v_add_co_u32_e32 v2, vcc, v34, v2
	v_mov_b32_e32 v10, v9
	v_addc_co_u32_e32 v1, vcc, v35, v1, vcc
	v_mad_u64_u32 v[10:11], s[2:3], s21, v3, v[10:11]
	v_mov_b32_e32 v3, v10
	v_sub_co_u32_e32 v8, vcc, v8, v6
	v_add_u32_e32 v9, 0x84, v37
	v_subb_co_u32_e32 v3, vcc, v3, v7, vcc
	v_mad_u64_u32 v[10:11], s[2:3], s20, v9, 0
	v_add_co_u32_e32 v8, vcc, v34, v8
	v_mov_b32_e32 v12, v11
	v_addc_co_u32_e32 v3, vcc, v35, v3, vcc
	;; [unrolled: 9-line block ×4, first 2 shown]
	v_mad_u64_u32 v[16:17], s[2:3], s21, v13, v[16:17]
	v_mov_b32_e32 v13, v16
	v_sub_co_u32_e32 v20, vcc, v14, v6
	v_subb_co_u32_e32 v21, vcc, v13, v7, vcc
	v_add_u32_e32 v13, 0xc4, v37
	v_mad_u64_u32 v[14:15], s[2:3], s20, v13, 0
	v_mov_b32_e32 v16, v15
	v_mad_u64_u32 v[16:17], s[2:3], s21, v13, v[16:17]
	v_mov_b32_e32 v13, v16
	v_sub_co_u32_e32 v22, vcc, v14, v6
	v_subb_co_u32_e32 v23, vcc, v13, v7, vcc
	v_add_u32_e32 v13, 0xc8, v37
	v_mad_u64_u32 v[14:15], s[2:3], s20, v13, 0
	v_mov_b32_e32 v16, v15
	;; [unrolled: 7-line block ×11, first 2 shown]
	v_mad_u64_u32 v[18:19], s[2:3], s21, v13, v[14:15]
	v_add_co_u32_e32 v14, vcc, v34, v20
	v_addc_co_u32_e32 v13, vcc, v35, v21, vcc
	v_mov_b32_e32 v15, v18
	v_sub_co_u32_e32 v46, vcc, v16, v6
	v_subb_co_u32_e32 v47, vcc, v15, v7, vcc
	v_add_co_u32_e32 v6, vcc, v34, v22
	v_addc_co_u32_e32 v7, vcc, v35, v23, vcc
	v_add_co_u32_e32 v16, vcc, v34, v24
	v_addc_co_u32_e32 v15, vcc, v35, v25, vcc
	;; [unrolled: 2-line block ×10, first 2 shown]
	v_cmp_gt_u32_e64 s[2:3], 64, v36
	v_lshrrev_b32_e32 v36, 4, v36
	v_add_co_u32_e32 v34, vcc, v34, v46
	s_movk_i32 s4, 0x430
	v_mul_i32_i24_e32 v36, -12, v36
	v_lshlrev_b32_e32 v60, 2, v51
	v_addc_co_u32_e32 v33, vcc, v35, v47, vcc
	s_add_i32 s15, s33, -2
	v_add_u32_e32 v35, 0x10c0, v37
	s_add_i32 s16, s26, 64
	s_lshl_b64 s[10:11], s[20:21], 8
	v_add_u32_e32 v59, v57, v36
	v_add_u32_e32 v61, 0x10c0, v0
	;; [unrolled: 1-line block ×3, first 2 shown]
	v_or_b32_e32 v63, 1, v60
	v_or_b32_e32 v64, 2, v60
	;; [unrolled: 1-line block ×3, first 2 shown]
	v_mad_u32_u24 v66, v51, s4, v0
	v_add_u32_e32 v67, 16, v60
	v_add_u32_e32 v68, 17, v60
	;; [unrolled: 1-line block ×12, first 2 shown]
	s_cmp_eq_u32 s15, s6
	s_cselect_b32 s17, s35, 0
	s_and_saveexec_b64 s[4:5], s[0:1]
	s_cbranch_execz .LBB73_72
.LBB73_69:
	s_cmp_eq_u32 s17, 0
	s_cselect_b64 s[8:9], -1, 0
	v_cmp_gt_i32_e32 vcc, s17, v50
	s_or_b64 s[12:13], s[8:9], vcc
	v_mov_b32_e32 v36, 0
	s_and_saveexec_b64 s[8:9], s[12:13]
	s_cbranch_execz .LBB73_71
; %bb.70:
	s_ashr_i32 s12, s16, 31
	s_mul_i32 s13, s16, s29
	s_mul_hi_u32 s20, s16, s28
	s_add_i32 s13, s20, s13
	s_mul_i32 s12, s12, s28
	s_add_i32 s13, s13, s12
	s_mul_i32 s12, s16, s28
	s_lshl_b64 s[12:13], s[12:13], 2
	v_mov_b32_e32 v37, s13
	v_add_co_u32_e32 v36, vcc, s12, v53
	v_addc_co_u32_e32 v37, vcc, v54, v37, vcc
	global_load_dword v36, v[36:37], off
.LBB73_71:
	s_or_b64 exec, exec, s[8:9]
	s_waitcnt vmcnt(0)
	ds_write_b32 v61, v36
.LBB73_72:                              ; =>This Inner Loop Header: Depth=1
	s_or_b64 exec, exec, s[4:5]
	s_cmp_eq_u32 s17, 0
	v_add_co_u32_e32 v36, vcc, v2, v0
	s_cselect_b64 s[12:13], -1, 0
	s_cmp_lg_u32 s17, 0
	v_addc_co_u32_e32 v37, vcc, 0, v1, vcc
	s_cselect_b64 s[8:9], -1, 0
	s_and_b64 vcc, exec, s[8:9]
	s_waitcnt lgkmcnt(0)
	s_barrier
	s_cbranch_vccz .LBB73_120
; %bb.73:                               ;   in Loop: Header=BB73_72 Depth=1
	v_cmp_gt_i32_e32 vcc, s17, v60
	v_mov_b32_e32 v80, 0
	v_mov_b32_e32 v79, 0
	s_and_saveexec_b64 s[4:5], vcc
	s_cbranch_execz .LBB73_75
; %bb.74:                               ;   in Loop: Header=BB73_72 Depth=1
	global_load_dword v79, v[36:37], off
.LBB73_75:                              ;   in Loop: Header=BB73_72 Depth=1
	s_or_b64 exec, exec, s[4:5]
	v_cmp_gt_i32_e32 vcc, s17, v63
	s_and_saveexec_b64 s[4:5], vcc
	s_cbranch_execz .LBB73_77
; %bb.76:                               ;   in Loop: Header=BB73_72 Depth=1
	v_add_co_u32_e32 v38, vcc, v10, v0
	v_addc_co_u32_e32 v39, vcc, 0, v9, vcc
	global_load_dword v80, v[38:39], off
.LBB73_77:                              ;   in Loop: Header=BB73_72 Depth=1
	s_or_b64 exec, exec, s[4:5]
	v_cmp_gt_i32_e32 vcc, s17, v64
	v_mov_b32_e32 v82, 0
	v_mov_b32_e32 v81, 0
	s_and_saveexec_b64 s[4:5], vcc
	s_cbranch_execz .LBB73_79
; %bb.78:                               ;   in Loop: Header=BB73_72 Depth=1
	v_add_co_u32_e32 v38, vcc, v8, v0
	v_addc_co_u32_e32 v39, vcc, 0, v3, vcc
	global_load_dword v81, v[38:39], off
.LBB73_79:                              ;   in Loop: Header=BB73_72 Depth=1
	s_or_b64 exec, exec, s[4:5]
	v_cmp_gt_i32_e32 vcc, s17, v65
	s_and_saveexec_b64 s[4:5], vcc
	s_cbranch_execz .LBB73_81
; %bb.80:                               ;   in Loop: Header=BB73_72 Depth=1
	v_add_co_u32_e32 v38, vcc, v12, v0
	v_addc_co_u32_e32 v39, vcc, 0, v11, vcc
	global_load_dword v82, v[38:39], off
.LBB73_81:                              ;   in Loop: Header=BB73_72 Depth=1
	s_or_b64 exec, exec, s[4:5]
	s_branch .LBB73_83
.LBB73_82:                              ;   in Loop: Header=BB73_72 Depth=1
	global_load_dword v79, v[36:37], off
	v_add_co_u32_e32 v36, vcc, v10, v0
	v_addc_co_u32_e32 v37, vcc, 0, v9, vcc
	global_load_dword v80, v[36:37], off
	v_add_co_u32_e32 v36, vcc, v8, v0
	v_addc_co_u32_e32 v37, vcc, 0, v3, vcc
	;; [unrolled: 3-line block ×3, first 2 shown]
	global_load_dword v82, v[36:37], off
.LBB73_83:                              ;   in Loop: Header=BB73_72 Depth=1
	ds_read_b32 v36, v62
	ds_read_b32 v83, v35
	v_cndmask_b32_e64 v40, 0, 1, s[8:9]
	v_cmp_ne_u32_e64 s[4:5], 1, v40
	s_andn2_b64 vcc, exec, s[8:9]
	s_waitcnt vmcnt(0) lgkmcnt(1)
	v_mul_f32_e32 v37, v79, v36
	v_mul_f32_e32 v38, v80, v36
	ds_write_b32 v66, v37
	v_mul_f32_e32 v39, v81, v36
	ds_read_b32 v84, v35 offset:4
	ds_write_b32 v66, v38 offset:268
	ds_read_b32 v85, v35 offset:8
	ds_write_b32 v66, v39 offset:536
	v_mul_f32_e32 v36, v82, v36
	ds_read_b32 v86, v35 offset:12
	ds_write_b32 v66, v36 offset:804
	s_waitcnt lgkmcnt(0)
	s_barrier
	ds_read2_b32 v[38:39], v57 offset1:1
	ds_read2_b32 v[36:37], v57 offset0:2 offset1:3
	v_add_co_u32_e64 v40, s[8:9], v14, v0
	v_addc_co_u32_e64 v41, s[8:9], 0, v13, s[8:9]
	s_waitcnt lgkmcnt(0)
	s_barrier
	s_cbranch_vccnz .LBB73_121
; %bb.84:                               ;   in Loop: Header=BB73_72 Depth=1
	v_cmp_gt_i32_e32 vcc, s17, v67
	v_mov_b32_e32 v88, 0
	v_mov_b32_e32 v87, 0
	s_and_saveexec_b64 s[8:9], vcc
	s_cbranch_execz .LBB73_86
; %bb.85:                               ;   in Loop: Header=BB73_72 Depth=1
	global_load_dword v87, v[40:41], off
.LBB73_86:                              ;   in Loop: Header=BB73_72 Depth=1
	s_or_b64 exec, exec, s[8:9]
	v_cmp_gt_i32_e32 vcc, s17, v68
	s_and_saveexec_b64 s[8:9], vcc
	s_cbranch_execz .LBB73_88
; %bb.87:                               ;   in Loop: Header=BB73_72 Depth=1
	v_add_co_u32_e32 v42, vcc, v6, v0
	v_addc_co_u32_e32 v43, vcc, 0, v7, vcc
	global_load_dword v88, v[42:43], off
.LBB73_88:                              ;   in Loop: Header=BB73_72 Depth=1
	s_or_b64 exec, exec, s[8:9]
	v_cmp_gt_i32_e32 vcc, s17, v69
	v_mov_b32_e32 v90, 0
	v_mov_b32_e32 v89, 0
	s_and_saveexec_b64 s[8:9], vcc
	s_cbranch_execz .LBB73_90
; %bb.89:                               ;   in Loop: Header=BB73_72 Depth=1
	v_add_co_u32_e32 v42, vcc, v16, v0
	v_addc_co_u32_e32 v43, vcc, 0, v15, vcc
	global_load_dword v89, v[42:43], off
.LBB73_90:                              ;   in Loop: Header=BB73_72 Depth=1
	s_or_b64 exec, exec, s[8:9]
	v_cmp_gt_i32_e32 vcc, s17, v70
	s_and_saveexec_b64 s[8:9], vcc
	s_cbranch_execz .LBB73_92
; %bb.91:                               ;   in Loop: Header=BB73_72 Depth=1
	v_add_co_u32_e32 v42, vcc, v18, v0
	v_addc_co_u32_e32 v43, vcc, 0, v17, vcc
	global_load_dword v90, v[42:43], off
.LBB73_92:                              ;   in Loop: Header=BB73_72 Depth=1
	s_or_b64 exec, exec, s[8:9]
	s_branch .LBB73_94
.LBB73_93:                              ;   in Loop: Header=BB73_72 Depth=1
	global_load_dword v87, v[40:41], off
	v_add_co_u32_e32 v40, vcc, v6, v0
	v_addc_co_u32_e32 v41, vcc, 0, v7, vcc
	global_load_dword v88, v[40:41], off
	v_add_co_u32_e32 v40, vcc, v16, v0
	v_addc_co_u32_e32 v41, vcc, 0, v15, vcc
	;; [unrolled: 3-line block ×3, first 2 shown]
	global_load_dword v90, v[40:41], off
.LBB73_94:                              ;   in Loop: Header=BB73_72 Depth=1
	ds_read_b32 v40, v62
	ds_read_b32 v91, v35 offset:64
	v_add_co_u32_e64 v44, s[8:9], v20, v0
	s_and_b64 vcc, exec, s[4:5]
	s_waitcnt vmcnt(0) lgkmcnt(1)
	v_mul_f32_e32 v41, v87, v40
	v_mul_f32_e32 v42, v88, v40
	ds_write_b32 v66, v41
	v_mul_f32_e32 v43, v89, v40
	ds_read_b32 v92, v35 offset:68
	ds_write_b32 v66, v42 offset:268
	ds_read_b32 v93, v35 offset:72
	ds_write_b32 v66, v43 offset:536
	v_mul_f32_e32 v40, v90, v40
	ds_read_b32 v94, v35 offset:76
	ds_write_b32 v66, v40 offset:804
	s_waitcnt lgkmcnt(0)
	s_barrier
	ds_read2_b32 v[42:43], v57 offset1:1
	ds_read2_b32 v[40:41], v57 offset0:2 offset1:3
	v_addc_co_u32_e64 v45, s[8:9], 0, v19, s[8:9]
	s_waitcnt lgkmcnt(0)
	s_barrier
	s_cbranch_vccnz .LBB73_122
; %bb.95:                               ;   in Loop: Header=BB73_72 Depth=1
	v_cmp_gt_i32_e32 vcc, s17, v71
	v_mov_b32_e32 v96, 0
	v_mov_b32_e32 v95, 0
	s_and_saveexec_b64 s[8:9], vcc
	s_cbranch_execz .LBB73_97
; %bb.96:                               ;   in Loop: Header=BB73_72 Depth=1
	global_load_dword v95, v[44:45], off
.LBB73_97:                              ;   in Loop: Header=BB73_72 Depth=1
	s_or_b64 exec, exec, s[8:9]
	v_cmp_gt_i32_e32 vcc, s17, v72
	s_and_saveexec_b64 s[8:9], vcc
	s_cbranch_execz .LBB73_99
; %bb.98:                               ;   in Loop: Header=BB73_72 Depth=1
	v_add_co_u32_e32 v46, vcc, v22, v0
	v_addc_co_u32_e32 v47, vcc, 0, v21, vcc
	global_load_dword v96, v[46:47], off
.LBB73_99:                              ;   in Loop: Header=BB73_72 Depth=1
	s_or_b64 exec, exec, s[8:9]
	v_cmp_gt_i32_e32 vcc, s17, v73
	v_mov_b32_e32 v98, 0
	v_mov_b32_e32 v97, 0
	s_and_saveexec_b64 s[8:9], vcc
	s_cbranch_execz .LBB73_101
; %bb.100:                              ;   in Loop: Header=BB73_72 Depth=1
	v_add_co_u32_e32 v46, vcc, v24, v0
	v_addc_co_u32_e32 v47, vcc, 0, v23, vcc
	global_load_dword v97, v[46:47], off
.LBB73_101:                             ;   in Loop: Header=BB73_72 Depth=1
	s_or_b64 exec, exec, s[8:9]
	v_cmp_gt_i32_e32 vcc, s17, v74
	s_and_saveexec_b64 s[8:9], vcc
	s_cbranch_execz .LBB73_103
; %bb.102:                              ;   in Loop: Header=BB73_72 Depth=1
	v_add_co_u32_e32 v46, vcc, v26, v0
	v_addc_co_u32_e32 v47, vcc, 0, v25, vcc
	global_load_dword v98, v[46:47], off
.LBB73_103:                             ;   in Loop: Header=BB73_72 Depth=1
	s_or_b64 exec, exec, s[8:9]
	s_branch .LBB73_105
.LBB73_104:                             ;   in Loop: Header=BB73_72 Depth=1
	global_load_dword v95, v[44:45], off
	v_add_co_u32_e32 v44, vcc, v22, v0
	v_addc_co_u32_e32 v45, vcc, 0, v21, vcc
	global_load_dword v96, v[44:45], off
	v_add_co_u32_e32 v44, vcc, v24, v0
	v_addc_co_u32_e32 v45, vcc, 0, v23, vcc
	;; [unrolled: 3-line block ×3, first 2 shown]
	global_load_dword v98, v[44:45], off
.LBB73_105:                             ;   in Loop: Header=BB73_72 Depth=1
	ds_read_b32 v44, v62
	ds_read_b32 v99, v35 offset:128
	s_and_b64 vcc, exec, s[4:5]
	v_add_co_u32_e64 v48, s[4:5], v28, v0
	s_waitcnt vmcnt(0) lgkmcnt(1)
	v_mul_f32_e32 v45, v95, v44
	v_mul_f32_e32 v46, v96, v44
	ds_write_b32 v66, v45
	v_mul_f32_e32 v47, v97, v44
	ds_read_b32 v100, v35 offset:132
	ds_write_b32 v66, v46 offset:268
	ds_read_b32 v101, v35 offset:136
	ds_write_b32 v66, v47 offset:536
	v_mul_f32_e32 v44, v98, v44
	ds_read_b32 v102, v35 offset:140
	ds_write_b32 v66, v44 offset:804
	s_waitcnt lgkmcnt(0)
	s_barrier
	ds_read2_b32 v[46:47], v57 offset1:1
	ds_read2_b32 v[44:45], v57 offset0:2 offset1:3
	v_addc_co_u32_e64 v49, s[4:5], 0, v27, s[4:5]
	s_waitcnt lgkmcnt(0)
	s_barrier
	s_cbranch_vccnz .LBB73_123
; %bb.106:                              ;   in Loop: Header=BB73_72 Depth=1
	v_cmp_gt_i32_e32 vcc, s17, v75
	v_mov_b32_e32 v104, 0
	v_mov_b32_e32 v103, 0
	s_and_saveexec_b64 s[4:5], vcc
	s_cbranch_execz .LBB73_108
; %bb.107:                              ;   in Loop: Header=BB73_72 Depth=1
	global_load_dword v103, v[48:49], off
.LBB73_108:                             ;   in Loop: Header=BB73_72 Depth=1
	s_or_b64 exec, exec, s[4:5]
	v_cmp_gt_i32_e32 vcc, s17, v76
	s_and_saveexec_b64 s[4:5], vcc
	s_cbranch_execz .LBB73_110
; %bb.109:                              ;   in Loop: Header=BB73_72 Depth=1
	v_add_co_u32_e32 v104, vcc, v30, v0
	v_addc_co_u32_e32 v105, vcc, 0, v29, vcc
	global_load_dword v104, v[104:105], off
.LBB73_110:                             ;   in Loop: Header=BB73_72 Depth=1
	s_or_b64 exec, exec, s[4:5]
	v_cmp_gt_i32_e32 vcc, s17, v77
	v_mov_b32_e32 v106, 0
	v_mov_b32_e32 v105, 0
	s_and_saveexec_b64 s[4:5], vcc
	s_cbranch_execz .LBB73_112
; %bb.111:                              ;   in Loop: Header=BB73_72 Depth=1
	v_add_co_u32_e32 v108, vcc, v32, v0
	v_addc_co_u32_e32 v109, vcc, 0, v31, vcc
	global_load_dword v105, v[108:109], off
.LBB73_112:                             ;   in Loop: Header=BB73_72 Depth=1
	s_or_b64 exec, exec, s[4:5]
	v_cmp_gt_i32_e32 vcc, s17, v78
	s_and_saveexec_b64 s[4:5], vcc
	s_cbranch_execz .LBB73_114
; %bb.113:                              ;   in Loop: Header=BB73_72 Depth=1
	v_add_co_u32_e32 v106, vcc, v34, v0
	v_addc_co_u32_e32 v107, vcc, 0, v33, vcc
	global_load_dword v106, v[106:107], off
.LBB73_114:                             ;   in Loop: Header=BB73_72 Depth=1
	s_or_b64 exec, exec, s[4:5]
	s_branch .LBB73_116
.LBB73_115:                             ;   in Loop: Header=BB73_72 Depth=1
	global_load_dword v103, v[48:49], off
	v_add_co_u32_e32 v48, vcc, v30, v0
	v_addc_co_u32_e32 v49, vcc, 0, v29, vcc
	global_load_dword v104, v[48:49], off
	v_add_co_u32_e32 v48, vcc, v32, v0
	v_addc_co_u32_e32 v49, vcc, 0, v31, vcc
	;; [unrolled: 3-line block ×3, first 2 shown]
	global_load_dword v106, v[48:49], off
.LBB73_116:                             ;   in Loop: Header=BB73_72 Depth=1
	v_add_f32_e32 v42, 0, v42
	v_add_f32_e32 v42, v42, v43
	ds_read_b32 v43, v62
	v_add_f32_e32 v46, 0, v46
	v_add_f32_e32 v46, v46, v47
	;; [unrolled: 1-line block ×6, first 2 shown]
	ds_read_b32 v38, v35 offset:192
	s_waitcnt vmcnt(0) lgkmcnt(1)
	v_mul_f32_e32 v40, v103, v43
	ds_write_b32 v66, v40
	v_mul_f32_e32 v41, v104, v43
	ds_read_b32 v40, v35 offset:196
	ds_write_b32 v66, v41 offset:268
	v_mul_f32_e32 v42, v105, v43
	ds_read_b32 v41, v35 offset:200
	ds_write_b32 v66, v42 offset:536
	v_mul_f32_e32 v43, v106, v43
	v_add_f32_e32 v48, v44, v45
	ds_read_b32 v42, v35 offset:204
	ds_write_b32 v66, v43 offset:804
	s_waitcnt lgkmcnt(0)
	s_barrier
	ds_read2_b32 v[44:45], v57 offset1:1
	v_add_f32_e32 v39, v46, v39
	ds_read2_b32 v[46:47], v57 offset0:2 offset1:3
	v_add_f32_e32 v36, v39, v36
	v_add_f32_e32 v36, v36, v37
	s_waitcnt lgkmcnt(1)
	v_add_f32_e32 v37, 0, v44
	v_cmp_gt_i32_e32 vcc, s17, v50
	v_add_f32_e32 v37, v37, v45
	s_or_b64 s[4:5], s[12:13], vcc
	s_waitcnt lgkmcnt(0)
	v_add_f32_e32 v37, v37, v46
	s_and_b64 s[8:9], s[2:3], s[4:5]
	v_add_f32_e32 v37, v37, v47
	s_barrier
	ds_write2_b32 v59, v36, v49 offset1:16
	ds_write2_b32 v59, v48, v37 offset0:32 offset1:48
	s_waitcnt lgkmcnt(0)
	s_barrier
	s_and_saveexec_b64 s[4:5], s[8:9]
	s_cbranch_execz .LBB73_118
; %bb.117:                              ;   in Loop: Header=BB73_72 Depth=1
	ds_read2_b32 v[36:37], v55 offset1:1
	ds_read2_b32 v[44:45], v55 offset0:2 offset1:3
	ds_read2_b32 v[46:47], v55 offset0:4 offset1:5
	;; [unrolled: 1-line block ×3, first 2 shown]
	s_waitcnt lgkmcnt(3)
	v_add_f32_e32 v36, v36, v37
	s_waitcnt lgkmcnt(2)
	v_add_f32_e32 v36, v36, v44
	v_add_f32_e32 v36, v36, v45
	s_waitcnt lgkmcnt(1)
	v_add_f32_e32 v36, v36, v46
	;; [unrolled: 3-line block ×3, first 2 shown]
	ds_read2_b32 v[36:37], v55 offset0:8 offset1:9
	v_add_f32_e32 v39, v39, v49
	ds_read2_b32 v[44:45], v55 offset0:10 offset1:11
	ds_read2_b32 v[46:47], v55 offset0:12 offset1:13
	ds_read_b32 v43, v55 offset:56
	s_waitcnt lgkmcnt(3)
	v_add_f32_e32 v36, v39, v36
	v_add_f32_e32 v36, v36, v37
	s_waitcnt lgkmcnt(2)
	v_add_f32_e32 v36, v36, v44
	ds_read_b32 v37, v56
	v_add_f32_e32 v36, v36, v45
	s_waitcnt lgkmcnt(2)
	v_add_f32_e32 v36, v36, v46
	v_add_f32_e32 v36, v36, v47
	s_waitcnt lgkmcnt(1)
	v_add_f32_e32 v36, v36, v43
	s_waitcnt lgkmcnt(0)
	v_add_f32_e32 v39, v36, v37
	v_add_u32_e32 v36, s16, v58
	v_ashrrev_i32_e32 v37, 31, v36
	v_lshlrev_b64 v[36:37], 2, v[36:37]
	v_mov_b32_e32 v43, s14
	v_add_co_u32_e32 v36, vcc, s7, v36
	v_addc_co_u32_e32 v37, vcc, v43, v37, vcc
	global_store_dword v[36:37], v39, off
.LBB73_118:                             ;   in Loop: Header=BB73_72 Depth=1
	s_or_b64 exec, exec, s[4:5]
	v_mov_b32_e32 v36, s11
	v_add_co_u32_e32 v2, vcc, s10, v2
	v_addc_co_u32_e32 v1, vcc, v1, v36, vcc
	v_add_co_u32_e32 v8, vcc, s10, v8
	v_addc_co_u32_e32 v3, vcc, v3, v36, vcc
	;; [unrolled: 2-line block ×8, first 2 shown]
	v_fmac_f32_e32 v52, v79, v83
	v_add_co_u32_e32 v20, vcc, s10, v20
	v_fmac_f32_e32 v52, v80, v84
	v_addc_co_u32_e32 v19, vcc, v19, v36, vcc
	v_fmac_f32_e32 v52, v81, v85
	v_add_co_u32_e32 v22, vcc, s10, v22
	v_fmac_f32_e32 v52, v82, v86
	v_addc_co_u32_e32 v21, vcc, v21, v36, vcc
	;; [unrolled: 4-line block ×7, first 2 shown]
	v_fmac_f32_e32 v52, v105, v41
	s_add_i32 s4, s6, 1
	s_add_i32 s16, s16, 64
	s_add_i32 s5, s6, 2
	v_add_co_u32_e32 v34, vcc, s10, v34
	v_fmac_f32_e32 v52, v106, v42
	s_cmp_ge_u32 s5, s33
	v_addc_co_u32_e32 v33, vcc, v33, v36, vcc
	s_barrier
	s_cbranch_scc1 .LBB73_124
; %bb.119:                              ;   in Loop: Header=BB73_72 Depth=1
	s_mov_b32 s6, s4
	s_cmp_eq_u32 s15, s6
	s_cselect_b32 s17, s35, 0
	s_and_saveexec_b64 s[4:5], s[0:1]
	s_cbranch_execnz .LBB73_69
	s_branch .LBB73_72
.LBB73_120:                             ;   in Loop: Header=BB73_72 Depth=1
                                        ; implicit-def: $vgpr82
                                        ; implicit-def: $vgpr81
                                        ; implicit-def: $vgpr80
                                        ; implicit-def: $vgpr79
	s_cbranch_execnz .LBB73_82
	s_branch .LBB73_83
.LBB73_121:                             ;   in Loop: Header=BB73_72 Depth=1
                                        ; implicit-def: $vgpr90
                                        ; implicit-def: $vgpr89
                                        ; implicit-def: $vgpr88
                                        ; implicit-def: $vgpr87
	s_cbranch_execnz .LBB73_93
	s_branch .LBB73_94
.LBB73_122:                             ;   in Loop: Header=BB73_72 Depth=1
                                        ; implicit-def: $vgpr98
                                        ; implicit-def: $vgpr97
                                        ; implicit-def: $vgpr96
                                        ; implicit-def: $vgpr95
	s_cbranch_execnz .LBB73_104
	s_branch .LBB73_105
.LBB73_123:                             ;   in Loop: Header=BB73_72 Depth=1
                                        ; implicit-def: $vgpr106
                                        ; implicit-def: $vgpr105
                                        ; implicit-def: $vgpr104
                                        ; implicit-def: $vgpr103
	s_cbranch_execnz .LBB73_115
	s_branch .LBB73_116
.LBB73_124:
	s_movk_i32 s2, 0x10c
	v_cmp_gt_i32_e32 vcc, s24, v50
	v_mad_u32_u24 v1, v51, s2, v0
	s_or_b64 s[2:3], s[18:19], vcc
	s_and_b64 s[0:1], s[0:1], s[2:3]
	ds_write_b32 v1, v52
	s_waitcnt lgkmcnt(0)
	s_barrier
	s_and_saveexec_b64 s[2:3], s[0:1]
	s_cbranch_execz .LBB73_126
; %bb.125:
	ds_read2_b32 v[2:3], v0 offset1:67
	ds_read2_b32 v[0:1], v0 offset0:134 offset1:201
	v_lshlrev_b64 v[4:5], 2, v[4:5]
	v_mov_b32_e32 v6, s14
	s_waitcnt lgkmcnt(1)
	v_add_f32_e32 v2, v2, v3
	s_waitcnt lgkmcnt(0)
	v_add_f32_e32 v0, v2, v0
	v_add_f32_e32 v2, v0, v1
	v_add_co_u32_e32 v0, vcc, s7, v4
	v_addc_co_u32_e32 v1, vcc, v6, v5, vcc
	global_store_dword v[0:1], v2, off
.LBB73_126:
	s_endpgm
	.section	.rodata,"a",@progbits
	.p2align	6, 0x0
	.amdhsa_kernel _ZL26rocblas_hemvn_kernel_upperILb0ELi64ELi4ELi33ELi32ELi16ElfPKfPfEviT6_lT7_lT5_lS4_lS5_lS3_lT8_i
		.amdhsa_group_segment_fixed_size 4800
		.amdhsa_private_segment_fixed_size 0
		.amdhsa_kernarg_size 368
		.amdhsa_user_sgpr_count 6
		.amdhsa_user_sgpr_private_segment_buffer 1
		.amdhsa_user_sgpr_dispatch_ptr 0
		.amdhsa_user_sgpr_queue_ptr 0
		.amdhsa_user_sgpr_kernarg_segment_ptr 1
		.amdhsa_user_sgpr_dispatch_id 0
		.amdhsa_user_sgpr_flat_scratch_init 0
		.amdhsa_user_sgpr_kernarg_preload_length 0
		.amdhsa_user_sgpr_kernarg_preload_offset 0
		.amdhsa_user_sgpr_private_segment_size 0
		.amdhsa_uses_dynamic_stack 0
		.amdhsa_system_sgpr_private_segment_wavefront_offset 0
		.amdhsa_system_sgpr_workgroup_id_x 1
		.amdhsa_system_sgpr_workgroup_id_y 0
		.amdhsa_system_sgpr_workgroup_id_z 1
		.amdhsa_system_sgpr_workgroup_info 0
		.amdhsa_system_vgpr_workitem_id 1
		.amdhsa_next_free_vgpr 110
		.amdhsa_next_free_sgpr 44
		.amdhsa_accum_offset 112
		.amdhsa_reserve_vcc 1
		.amdhsa_reserve_flat_scratch 0
		.amdhsa_float_round_mode_32 0
		.amdhsa_float_round_mode_16_64 0
		.amdhsa_float_denorm_mode_32 3
		.amdhsa_float_denorm_mode_16_64 3
		.amdhsa_dx10_clamp 1
		.amdhsa_ieee_mode 1
		.amdhsa_fp16_overflow 0
		.amdhsa_tg_split 0
		.amdhsa_exception_fp_ieee_invalid_op 0
		.amdhsa_exception_fp_denorm_src 0
		.amdhsa_exception_fp_ieee_div_zero 0
		.amdhsa_exception_fp_ieee_overflow 0
		.amdhsa_exception_fp_ieee_underflow 0
		.amdhsa_exception_fp_ieee_inexact 0
		.amdhsa_exception_int_div_zero 0
	.end_amdhsa_kernel
	.section	.text._ZL26rocblas_hemvn_kernel_upperILb0ELi64ELi4ELi33ELi32ELi16ElfPKfPfEviT6_lT7_lT5_lS4_lS5_lS3_lT8_i,"axG",@progbits,_ZL26rocblas_hemvn_kernel_upperILb0ELi64ELi4ELi33ELi32ELi16ElfPKfPfEviT6_lT7_lT5_lS4_lS5_lS3_lT8_i,comdat
.Lfunc_end73:
	.size	_ZL26rocblas_hemvn_kernel_upperILb0ELi64ELi4ELi33ELi32ELi16ElfPKfPfEviT6_lT7_lT5_lS4_lS5_lS3_lT8_i, .Lfunc_end73-_ZL26rocblas_hemvn_kernel_upperILb0ELi64ELi4ELi33ELi32ELi16ElfPKfPfEviT6_lT7_lT5_lS4_lS5_lS3_lT8_i
                                        ; -- End function
	.section	.AMDGPU.csdata,"",@progbits
; Kernel info:
; codeLenInByte = 6760
; NumSgprs: 48
; NumVgprs: 110
; NumAgprs: 0
; TotalNumVgprs: 110
; ScratchSize: 0
; MemoryBound: 0
; FloatMode: 240
; IeeeMode: 1
; LDSByteSize: 4800 bytes/workgroup (compile time only)
; SGPRBlocks: 5
; VGPRBlocks: 13
; NumSGPRsForWavesPerEU: 48
; NumVGPRsForWavesPerEU: 110
; AccumOffset: 112
; Occupancy: 4
; WaveLimiterHint : 1
; COMPUTE_PGM_RSRC2:SCRATCH_EN: 0
; COMPUTE_PGM_RSRC2:USER_SGPR: 6
; COMPUTE_PGM_RSRC2:TRAP_HANDLER: 0
; COMPUTE_PGM_RSRC2:TGID_X_EN: 1
; COMPUTE_PGM_RSRC2:TGID_Y_EN: 0
; COMPUTE_PGM_RSRC2:TGID_Z_EN: 1
; COMPUTE_PGM_RSRC2:TIDIG_COMP_CNT: 1
; COMPUTE_PGM_RSRC3_GFX90A:ACCUM_OFFSET: 27
; COMPUTE_PGM_RSRC3_GFX90A:TG_SPLIT: 0
	.section	.text._ZL36rocblas_hemvn_kernel_upper_block_sumILi64ElfPffEviT1_lS1_lT2_lT0_lPT3_i,"axG",@progbits,_ZL36rocblas_hemvn_kernel_upper_block_sumILi64ElfPffEviT1_lS1_lT2_lT0_lPT3_i,comdat
	.globl	_ZL36rocblas_hemvn_kernel_upper_block_sumILi64ElfPffEviT1_lS1_lT2_lT0_lPT3_i ; -- Begin function _ZL36rocblas_hemvn_kernel_upper_block_sumILi64ElfPffEviT1_lS1_lT2_lT0_lPT3_i
	.p2align	8
	.type	_ZL36rocblas_hemvn_kernel_upper_block_sumILi64ElfPffEviT1_lS1_lT2_lT0_lPT3_i,@function
_ZL36rocblas_hemvn_kernel_upper_block_sumILi64ElfPffEviT1_lS1_lT2_lT0_lPT3_i: ; @_ZL36rocblas_hemvn_kernel_upper_block_sumILi64ElfPffEviT1_lS1_lT2_lT0_lPT3_i
; %bb.0:
	s_load_dwordx2 s[2:3], s[4:5], 0x0
	s_load_dword s20, s[4:5], 0x10
	s_waitcnt lgkmcnt(0)
	v_cmp_eq_f32_e64 s[0:1], s3, 0
	v_cmp_eq_f32_e64 s[8:9], s20, 1.0
	s_and_b64 s[0:1], s[0:1], s[8:9]
	s_and_b64 vcc, exec, s[0:1]
	s_cbranch_vccnz .LBB74_19
; %bb.1:
	s_load_dwordx8 s[8:15], s[4:5], 0x28
	s_load_dwordx2 s[0:1], s[4:5], 0x20
	v_lshl_or_b32 v0, s6, 6, v0
	s_waitcnt lgkmcnt(0)
	s_mul_i32 s13, s7, s13
	s_mul_hi_u32 s16, s7, s12
	s_mul_i32 s12, s7, s12
	s_add_i32 s13, s16, s13
	s_lshl_b64 s[12:13], s[12:13], 2
	s_add_u32 s12, s0, s12
	s_addc_u32 s13, s1, s13
	s_lshl_b64 s[0:1], s[8:9], 2
	s_add_u32 s18, s12, s0
	s_addc_u32 s19, s13, s1
	v_cmp_neq_f32_e64 s[0:1], s3, 0
	s_and_b64 vcc, exec, s[0:1]
	v_cmp_gt_i32_e64 s[0:1], s2, v0
	s_cbranch_vccnz .LBB74_6
; %bb.2:
	s_mov_b64 s[12:13], 0
	s_mov_b64 s[8:9], 0
                                        ; implicit-def: $vgpr1
                                        ; implicit-def: $vgpr2_vgpr3
	s_and_saveexec_b64 s[16:17], s[0:1]
	s_cbranch_execz .LBB74_7
; %bb.3:
	v_ashrrev_i32_e32 v2, 31, v0
	v_cmp_eq_f32_e64 s[0:1], s20, 0
	v_mul_lo_u32 v4, v0, s11
	v_mul_lo_u32 v5, v2, s10
	v_mad_u64_u32 v[2:3], s[8:9], v0, s10, 0
	v_mov_b32_e32 v1, 0
	v_add3_u32 v3, v3, v4, v5
	s_and_b64 vcc, exec, s[0:1]
	s_cbranch_vccnz .LBB74_5
; %bb.4:
	v_lshlrev_b64 v[4:5], 2, v[2:3]
	v_mov_b32_e32 v1, s19
	v_add_co_u32_e32 v4, vcc, s18, v4
	v_addc_co_u32_e32 v5, vcc, v1, v5, vcc
	global_load_dword v1, v[4:5], off
	s_waitcnt vmcnt(0)
	v_mul_f32_e32 v1, s20, v1
.LBB74_5:
	s_mov_b64 s[8:9], exec
	s_or_b64 exec, exec, s[16:17]
	s_and_b64 vcc, exec, s[12:13]
	s_cbranch_vccnz .LBB74_8
	s_branch .LBB74_17
.LBB74_6:
	s_mov_b64 s[8:9], 0
                                        ; implicit-def: $vgpr1
                                        ; implicit-def: $vgpr2_vgpr3
	s_cbranch_execnz .LBB74_8
	s_branch .LBB74_17
.LBB74_7:
	s_or_b64 exec, exec, s[16:17]
	s_and_b64 vcc, exec, s[12:13]
	s_cbranch_vccz .LBB74_17
.LBB74_8:
	v_cmp_gt_i32_e32 vcc, s2, v0
                                        ; implicit-def: $vgpr1
                                        ; implicit-def: $vgpr2_vgpr3
	s_and_saveexec_b64 s[0:1], vcc
	s_cbranch_execz .LBB74_16
; %bb.9:
	v_ashrrev_i32_e32 v1, 31, v0
	s_cmp_lt_i32 s6, 0
	v_mov_b32_e32 v4, 0
	s_cbranch_scc1 .LBB74_12
; %bb.10:
	s_load_dword s4, s[4:5], 0x50
	s_ashr_i32 s13, s2, 31
	s_mul_hi_u32 s5, s2, s7
	s_mul_i32 s16, s13, s7
	s_mov_b32 s12, s2
	s_add_i32 s5, s5, s16
	s_mul_i32 s2, s2, s7
	s_waitcnt lgkmcnt(0)
	s_mul_i32 s5, s5, s4
	s_mul_hi_u32 s7, s2, s4
	s_add_i32 s5, s7, s5
	s_mul_i32 s4, s2, s4
	s_lshl_b64 s[4:5], s[4:5], 2
	s_add_u32 s2, s14, s4
	s_addc_u32 s4, s15, s5
	v_lshlrev_b64 v[2:3], 2, v[0:1]
	v_mov_b32_e32 v4, s4
	v_add_co_u32_e32 v2, vcc, s2, v2
	s_lshl_b64 s[4:5], s[12:13], 2
	v_addc_co_u32_e32 v3, vcc, v4, v3, vcc
	s_add_i32 s2, s6, 1
	v_mov_b32_e32 v4, 0
	v_mov_b32_e32 v5, s5
.LBB74_11:                              ; =>This Inner Loop Header: Depth=1
	global_load_dword v6, v[2:3], off
	s_add_i32 s2, s2, -1
	v_add_co_u32_e32 v2, vcc, s4, v2
	v_addc_co_u32_e32 v3, vcc, v3, v5, vcc
	s_cmp_eq_u32 s2, 0
	s_waitcnt vmcnt(0)
	v_add_f32_e32 v4, v4, v6
	s_cbranch_scc0 .LBB74_11
.LBB74_12:
	v_cmp_eq_f32_e64 s[4:5], s20, 0
	s_and_b64 vcc, exec, s[4:5]
	v_mul_lo_u32 v5, v1, s10
	v_mul_lo_u32 v6, v0, s11
	s_cbranch_vccz .LBB74_20
; %bb.13:
	v_mad_u64_u32 v[2:3], s[4:5], v0, s10, 0
	v_mul_f32_e32 v1, s3, v4
	v_add3_u32 v3, v3, v6, v5
	s_cbranch_execnz .LBB74_15
.LBB74_14:
	v_mad_u64_u32 v[2:3], s[4:5], v0, s10, 0
	v_add3_u32 v3, v3, v6, v5
	v_lshlrev_b64 v[0:1], 2, v[2:3]
	v_mov_b32_e32 v5, s19
	v_add_co_u32_e32 v0, vcc, s18, v0
	v_addc_co_u32_e32 v1, vcc, v5, v1, vcc
	global_load_dword v0, v[0:1], off
	s_waitcnt vmcnt(0)
	v_mul_f32_e32 v1, s20, v0
	v_fmac_f32_e32 v1, s3, v4
.LBB74_15:
	s_or_b64 s[8:9], s[8:9], exec
.LBB74_16:
	s_or_b64 exec, exec, s[0:1]
.LBB74_17:
	s_and_saveexec_b64 s[0:1], s[8:9]
	s_cbranch_execz .LBB74_19
; %bb.18:
	v_lshlrev_b64 v[2:3], 2, v[2:3]
	v_mov_b32_e32 v0, s19
	v_add_co_u32_e32 v2, vcc, s18, v2
	v_addc_co_u32_e32 v3, vcc, v0, v3, vcc
	global_store_dword v[2:3], v1, off
.LBB74_19:
	s_endpgm
.LBB74_20:
                                        ; implicit-def: $vgpr1
                                        ; implicit-def: $vgpr2_vgpr3
	s_branch .LBB74_14
	.section	.rodata,"a",@progbits
	.p2align	6, 0x0
	.amdhsa_kernel _ZL36rocblas_hemvn_kernel_upper_block_sumILi64ElfPffEviT1_lS1_lT2_lT0_lPT3_i
		.amdhsa_group_segment_fixed_size 0
		.amdhsa_private_segment_fixed_size 0
		.amdhsa_kernarg_size 336
		.amdhsa_user_sgpr_count 6
		.amdhsa_user_sgpr_private_segment_buffer 1
		.amdhsa_user_sgpr_dispatch_ptr 0
		.amdhsa_user_sgpr_queue_ptr 0
		.amdhsa_user_sgpr_kernarg_segment_ptr 1
		.amdhsa_user_sgpr_dispatch_id 0
		.amdhsa_user_sgpr_flat_scratch_init 0
		.amdhsa_user_sgpr_kernarg_preload_length 0
		.amdhsa_user_sgpr_kernarg_preload_offset 0
		.amdhsa_user_sgpr_private_segment_size 0
		.amdhsa_uses_dynamic_stack 0
		.amdhsa_system_sgpr_private_segment_wavefront_offset 0
		.amdhsa_system_sgpr_workgroup_id_x 1
		.amdhsa_system_sgpr_workgroup_id_y 0
		.amdhsa_system_sgpr_workgroup_id_z 1
		.amdhsa_system_sgpr_workgroup_info 0
		.amdhsa_system_vgpr_workitem_id 0
		.amdhsa_next_free_vgpr 7
		.amdhsa_next_free_sgpr 21
		.amdhsa_accum_offset 8
		.amdhsa_reserve_vcc 1
		.amdhsa_reserve_flat_scratch 0
		.amdhsa_float_round_mode_32 0
		.amdhsa_float_round_mode_16_64 0
		.amdhsa_float_denorm_mode_32 3
		.amdhsa_float_denorm_mode_16_64 3
		.amdhsa_dx10_clamp 1
		.amdhsa_ieee_mode 1
		.amdhsa_fp16_overflow 0
		.amdhsa_tg_split 0
		.amdhsa_exception_fp_ieee_invalid_op 0
		.amdhsa_exception_fp_denorm_src 0
		.amdhsa_exception_fp_ieee_div_zero 0
		.amdhsa_exception_fp_ieee_overflow 0
		.amdhsa_exception_fp_ieee_underflow 0
		.amdhsa_exception_fp_ieee_inexact 0
		.amdhsa_exception_int_div_zero 0
	.end_amdhsa_kernel
	.section	.text._ZL36rocblas_hemvn_kernel_upper_block_sumILi64ElfPffEviT1_lS1_lT2_lT0_lPT3_i,"axG",@progbits,_ZL36rocblas_hemvn_kernel_upper_block_sumILi64ElfPffEviT1_lS1_lT2_lT0_lPT3_i,comdat
.Lfunc_end74:
	.size	_ZL36rocblas_hemvn_kernel_upper_block_sumILi64ElfPffEviT1_lS1_lT2_lT0_lPT3_i, .Lfunc_end74-_ZL36rocblas_hemvn_kernel_upper_block_sumILi64ElfPffEviT1_lS1_lT2_lT0_lPT3_i
                                        ; -- End function
	.section	.AMDGPU.csdata,"",@progbits
; Kernel info:
; codeLenInByte = 620
; NumSgprs: 25
; NumVgprs: 7
; NumAgprs: 0
; TotalNumVgprs: 7
; ScratchSize: 0
; MemoryBound: 0
; FloatMode: 240
; IeeeMode: 1
; LDSByteSize: 0 bytes/workgroup (compile time only)
; SGPRBlocks: 3
; VGPRBlocks: 0
; NumSGPRsForWavesPerEU: 25
; NumVGPRsForWavesPerEU: 7
; AccumOffset: 8
; Occupancy: 8
; WaveLimiterHint : 0
; COMPUTE_PGM_RSRC2:SCRATCH_EN: 0
; COMPUTE_PGM_RSRC2:USER_SGPR: 6
; COMPUTE_PGM_RSRC2:TRAP_HANDLER: 0
; COMPUTE_PGM_RSRC2:TGID_X_EN: 1
; COMPUTE_PGM_RSRC2:TGID_Y_EN: 0
; COMPUTE_PGM_RSRC2:TGID_Z_EN: 1
; COMPUTE_PGM_RSRC2:TIDIG_COMP_CNT: 0
; COMPUTE_PGM_RSRC3_GFX90A:ACCUM_OFFSET: 1
; COMPUTE_PGM_RSRC3_GFX90A:TG_SPLIT: 0
	.section	.text._ZL26rocblas_hemvn_kernel_upperILb0ELi64ELi4ELi33ELi32ELi16EifPKfPfEviT6_lT7_lT5_lS4_lS5_lS3_lT8_i,"axG",@progbits,_ZL26rocblas_hemvn_kernel_upperILb0ELi64ELi4ELi33ELi32ELi16EifPKfPfEviT6_lT7_lT5_lS4_lS5_lS3_lT8_i,comdat
	.globl	_ZL26rocblas_hemvn_kernel_upperILb0ELi64ELi4ELi33ELi32ELi16EifPKfPfEviT6_lT7_lT5_lS4_lS5_lS3_lT8_i ; -- Begin function _ZL26rocblas_hemvn_kernel_upperILb0ELi64ELi4ELi33ELi32ELi16EifPKfPfEviT6_lT7_lT5_lS4_lS5_lS3_lT8_i
	.p2align	8
	.type	_ZL26rocblas_hemvn_kernel_upperILb0ELi64ELi4ELi33ELi32ELi16EifPKfPfEviT6_lT7_lT5_lS4_lS5_lS3_lT8_i,@function
_ZL26rocblas_hemvn_kernel_upperILb0ELi64ELi4ELi33ELi32ELi16EifPKfPfEviT6_lT7_lT5_lS4_lS5_lS3_lT8_i: ; @_ZL26rocblas_hemvn_kernel_upperILb0ELi64ELi4ELi33ELi32ELi16EifPKfPfEviT6_lT7_lT5_lS4_lS5_lS3_lT8_i
; %bb.0:
	s_load_dwordx2 s[2:3], s[4:5], 0x7c
	s_add_u32 s0, s4, 0x70
	s_addc_u32 s1, s5, 0
	s_waitcnt lgkmcnt(0)
	s_lshr_b32 s8, s2, 16
	s_and_b32 s2, s2, 0xffff
	s_and_b32 s3, s3, 0xffff
	s_mul_i32 s2, s8, s2
	s_mul_i32 s2, s2, s3
	s_cmpk_lg_i32 s2, 0x100
	s_cbranch_scc1 .LBB75_126
; %bb.1:
	s_load_dwordx2 s[26:27], s[4:5], 0x0
	s_load_dword s8, s[4:5], 0x50
	s_waitcnt lgkmcnt(0)
	v_cmp_eq_f32_e64 s[2:3], s27, 0
	v_cmp_eq_f32_e64 s[8:9], s8, 1.0
	s_and_b64 s[8:9], s[2:3], s[8:9]
	s_and_b64 vcc, exec, s[8:9]
	s_cbranch_vccnz .LBB75_126
; %bb.2:
	s_and_b64 vcc, exec, s[2:3]
	s_cbranch_vccnz .LBB75_126
; %bb.3:
	s_load_dwordx2 s[2:3], s[4:5], 0x48
	s_load_dword s40, s[4:5], 0x40
	s_load_dword s27, s[0:1], 0x0
	s_load_dwordx4 s[8:11], s[4:5], 0x28
	s_load_dwordx2 s[12:13], s[4:5], 0x38
	s_waitcnt lgkmcnt(0)
	s_mul_i32 s0, s7, s3
	s_mul_hi_u32 s1, s7, s2
	s_add_i32 s1, s1, s0
	s_mul_i32 s0, s7, s2
	s_lshl_b64 s[0:1], s[0:1], 2
	s_add_u32 s2, s10, s0
	s_addc_u32 s3, s11, s1
	s_lshl_b64 s[0:1], s[12:13], 2
	s_add_u32 s0, s2, s0
	s_addc_u32 s1, s3, s1
	v_and_b32_e32 v6, 0x3ff, v0
	s_lshl_b32 s22, s6, 6
	s_ashr_i32 s41, s26, 31
	s_lshr_b32 s3, s41, 26
	v_add_u32_e32 v4, s22, v6
	v_bfe_u32 v51, v0, 10, 10
	s_add_i32 s3, s26, s3
	v_mul_lo_u32 v0, v4, s40
	s_andn2_b32 s3, s3, 63
	v_ashrrev_i32_e32 v1, 31, v0
	s_add_i32 s2, s27, -1
	s_sub_i32 s33, s26, s3
	v_lshlrev_b64 v[0:1], 2, v[0:1]
	s_cmp_eq_u32 s6, s2
	v_mov_b32_e32 v2, s1
	v_add_co_u32_e32 v10, vcc, s0, v0
	s_cselect_b32 s18, s33, 0
	v_addc_co_u32_e32 v11, vcc, v2, v1, vcc
	v_cmp_eq_u32_e64 s[0:1], 0, v51
	s_and_saveexec_b64 s[2:3], s[0:1]
	s_cbranch_execz .LBB75_7
; %bb.4:
	s_cmp_eq_u32 s18, 0
	s_cselect_b64 s[10:11], -1, 0
	v_cmp_gt_i32_e32 vcc, s18, v6
	s_or_b64 s[12:13], s[10:11], vcc
	v_mov_b32_e32 v0, 0
	s_and_saveexec_b64 s[10:11], s[12:13]
	s_cbranch_execz .LBB75_6
; %bb.5:
	global_load_dword v0, v[10:11], off
.LBB75_6:
	s_or_b64 exec, exec, s[10:11]
	v_lshlrev_b32_e32 v1, 2, v6
	s_waitcnt vmcnt(0)
	ds_write_b32 v1, v0 offset:4544
.LBB75_7:
	s_or_b64 exec, exec, s[2:3]
	s_load_dwordx4 s[12:15], s[4:5], 0x10
	s_load_dword s24, s[4:5], 0x20
	s_mul_i32 s2, s7, s9
	s_mul_hi_u32 s3, s7, s8
	s_add_i32 s3, s3, s2
	s_mul_i32 s2, s7, s8
	s_lshl_b64 s[2:3], s[2:3], 2
	s_waitcnt lgkmcnt(0)
	s_add_u32 s8, s12, s2
	s_addc_u32 s9, s13, s3
	s_lshl_b64 s[2:3], s[14:15], 2
	s_add_u32 s8, s8, s2
	s_addc_u32 s9, s9, s3
	s_ashr_i32 s23, s22, 31
	v_lshl_add_u32 v54, v51, 6, v6
	s_lshl_b64 s[2:3], s[22:23], 2
	v_and_b32_e32 v0, 31, v6
	v_lshrrev_b32_e32 v1, 5, v54
	s_add_u32 s8, s8, s2
	s_addc_u32 s9, s9, s3
	v_mad_u64_u32 v[8:9], s[2:3], v1, s24, v[0:1]
	s_mul_i32 s2, s22, s24
	s_ashr_i32 s3, s2, 31
	s_lshl_b64 s[2:3], s[2:3], 2
	s_add_u32 s2, s2, s8
	v_ashrrev_i32_e32 v9, 31, v8
	s_addc_u32 s3, s3, s9
	v_lshlrev_b64 v[12:13], 2, v[8:9]
	s_cmp_eq_u32 s18, 0
	v_mov_b32_e32 v3, s3
	v_add_co_u32_e32 v2, vcc, s2, v12
	s_cselect_b64 s[20:21], -1, 0
	s_cmp_lg_u32 s18, 0
	v_addc_co_u32_e32 v3, vcc, v3, v13, vcc
	s_cselect_b64 s[34:35], -1, 0
	s_and_b64 vcc, exec, s[34:35]
	v_cmp_gt_i32_e64 s[2:3], s18, v0
	v_lshlrev_b32_e32 v5, 2, v0
	s_cbranch_vccz .LBB75_17
; %bb.8:
	v_sub_co_u32_e32 v7, vcc, v2, v5
	s_ashr_i32 s19, s18, 31
	v_subbrev_co_u32_e32 v9, vcc, 0, v3, vcc
	s_lshl_b64 s[8:9], s[18:19], 2
	v_mov_b32_e32 v14, s9
	v_add_co_u32_e32 v7, vcc, s8, v7
	v_addc_co_u32_e32 v9, vcc, v9, v14, vcc
	v_add_co_u32_e32 v7, vcc, -4, v7
	v_addc_co_u32_e32 v9, vcc, -1, v9, vcc
	v_cndmask_b32_e64 v15, v9, v3, s[2:3]
	v_cndmask_b32_e64 v14, v7, v2, s[2:3]
	v_cmp_gt_i32_e32 vcc, s18, v1
	v_mov_b32_e32 v9, 0
	v_mov_b32_e32 v16, 0
	s_and_saveexec_b64 s[10:11], vcc
	s_cbranch_execz .LBB75_10
; %bb.9:
	global_load_dword v16, v[14:15], off
.LBB75_10:
	s_or_b64 exec, exec, s[10:11]
	v_mul_u32_u24_e32 v7, 33, v1
	v_add_lshl_u32 v7, v7, v0, 2
	s_waitcnt vmcnt(0)
	ds_write_b32 v7, v16
	v_add_u32_e32 v16, 8, v1
	v_cmp_gt_i32_e32 vcc, s18, v16
	s_and_saveexec_b64 s[10:11], vcc
	s_cbranch_execz .LBB75_12
; %bb.11:
	s_lshl_b32 s12, s24, 3
	s_ashr_i32 s13, s12, 31
	s_lshl_b64 s[12:13], s[12:13], 2
	v_mov_b32_e32 v9, s13
	v_add_co_u32_e32 v16, vcc, s12, v14
	v_addc_co_u32_e32 v17, vcc, v15, v9, vcc
	global_load_dword v9, v[16:17], off
.LBB75_12:
	s_or_b64 exec, exec, s[10:11]
	s_waitcnt vmcnt(0)
	ds_write_b32 v7, v9 offset:1056
	v_add_u32_e32 v9, 16, v1
	v_cmp_gt_i32_e32 vcc, s18, v9
	v_mov_b32_e32 v9, 0
	v_mov_b32_e32 v16, 0
	s_and_saveexec_b64 s[10:11], vcc
	s_cbranch_execz .LBB75_14
; %bb.13:
	s_lshl_b32 s12, s24, 4
	s_ashr_i32 s13, s12, 31
	s_lshl_b64 s[12:13], s[12:13], 2
	v_mov_b32_e32 v17, s13
	v_add_co_u32_e32 v16, vcc, s12, v14
	v_addc_co_u32_e32 v17, vcc, v15, v17, vcc
	global_load_dword v16, v[16:17], off
.LBB75_14:
	s_or_b64 exec, exec, s[10:11]
	s_waitcnt vmcnt(0)
	ds_write_b32 v7, v16 offset:2112
	v_add_u32_e32 v16, 24, v1
	v_cmp_gt_i32_e32 vcc, s18, v16
	s_and_saveexec_b64 s[10:11], vcc
	s_cbranch_execz .LBB75_16
; %bb.15:
	s_mul_i32 s12, s24, 24
	s_ashr_i32 s13, s12, 31
	s_lshl_b64 s[12:13], s[12:13], 2
	v_mov_b32_e32 v9, s13
	v_add_co_u32_e32 v16, vcc, s12, v14
	v_addc_co_u32_e32 v17, vcc, v15, v9, vcc
	global_load_dword v9, v[16:17], off
.LBB75_16:
	s_or_b64 exec, exec, s[10:11]
	s_waitcnt vmcnt(0)
	ds_write_b32 v7, v9 offset:3168
	v_add_co_u32_e32 v7, vcc, v14, v5
	v_addc_co_u32_e32 v9, vcc, 0, v15, vcc
	v_mov_b32_e32 v14, s9
	v_subrev_co_u32_e32 v7, vcc, s8, v7
	v_subb_co_u32_e32 v9, vcc, v9, v14, vcc
	v_add_co_u32_e32 v7, vcc, 4, v7
	v_addc_co_u32_e32 v9, vcc, 0, v9, vcc
	v_cndmask_b32_e64 v15, v9, v3, s[2:3]
	v_cndmask_b32_e64 v14, v7, v2, s[2:3]
	v_mul_u32_u24_e32 v7, 33, v1
	s_branch .LBB75_19
.LBB75_17:
                                        ; implicit-def: $vgpr14_vgpr15
	v_mul_u32_u24_e32 v7, 33, v1
	s_cbranch_execz .LBB75_19
; %bb.18:
	s_lshl_b32 s2, s24, 3
	s_ashr_i32 s3, s2, 31
	s_lshl_b64 s[2:3], s[2:3], 2
	v_mov_b32_e32 v9, s3
	v_add_co_u32_e32 v14, vcc, s2, v2
	s_ashr_i32 s25, s24, 31
	v_addc_co_u32_e32 v15, vcc, v3, v9, vcc
	s_lshl_b64 s[2:3], s[24:25], 5
	global_load_dword v9, v[2:3], off
	global_load_dword v16, v[14:15], off
	v_mov_b32_e32 v17, s3
	v_add_co_u32_e32 v14, vcc, s2, v14
	v_addc_co_u32_e32 v15, vcc, v15, v17, vcc
	global_load_dword v18, v[14:15], off
	v_add_co_u32_e32 v14, vcc, s2, v14
	v_addc_co_u32_e32 v15, vcc, v15, v17, vcc
	global_load_dword v14, v[14:15], off
	v_add_lshl_u32 v15, v7, v0, 2
	s_waitcnt vmcnt(3)
	ds_write_b32 v15, v9
	s_waitcnt vmcnt(2)
	ds_write_b32 v15, v16 offset:1056
	s_waitcnt vmcnt(1)
	ds_write_b32 v15, v18 offset:2112
	;; [unrolled: 2-line block ×3, first 2 shown]
	v_pk_mov_b32 v[14:15], v[2:3], v[2:3] op_sel:[0,1]
.LBB75_19:
	v_lshlrev_b32_e32 v9, 2, v1
	v_mul_u32_u24_e32 v18, 33, v0
	v_cmp_gt_u32_e64 s[16:17], v9, v0
	v_add_lshl_u32 v24, v9, v18, 2
	s_waitcnt lgkmcnt(0)
	s_barrier
	s_and_saveexec_b64 s[2:3], s[16:17]
	s_cbranch_execz .LBB75_21
; %bb.20:
	v_mul_u32_u24_e32 v2, 0x84, v1
	v_add_lshl_u32 v2, v2, v0, 2
	ds_read_b32 v2, v2
	s_waitcnt lgkmcnt(0)
	ds_write_b32 v24, v2
.LBB75_21:
	s_or_b64 exec, exec, s[2:3]
	v_cmp_ge_u32_e64 s[8:9], v9, v0
	s_and_saveexec_b64 s[2:3], s[8:9]
	s_cbranch_execz .LBB75_23
; %bb.22:
	v_or_b32_e32 v2, 1, v9
	v_mul_u32_u24_e32 v2, 33, v2
	v_add_lshl_u32 v2, v2, v0, 2
	ds_read_b32 v2, v2
	s_waitcnt lgkmcnt(0)
	ds_write_b32 v24, v2 offset:4
.LBB75_23:
	s_or_b64 exec, exec, s[2:3]
	v_or_b32_e32 v2, 2, v9
	v_cmp_gt_u32_e64 s[10:11], v2, v0
	s_and_saveexec_b64 s[2:3], s[10:11]
	s_cbranch_execz .LBB75_25
; %bb.24:
	v_mul_u32_u24_e32 v2, 33, v2
	v_add_lshl_u32 v2, v2, v0, 2
	ds_read_b32 v2, v2
	s_waitcnt lgkmcnt(0)
	ds_write_b32 v24, v2 offset:8
.LBB75_25:
	s_or_b64 exec, exec, s[2:3]
	v_or_b32_e32 v2, 3, v9
	v_cmp_gt_u32_e64 s[12:13], v2, v0
	v_mad_u32_u24 v2, v2, 33, v0
	v_lshlrev_b32_e32 v21, 2, v2
	s_and_saveexec_b64 s[2:3], s[12:13]
	s_cbranch_execz .LBB75_27
; %bb.26:
	ds_read_b32 v2, v21
	s_waitcnt lgkmcnt(0)
	ds_write_b32 v24, v2 offset:12
.LBB75_27:
	s_or_b64 exec, exec, s[2:3]
	v_mul_u32_u24_e32 v2, 0x84, v1
	v_add_u32_e32 v23, 0xfffffef8, v21
	s_waitcnt lgkmcnt(0)
	s_barrier
	v_add_lshl_u32 v22, v2, v0, 2
	v_lshlrev_b32_e32 v25, 2, v9
	ds_read2_b32 v[2:3], v23 offset1:33
	ds_read_b32 v16, v22
	ds_read_b128 v[26:29], v25 offset:4544
	ds_read_b32 v31, v21
	v_add_lshl_u32 v20, v1, v18, 2
	s_waitcnt lgkmcnt(3)
	v_mov_b32_e32 v17, v2
	v_mov_b32_e32 v30, v3
	s_waitcnt lgkmcnt(1)
	v_pk_mul_f32 v[16:17], v[16:17], v[26:27]
	v_add_f32_e32 v2, 0, v16
	v_add_f32_e32 v16, v2, v17
	s_waitcnt lgkmcnt(0)
	v_pk_mul_f32 v[2:3], v[30:31], v[28:29]
	v_add_f32_e32 v2, v16, v2
	v_add_f32_e32 v2, v2, v3
	v_cmp_gt_u32_e64 s[2:3], 32, v54
	v_mov_b32_e32 v70, 0
	v_lshlrev_b32_e32 v19, 2, v18
	s_barrier
	ds_write_b32 v20, v2
	s_waitcnt lgkmcnt(0)
	s_barrier
	s_and_saveexec_b64 s[14:15], s[2:3]
	s_cbranch_execz .LBB75_29
; %bb.28:
	ds_read2_b32 v[2:3], v19 offset1:1
	ds_read2_b32 v[16:17], v19 offset0:2 offset1:3
	ds_read2_b32 v[26:27], v19 offset0:4 offset1:5
	;; [unrolled: 1-line block ×3, first 2 shown]
	s_waitcnt lgkmcnt(3)
	v_add_f32_e32 v2, v2, v3
	s_waitcnt lgkmcnt(2)
	v_add_f32_e32 v2, v2, v16
	v_add_f32_e32 v2, v2, v17
	s_waitcnt lgkmcnt(1)
	v_add_f32_e32 v2, v2, v26
	;; [unrolled: 3-line block ×3, first 2 shown]
	v_add_f32_e32 v70, v2, v29
.LBB75_29:
	s_or_b64 exec, exec, s[14:15]
	s_lshl_b32 s30, s24, 5
	s_ashr_i32 s31, s30, 31
	s_lshl_b64 s[28:29], s[30:31], 2
	v_mov_b32_e32 v2, s29
	v_add_co_u32_e32 v16, vcc, s28, v14
	v_addc_co_u32_e32 v17, vcc, v15, v2, vcc
	v_add_co_u32_e32 v14, vcc, 0x80, v16
	v_addc_co_u32_e32 v15, vcc, 0, v17, vcc
	s_and_b64 vcc, exec, s[34:35]
	s_barrier
	s_cbranch_vccz .LBB75_39
; %bb.30:
	v_sub_co_u32_e32 v3, vcc, v14, v5
	s_ashr_i32 s19, s18, 31
	v_subbrev_co_u32_e32 v26, vcc, 0, v15, vcc
	s_lshl_b64 s[36:37], s[18:19], 2
	v_mov_b32_e32 v27, s37
	v_add_co_u32_e32 v3, vcc, s36, v3
	v_addc_co_u32_e32 v26, vcc, v26, v27, vcc
	v_or_b32_e32 v2, 32, v0
	v_add_co_u32_e32 v27, vcc, 0xffffff7c, v3
	v_addc_co_u32_e32 v3, vcc, -1, v26, vcc
	v_cmp_gt_i32_e64 s[14:15], s18, v2
	s_sub_i32 s19, s18, 32
	v_cndmask_b32_e64 v3, v3, v15, s[14:15]
	v_cndmask_b32_e64 v2, v27, v14, s[14:15]
	v_cmp_gt_i32_e32 vcc, s19, v1
	v_mov_b32_e32 v27, 0
	v_mov_b32_e32 v28, 0
	s_and_saveexec_b64 s[38:39], vcc
	s_cbranch_execz .LBB75_32
; %bb.31:
	global_load_dword v28, v[2:3], off
.LBB75_32:
	s_or_b64 exec, exec, s[38:39]
	v_add_lshl_u32 v26, v7, v0, 2
	s_waitcnt vmcnt(0)
	ds_write_b32 v26, v28
	v_add_u32_e32 v28, 8, v1
	v_cmp_gt_i32_e32 vcc, s19, v28
	s_and_saveexec_b64 s[38:39], vcc
	s_cbranch_execz .LBB75_34
; %bb.33:
	s_lshl_b32 s42, s24, 3
	s_ashr_i32 s43, s42, 31
	s_lshl_b64 s[42:43], s[42:43], 2
	v_mov_b32_e32 v27, s43
	v_add_co_u32_e32 v28, vcc, s42, v2
	v_addc_co_u32_e32 v29, vcc, v3, v27, vcc
	global_load_dword v27, v[28:29], off
.LBB75_34:
	s_or_b64 exec, exec, s[38:39]
	s_waitcnt vmcnt(0)
	ds_write_b32 v26, v27 offset:1056
	v_add_u32_e32 v27, 16, v1
	v_cmp_gt_i32_e32 vcc, s19, v27
	v_mov_b32_e32 v27, 0
	v_mov_b32_e32 v28, 0
	s_and_saveexec_b64 s[38:39], vcc
	s_cbranch_execz .LBB75_36
; %bb.35:
	s_lshl_b32 s42, s24, 4
	s_ashr_i32 s43, s42, 31
	s_lshl_b64 s[42:43], s[42:43], 2
	v_mov_b32_e32 v29, s43
	v_add_co_u32_e32 v28, vcc, s42, v2
	v_addc_co_u32_e32 v29, vcc, v3, v29, vcc
	global_load_dword v28, v[28:29], off
.LBB75_36:
	s_or_b64 exec, exec, s[38:39]
	s_waitcnt vmcnt(0)
	ds_write_b32 v26, v28 offset:2112
	v_add_u32_e32 v28, 24, v1
	v_cmp_gt_i32_e32 vcc, s19, v28
	s_and_saveexec_b64 s[38:39], vcc
	s_cbranch_execz .LBB75_38
; %bb.37:
	s_mul_i32 s42, s24, 24
	s_ashr_i32 s43, s42, 31
	s_lshl_b64 s[42:43], s[42:43], 2
	v_mov_b32_e32 v27, s43
	v_add_co_u32_e32 v28, vcc, s42, v2
	v_addc_co_u32_e32 v29, vcc, v3, v27, vcc
	global_load_dword v27, v[28:29], off
.LBB75_38:
	s_or_b64 exec, exec, s[38:39]
	v_add_co_u32_e32 v2, vcc, v2, v5
	v_addc_co_u32_e32 v3, vcc, 0, v3, vcc
	s_waitcnt vmcnt(0)
	ds_write_b32 v26, v27 offset:3168
	v_mov_b32_e32 v26, s37
	v_subrev_co_u32_e32 v2, vcc, s36, v2
	v_subb_co_u32_e32 v3, vcc, v3, v26, vcc
	v_add_co_u32_e32 v2, vcc, 0x84, v2
	v_addc_co_u32_e32 v3, vcc, 0, v3, vcc
	v_cndmask_b32_e64 v3, v3, v15, s[14:15]
	v_cndmask_b32_e64 v2, v2, v14, s[14:15]
	s_branch .LBB75_41
.LBB75_39:
                                        ; implicit-def: $vgpr2_vgpr3
	s_cbranch_execz .LBB75_41
; %bb.40:
	s_lshl_b32 s14, s24, 3
	s_ashr_i32 s15, s14, 31
	s_lshl_b64 s[14:15], s[14:15], 2
	v_mov_b32_e32 v3, s15
	v_add_co_u32_e32 v2, vcc, s14, v16
	s_ashr_i32 s25, s24, 31
	v_addc_co_u32_e32 v3, vcc, v17, v3, vcc
	s_lshl_b64 s[14:15], s[24:25], 5
	v_mov_b32_e32 v29, s15
	v_add_co_u32_e32 v26, vcc, s14, v2
	v_addc_co_u32_e32 v27, vcc, v3, v29, vcc
	v_add_co_u32_e32 v28, vcc, s14, v26
	v_addc_co_u32_e32 v29, vcc, v27, v29, vcc
	global_load_dword v30, v[16:17], off offset:128
	global_load_dword v31, v[2:3], off offset:128
	;; [unrolled: 1-line block ×4, first 2 shown]
	v_add_lshl_u32 v2, v7, v0, 2
	s_waitcnt vmcnt(3)
	ds_write_b32 v2, v30
	s_waitcnt vmcnt(2)
	ds_write_b32 v2, v31 offset:1056
	s_waitcnt vmcnt(1)
	ds_write_b32 v2, v32 offset:2112
	;; [unrolled: 2-line block ×3, first 2 shown]
	v_pk_mov_b32 v[2:3], v[14:15], v[14:15] op_sel:[0,1]
.LBB75_41:
	s_waitcnt lgkmcnt(0)
	s_barrier
	s_and_saveexec_b64 s[14:15], s[16:17]
	s_cbranch_execnz .LBB75_58
; %bb.42:
	s_or_b64 exec, exec, s[14:15]
	s_and_saveexec_b64 s[14:15], s[8:9]
	s_cbranch_execnz .LBB75_59
.LBB75_43:
	s_or_b64 exec, exec, s[14:15]
	s_and_saveexec_b64 s[8:9], s[10:11]
	s_cbranch_execnz .LBB75_60
.LBB75_44:
	s_or_b64 exec, exec, s[8:9]
	v_add_u32_e32 v25, 0x11c0, v25
	s_and_saveexec_b64 s[8:9], s[12:13]
	s_cbranch_execz .LBB75_46
.LBB75_45:
	ds_read_b32 v14, v21
	s_waitcnt lgkmcnt(0)
	ds_write_b32 v24, v14 offset:12
.LBB75_46:
	s_or_b64 exec, exec, s[8:9]
	s_waitcnt lgkmcnt(0)
	s_barrier
	ds_read_b32 v24, v22
	ds_read_b128 v[14:17], v25 offset:128
	ds_read2_b32 v[26:27], v23 offset1:33
	ds_read_b32 v28, v21
	v_cmp_eq_u32_e64 s[8:9], 1, v1
	s_waitcnt lgkmcnt(0)
	v_fma_f32 v14, v24, v14, 0
	v_fmac_f32_e32 v14, v26, v15
	v_fmac_f32_e32 v14, v27, v16
	;; [unrolled: 1-line block ×3, first 2 shown]
	s_barrier
	ds_write_b32 v20, v14
	s_waitcnt lgkmcnt(0)
	s_barrier
	s_and_saveexec_b64 s[10:11], s[8:9]
	s_cbranch_execz .LBB75_48
; %bb.47:
	ds_read2_b32 v[14:15], v19 offset1:1
	ds_read2_b32 v[16:17], v19 offset0:2 offset1:3
	ds_read2_b32 v[26:27], v19 offset0:4 offset1:5
	;; [unrolled: 1-line block ×3, first 2 shown]
	s_waitcnt lgkmcnt(3)
	v_add_f32_e32 v14, v14, v15
	s_waitcnt lgkmcnt(2)
	v_add_f32_e32 v14, v14, v16
	v_add_f32_e32 v14, v14, v17
	s_waitcnt lgkmcnt(1)
	v_add_f32_e32 v14, v14, v26
	;; [unrolled: 3-line block ×3, first 2 shown]
	v_add_f32_e32 v70, v14, v29
.LBB75_48:
	s_or_b64 exec, exec, s[10:11]
	v_add_co_u32_e32 v14, vcc, 0xffffff80, v2
	v_addc_co_u32_e32 v15, vcc, -1, v3, vcc
	s_and_b64 vcc, exec, s[34:35]
	s_barrier
	s_cbranch_vccz .LBB75_61
; %bb.49:
	v_sub_co_u32_e32 v16, vcc, v2, v5
	s_ashr_i32 s19, s18, 31
	v_subbrev_co_u32_e32 v17, vcc, 0, v3, vcc
	s_lshl_b64 s[12:13], s[18:19], 2
	v_mov_b32_e32 v24, s13
	v_add_co_u32_e32 v16, vcc, s12, v16
	v_addc_co_u32_e32 v17, vcc, v17, v24, vcc
	v_add_co_u32_e32 v16, vcc, 0xffffff7c, v16
	v_addc_co_u32_e32 v17, vcc, -1, v17, vcc
	v_cmp_gt_i32_e32 vcc, s18, v0
	s_sub_i32 s16, s18, 32
	v_cndmask_b32_e32 v17, v17, v15, vcc
	v_cndmask_b32_e32 v16, v16, v14, vcc
	v_cmp_gt_i32_e64 s[10:11], s16, v1
	v_mov_b32_e32 v26, 0
	v_mov_b32_e32 v24, 0
	s_and_saveexec_b64 s[14:15], s[10:11]
	s_cbranch_execz .LBB75_51
; %bb.50:
	global_load_dword v24, v[16:17], off
.LBB75_51:
	s_or_b64 exec, exec, s[14:15]
	v_add_lshl_u32 v28, v7, v0, 2
	s_waitcnt vmcnt(0)
	ds_write_b32 v28, v24
	v_add_u32_e32 v24, 8, v1
	v_cmp_gt_i32_e64 s[10:11], s16, v24
	s_and_saveexec_b64 s[14:15], s[10:11]
	s_cbranch_execz .LBB75_53
; %bb.52:
	s_lshl_b32 s10, s24, 3
	s_ashr_i32 s11, s10, 31
	s_lshl_b64 s[10:11], s[10:11], 2
	v_mov_b32_e32 v27, s11
	v_add_co_u32_e64 v26, s[10:11], s10, v16
	v_addc_co_u32_e64 v27, s[10:11], v17, v27, s[10:11]
	global_load_dword v26, v[26:27], off
.LBB75_53:
	s_or_b64 exec, exec, s[14:15]
	s_waitcnt vmcnt(0)
	ds_write_b32 v28, v26 offset:1056
	v_add_u32_e32 v26, 16, v1
	v_cmp_gt_i32_e64 s[10:11], s16, v26
	v_mov_b32_e32 v29, 0
	v_mov_b32_e32 v27, 0
	s_and_saveexec_b64 s[14:15], s[10:11]
	s_cbranch_execz .LBB75_55
; %bb.54:
	s_lshl_b32 s10, s24, 4
	s_ashr_i32 s11, s10, 31
	s_lshl_b64 s[10:11], s[10:11], 2
	v_mov_b32_e32 v27, s11
	v_add_co_u32_e64 v30, s[10:11], s10, v16
	v_addc_co_u32_e64 v31, s[10:11], v17, v27, s[10:11]
	global_load_dword v27, v[30:31], off
.LBB75_55:
	s_or_b64 exec, exec, s[14:15]
	s_waitcnt vmcnt(0)
	ds_write_b32 v28, v27 offset:2112
	v_add_u32_e32 v27, 24, v1
	v_cmp_gt_i32_e64 s[10:11], s16, v27
	s_and_saveexec_b64 s[14:15], s[10:11]
	s_cbranch_execz .LBB75_57
; %bb.56:
	s_mul_i32 s10, s24, 24
	s_ashr_i32 s11, s10, 31
	s_lshl_b64 s[10:11], s[10:11], 2
	v_mov_b32_e32 v29, s11
	v_add_co_u32_e64 v30, s[10:11], s10, v16
	v_addc_co_u32_e64 v31, s[10:11], v17, v29, s[10:11]
	global_load_dword v29, v[30:31], off
.LBB75_57:
	s_or_b64 exec, exec, s[14:15]
	v_add_co_u32_e64 v5, s[10:11], v16, v5
	v_addc_co_u32_e64 v16, s[10:11], 0, v17, s[10:11]
	v_mov_b32_e32 v17, s13
	v_subrev_co_u32_e64 v5, s[10:11], s12, v5
	v_subb_co_u32_e64 v16, s[10:11], v16, v17, s[10:11]
	v_add_co_u32_e64 v5, s[10:11], 4, v5
	v_addc_co_u32_e64 v16, s[10:11], 0, v16, s[10:11]
	s_waitcnt vmcnt(0)
	ds_write_b32 v28, v29 offset:3168
	v_cndmask_b32_e32 v53, v16, v15, vcc
	v_cndmask_b32_e32 v52, v5, v14, vcc
	s_branch .LBB75_63
.LBB75_58:
	ds_read_b32 v14, v22
	s_waitcnt lgkmcnt(0)
	ds_write_b32 v24, v14
	s_or_b64 exec, exec, s[14:15]
	s_and_saveexec_b64 s[14:15], s[8:9]
	s_cbranch_execz .LBB75_43
.LBB75_59:
	ds_read_b32 v14, v23
	s_waitcnt lgkmcnt(0)
	ds_write_b32 v24, v14 offset:4
	s_or_b64 exec, exec, s[14:15]
	s_and_saveexec_b64 s[8:9], s[10:11]
	s_cbranch_execz .LBB75_44
.LBB75_60:
	ds_read_b32 v14, v23 offset:132
	s_waitcnt lgkmcnt(0)
	ds_write_b32 v24, v14 offset:8
	s_or_b64 exec, exec, s[8:9]
	v_add_u32_e32 v25, 0x11c0, v25
	s_and_saveexec_b64 s[8:9], s[12:13]
	s_cbranch_execnz .LBB75_45
	s_branch .LBB75_46
.LBB75_61:
                                        ; implicit-def: $vgpr52_vgpr53
                                        ; implicit-def: $vgpr24
                                        ; implicit-def: $vgpr26
                                        ; implicit-def: $vgpr27
	s_cbranch_execz .LBB75_63
; %bb.62:
	s_lshl_b32 s10, s24, 3
	s_ashr_i32 s11, s10, 31
	s_lshl_b64 s[10:11], s[10:11], 2
	global_load_dword v5, v[2:3], off offset:-128
	v_mov_b32_e32 v16, s11
	v_add_co_u32_e32 v2, vcc, s10, v2
	s_ashr_i32 s25, s24, 31
	v_addc_co_u32_e32 v3, vcc, v3, v16, vcc
	s_lshl_b64 s[10:11], s[24:25], 5
	v_mov_b32_e32 v24, s11
	v_add_co_u32_e32 v16, vcc, s10, v2
	v_addc_co_u32_e32 v17, vcc, v3, v24, vcc
	global_load_dword v28, v[2:3], off offset:-128
	global_load_dword v29, v[16:17], off offset:-128
	v_add_co_u32_e32 v2, vcc, s10, v16
	v_addc_co_u32_e32 v3, vcc, v17, v24, vcc
	global_load_dword v2, v[2:3], off offset:-128
	v_add_lshl_u32 v0, v7, v0, 2
	v_add_u32_e32 v24, 8, v1
	v_add_u32_e32 v26, 16, v1
	;; [unrolled: 1-line block ×3, first 2 shown]
	v_pk_mov_b32 v[52:53], v[14:15], v[14:15] op_sel:[0,1]
	s_waitcnt vmcnt(3)
	ds_write_b32 v0, v5
	s_waitcnt vmcnt(2)
	ds_write_b32 v0, v28 offset:1056
	s_waitcnt vmcnt(1)
	ds_write_b32 v0, v29 offset:2112
	;; [unrolled: 2-line block ×3, first 2 shown]
.LBB75_63:
	v_add_lshl_u32 v7, v24, v18, 2
	v_lshlrev_b32_e32 v16, 2, v24
	v_add_lshl_u32 v17, v26, v18, 2
	v_lshlrev_b32_e32 v24, 2, v26
	v_add_lshl_u32 v18, v27, v18, 2
	s_waitcnt lgkmcnt(0)
	s_barrier
	v_lshlrev_b32_e32 v26, 2, v27
	ds_read_b32 v9, v9 offset:4544
	ds_read_b32 v5, v22
	ds_read_b32 v22, v20
	ds_read_b128 v[0:3], v25 offset:128
	ds_read2_b32 v[14:15], v23 offset1:33
	ds_read_b32 v23, v7
	ds_read_b32 v16, v16 offset:4544
	ds_read_b32 v17, v17
	ds_read_b32 v24, v24 offset:4544
	;; [unrolled: 2-line block ×3, first 2 shown]
	ds_read_b32 v7, v21
	s_waitcnt lgkmcnt(9)
	v_fma_f32 v9, v22, v9, 0
	s_waitcnt lgkmcnt(5)
	v_fmac_f32_e32 v9, v23, v16
	s_waitcnt lgkmcnt(3)
	v_fmac_f32_e32 v9, v17, v24
	;; [unrolled: 2-line block ×3, first 2 shown]
	s_waitcnt lgkmcnt(0)
	s_barrier
	ds_write_b32 v20, v9
	s_waitcnt lgkmcnt(0)
	s_barrier
	s_and_saveexec_b64 s[10:11], s[8:9]
	s_cbranch_execz .LBB75_65
; %bb.64:
	ds_read2_b32 v[16:17], v19 offset1:1
	ds_read2_b32 v[22:23], v19 offset0:2 offset1:3
	ds_read2_b32 v[24:25], v19 offset0:4 offset1:5
	ds_read2_b32 v[26:27], v19 offset0:6 offset1:7
	s_waitcnt lgkmcnt(3)
	v_add_f32_e32 v9, v70, v16
	v_add_f32_e32 v9, v9, v17
	s_waitcnt lgkmcnt(2)
	v_add_f32_e32 v9, v9, v22
	v_add_f32_e32 v9, v9, v23
	;; [unrolled: 3-line block ×4, first 2 shown]
.LBB75_65:
	s_or_b64 exec, exec, s[10:11]
	v_fma_f32 v0, v5, v0, 0
	v_fmac_f32_e32 v0, v14, v1
	v_fmac_f32_e32 v0, v15, v2
	v_fmac_f32_e32 v0, v7, v3
	s_barrier
	ds_write_b32 v20, v0
	s_waitcnt lgkmcnt(0)
	s_barrier
	s_and_saveexec_b64 s[8:9], s[2:3]
	s_cbranch_execz .LBB75_67
; %bb.66:
	ds_read2_b32 v[0:1], v19 offset1:1
	ds_read2_b32 v[2:3], v19 offset0:2 offset1:3
	ds_read2_b32 v[14:15], v19 offset0:4 offset1:5
	;; [unrolled: 1-line block ×3, first 2 shown]
	s_waitcnt lgkmcnt(3)
	v_add_f32_e32 v0, v70, v0
	v_add_f32_e32 v0, v0, v1
	s_waitcnt lgkmcnt(2)
	v_add_f32_e32 v0, v0, v2
	v_add_f32_e32 v0, v0, v3
	s_waitcnt lgkmcnt(1)
	v_add_f32_e32 v0, v0, v14
	v_add_f32_e32 v0, v0, v15
	s_waitcnt lgkmcnt(0)
	v_add_f32_e32 v0, v0, v16
	v_add_f32_e32 v70, v0, v17
.LBB75_67:
	s_or_b64 exec, exec, s[8:9]
	s_load_dwordx2 s[2:3], s[4:5], 0x60
	s_mul_hi_u32 s4, s26, s7
	s_mul_i32 s41, s41, s7
	s_add_i32 s4, s4, s41
	s_mul_i32 s7, s26, s7
	s_mul_i32 s4, s4, s27
	s_mul_hi_u32 s5, s7, s27
	s_add_i32 s5, s5, s4
	s_mul_i32 s4, s7, s27
	s_lshl_b64 s[4:5], s[4:5], 2
	s_waitcnt lgkmcnt(0)
	s_add_u32 s4, s2, s4
	s_addc_u32 s5, s3, s5
	s_mul_hi_i32 s3, s26, s6
	s_mul_i32 s2, s26, s6
	s_lshl_b64 s[2:3], s[2:3], 2
	s_add_u32 s7, s4, s2
	s_addc_u32 s19, s5, s3
	s_add_i32 s4, s6, 1
	s_cmp_ge_u32 s4, s27
	v_lshlrev_b32_e32 v71, 2, v6
	s_barrier
	s_cbranch_scc1 .LBB75_124
; %bb.68:
	s_mul_i32 s2, s22, s40
	s_ashr_i32 s3, s2, 31
	v_lshlrev_b32_e32 v72, 2, v51
	s_lshl_b64 s[2:3], s[2:3], 2
	v_mov_b32_e32 v0, s3
	v_subrev_co_u32_e32 v73, vcc, s2, v10
	v_mad_u64_u32 v[18:19], s[2:3], v72, s24, v[6:7]
	v_ashrrev_i32_e32 v19, 31, v18
	v_subb_co_u32_e32 v74, vcc, v11, v0, vcc
	s_lshl_b32 s2, s24, 4
	v_lshlrev_b64 v[2:3], 2, v[18:19]
	v_mov_b32_e32 v1, s29
	v_add_co_u32_e32 v0, vcc, s28, v52
	s_lshl_b32 s26, s40, 6
	s_ashr_i32 s3, s2, 31
	s_ashr_i32 s25, s24, 31
	s_lshl_b32 s14, s24, 1
	s_mul_i32 s16, s24, 3
	s_mul_i32 s40, s40, s4
	v_mad_i64_i32 v[2:3], s[4:5], v8, -4, v[2:3]
	v_addc_co_u32_e32 v1, vcc, v53, v1, vcc
	s_add_i32 s23, s27, -2
	s_ashr_i32 s15, s14, 31
	s_ashr_i32 s17, s16, 31
	s_lshl_b64 s[8:9], s[24:25], 2
	s_lshl_b32 s10, s40, 6
	s_lshl_b64 s[12:13], s[2:3], 4
	s_lshl_b64 s[4:5], s[24:25], 3
	v_sub_co_u32_e32 v75, vcc, 0, v12
	s_add_u32 s11, s4, s28
	v_subb_co_u32_e32 v76, vcc, 0, v13, vcc
	s_addc_u32 s36, s5, s29
	v_mov_b32_e32 v5, s36
	v_add_co_u32_e32 v8, vcc, s11, v52
	v_addc_co_u32_e32 v5, vcc, v53, v5, vcc
	v_mov_b32_e32 v7, s31
	v_add_co_u32_e32 v10, vcc, s30, v18
	v_addc_co_u32_e32 v11, vcc, v7, v19, vcc
	v_lshlrev_b64 v[22:23], 2, v[10:11]
	v_mad_i64_i32 v[10:11], s[34:35], s24, 12, v[22:23]
	v_add_co_u32_e32 v10, vcc, v52, v10
	s_add_u32 s39, s8, s28
	v_addc_co_u32_e32 v7, vcc, v53, v11, vcc
	s_addc_u32 s40, s9, s29
	s_lshl_b64 s[14:15], s[14:15], 2
	v_mov_b32_e32 v9, s40
	v_add_co_u32_e32 v12, vcc, s39, v52
	s_add_u32 s34, s28, s14
	v_addc_co_u32_e32 v9, vcc, v53, v9, vcc
	s_addc_u32 s35, s29, s15
	s_lshl_b64 s[16:17], s[16:17], 2
	v_mov_b32_e32 v11, s35
	v_add_co_u32_e32 v14, vcc, s34, v52
	s_add_u32 s34, s28, s16
	v_addc_co_u32_e32 v11, vcc, v53, v11, vcc
	s_addc_u32 s35, s29, s17
	v_mov_b32_e32 v13, s35
	v_add_co_u32_e32 v16, vcc, s34, v52
	s_lshl_b64 s[34:35], s[2:3], 2
	s_add_u32 s41, s28, s34
	s_addc_u32 s42, s29, s35
	s_add_u32 s39, s39, s34
	s_addc_u32 s40, s40, s35
	;; [unrolled: 2-line block ×5, first 2 shown]
	s_add_u32 s30, s30, s2
	v_addc_co_u32_e32 v13, vcc, v53, v13, vcc
	s_addc_u32 s31, s31, s3
	v_mov_b32_e32 v15, s31
	v_add_co_u32_e32 v18, vcc, s30, v18
	v_addc_co_u32_e32 v19, vcc, v15, v19, vcc
	v_lshlrev_b64 v[18:19], 2, v[18:19]
	v_mad_i64_i32 v[18:19], s[30:31], s24, 12, v[18:19]
	s_lshl_b64 s[30:31], s[2:3], 3
	s_add_u32 s47, s30, s28
	s_addc_u32 s48, s31, s29
	s_add_u32 s49, s47, s8
	s_addc_u32 s50, s48, s9
	;; [unrolled: 2-line block ×4, first 2 shown]
	s_add_u32 s11, s11, s30
	s_mul_i32 s38, s24, 12
	s_addc_u32 s36, s36, s31
	s_mul_hi_i32 s37, s24, 12
	v_add_co_u32_e32 v18, vcc, v52, v18
	s_add_u32 s28, s38, s30
	v_addc_co_u32_e32 v15, vcc, v53, v19, vcc
	s_addc_u32 s29, s37, s31
	v_mov_b32_e32 v17, s29
	v_add_co_u32_e32 v41, vcc, s28, v22
	v_addc_co_u32_e32 v43, vcc, v17, v23, vcc
	v_mad_i64_i32 v[24:25], s[28:29], s2, 12, v[22:23]
	v_add_co_u32_e32 v20, vcc, v52, v24
	v_addc_co_u32_e32 v17, vcc, v53, v25, vcc
	v_mov_b32_e32 v19, s9
	v_add_co_u32_e32 v45, vcc, s8, v24
	v_addc_co_u32_e32 v47, vcc, v25, v19, vcc
	v_mov_b32_e32 v19, s15
	v_add_co_u32_e32 v48, vcc, s14, v24
	s_mul_i32 s30, s24, 0xc0
	v_addc_co_u32_e32 v49, vcc, v25, v19, vcc
	s_mul_hi_i32 s31, s2, 12
	v_mov_b32_e32 v19, s17
	v_add_co_u32_e32 v50, vcc, s16, v24
	s_add_u32 s4, s30, s4
	v_addc_co_u32_e32 v55, vcc, v25, v19, vcc
	s_addc_u32 s5, s31, s5
	v_mov_b32_e32 v19, s5
	v_add_co_u32_e32 v56, vcc, s4, v22
	s_add_u32 s2, s24, s2
	v_addc_co_u32_e32 v57, vcc, v19, v23, vcc
	s_addc_u32 s4, s25, s3
	v_mad_u64_u32 v[22:23], s[2:3], s2, 12, v[22:23]
	v_mov_b32_e32 v24, v23
	v_mad_u64_u32 v[24:25], s[2:3], s4, 12, v[24:25]
	v_mov_b32_e32 v19, v24
	v_add_co_u32_e32 v22, vcc, v52, v22
	v_addc_co_u32_e32 v19, vcc, v53, v19, vcc
	v_mov_b32_e32 v21, s42
	v_add_co_u32_e32 v24, vcc, s41, v52
	v_addc_co_u32_e32 v21, vcc, v53, v21, vcc
	;; [unrolled: 3-line block ×11, first 2 shown]
	v_add_co_u32_e32 v44, vcc, v52, v41
	v_addc_co_u32_e32 v41, vcc, v53, v43, vcc
	v_add_co_u32_e32 v46, vcc, v52, v45
	v_addc_co_u32_e32 v43, vcc, v53, v47, vcc
	;; [unrolled: 2-line block ×5, first 2 shown]
	s_movk_i32 s4, 0x10c
	v_and_b32_e32 v55, 15, v6
	v_or_b32_e32 v57, 60, v71
	v_cmp_gt_u32_e64 s[2:3], 64, v54
	v_and_b32_e32 v56, 48, v6
	v_mad_u32_u24 v77, v55, s4, v57
	v_lshrrev_b32_e32 v57, 4, v54
	v_and_b32_e32 v54, 0x1fff0, v54
	v_lshlrev_b32_e32 v53, 2, v56
	v_mad_u32_u24 v78, v55, s4, v54
	v_mov_b32_e32 v54, 0x10c0
	v_mad_u32_u24 v53, v55, s4, v53
	v_lshl_add_u32 v79, v51, 4, v54
	s_movk_i32 s4, 0x430
	v_mul_i32_i24_e32 v57, -12, v57
	v_add_u32_e32 v54, s22, v56
	v_add3_u32 v54, v54, v55, 64
	v_add_u32_e32 v80, v78, v57
	v_add_u32_e32 v81, 0x10c0, v71
	;; [unrolled: 1-line block ×3, first 2 shown]
	v_or_b32_e32 v83, 1, v72
	v_or_b32_e32 v84, 2, v72
	;; [unrolled: 1-line block ×3, first 2 shown]
	v_mad_u32_u24 v86, v51, s4, v71
	v_add_u32_e32 v87, 16, v72
	v_add_u32_e32 v88, 17, v72
	;; [unrolled: 1-line block ×12, first 2 shown]
	s_cmp_eq_u32 s23, s6
	s_cselect_b32 s16, s33, 0
	s_and_saveexec_b64 s[4:5], s[0:1]
	s_cbranch_execz .LBB75_72
.LBB75_69:
	s_cmp_eq_u32 s16, 0
	s_cselect_b64 s[8:9], -1, 0
	v_cmp_gt_i32_e32 vcc, s16, v6
	s_or_b64 s[14:15], s[8:9], vcc
	v_mov_b32_e32 v55, 0
	s_and_saveexec_b64 s[8:9], s[14:15]
	s_cbranch_execz .LBB75_71
; %bb.70:
	s_ashr_i32 s11, s10, 31
	s_lshl_b64 s[14:15], s[10:11], 2
	v_mov_b32_e32 v55, s15
	v_add_co_u32_e32 v56, vcc, s14, v73
	v_addc_co_u32_e32 v57, vcc, v74, v55, vcc
	global_load_dword v55, v[56:57], off
.LBB75_71:
	s_or_b64 exec, exec, s[8:9]
	s_waitcnt vmcnt(0)
	ds_write_b32 v81, v55
.LBB75_72:                              ; =>This Inner Loop Header: Depth=1
	s_or_b64 exec, exec, s[4:5]
	s_cmp_eq_u32 s16, 0
	v_add_co_u32_e32 v56, vcc, v0, v2
	s_cselect_b64 s[14:15], -1, 0
	s_cmp_lg_u32 s16, 0
	v_addc_co_u32_e32 v57, vcc, v1, v3, vcc
	s_cselect_b64 s[8:9], -1, 0
	s_and_b64 vcc, exec, s[8:9]
	s_waitcnt lgkmcnt(0)
	s_barrier
	s_cbranch_vccz .LBB75_120
; %bb.73:                               ;   in Loop: Header=BB75_72 Depth=1
	v_cmp_gt_i32_e32 vcc, s16, v72
	v_mov_b32_e32 v100, 0
	v_mov_b32_e32 v99, 0
	s_and_saveexec_b64 s[4:5], vcc
	s_cbranch_execz .LBB75_75
; %bb.74:                               ;   in Loop: Header=BB75_72 Depth=1
	global_load_dword v99, v[56:57], off
.LBB75_75:                              ;   in Loop: Header=BB75_72 Depth=1
	s_or_b64 exec, exec, s[4:5]
	v_cmp_gt_i32_e32 vcc, s16, v83
	s_and_saveexec_b64 s[4:5], vcc
	s_cbranch_execz .LBB75_77
; %bb.76:                               ;   in Loop: Header=BB75_72 Depth=1
	v_add_co_u32_e32 v58, vcc, v12, v2
	v_addc_co_u32_e32 v59, vcc, v9, v3, vcc
	global_load_dword v100, v[58:59], off
.LBB75_77:                              ;   in Loop: Header=BB75_72 Depth=1
	s_or_b64 exec, exec, s[4:5]
	v_cmp_gt_i32_e32 vcc, s16, v84
	v_mov_b32_e32 v102, 0
	v_mov_b32_e32 v101, 0
	s_and_saveexec_b64 s[4:5], vcc
	s_cbranch_execz .LBB75_79
; %bb.78:                               ;   in Loop: Header=BB75_72 Depth=1
	v_add_co_u32_e32 v58, vcc, v14, v2
	v_addc_co_u32_e32 v59, vcc, v11, v3, vcc
	global_load_dword v101, v[58:59], off
.LBB75_79:                              ;   in Loop: Header=BB75_72 Depth=1
	s_or_b64 exec, exec, s[4:5]
	v_cmp_gt_i32_e32 vcc, s16, v85
	s_and_saveexec_b64 s[4:5], vcc
	s_cbranch_execz .LBB75_81
; %bb.80:                               ;   in Loop: Header=BB75_72 Depth=1
	v_add_co_u32_e32 v58, vcc, v16, v2
	v_addc_co_u32_e32 v59, vcc, v13, v3, vcc
	global_load_dword v102, v[58:59], off
.LBB75_81:                              ;   in Loop: Header=BB75_72 Depth=1
	s_or_b64 exec, exec, s[4:5]
	s_branch .LBB75_83
.LBB75_82:                              ;   in Loop: Header=BB75_72 Depth=1
	global_load_dword v99, v[56:57], off
	v_add_co_u32_e32 v56, vcc, v12, v2
	v_addc_co_u32_e32 v57, vcc, v9, v3, vcc
	global_load_dword v100, v[56:57], off
	v_add_co_u32_e32 v56, vcc, v8, v2
	v_addc_co_u32_e32 v57, vcc, v5, v3, vcc
	;; [unrolled: 3-line block ×3, first 2 shown]
	global_load_dword v102, v[56:57], off
.LBB75_83:                              ;   in Loop: Header=BB75_72 Depth=1
	ds_read_b32 v55, v82
	ds_read_b32 v103, v79
	s_andn2_b64 vcc, exec, s[8:9]
	s_waitcnt vmcnt(0) lgkmcnt(1)
	v_mul_f32_e32 v56, v99, v55
	v_mul_f32_e32 v57, v100, v55
	ds_write_b32 v86, v56
	v_mul_f32_e32 v58, v101, v55
	ds_read_b32 v104, v79 offset:4
	ds_write_b32 v86, v57 offset:268
	ds_read_b32 v105, v79 offset:8
	ds_write_b32 v86, v58 offset:536
	v_mul_f32_e32 v55, v102, v55
	ds_read_b32 v106, v79 offset:12
	ds_write_b32 v86, v55 offset:804
	s_waitcnt lgkmcnt(0)
	s_barrier
	ds_read2_b32 v[58:59], v78 offset1:1
	ds_read2_b32 v[56:57], v78 offset0:2 offset1:3
	v_cndmask_b32_e64 v55, 0, 1, s[8:9]
	v_add_co_u32_e64 v60, s[8:9], v24, v2
	v_cmp_ne_u32_e64 s[4:5], 1, v55
	v_addc_co_u32_e64 v61, s[8:9], v21, v3, s[8:9]
	s_waitcnt lgkmcnt(0)
	s_barrier
	s_cbranch_vccnz .LBB75_121
; %bb.84:                               ;   in Loop: Header=BB75_72 Depth=1
	v_cmp_gt_i32_e32 vcc, s16, v87
	v_mov_b32_e32 v108, 0
	v_mov_b32_e32 v107, 0
	s_and_saveexec_b64 s[8:9], vcc
	s_cbranch_execz .LBB75_86
; %bb.85:                               ;   in Loop: Header=BB75_72 Depth=1
	global_load_dword v107, v[60:61], off
.LBB75_86:                              ;   in Loop: Header=BB75_72 Depth=1
	s_or_b64 exec, exec, s[8:9]
	v_cmp_gt_i32_e32 vcc, s16, v88
	s_and_saveexec_b64 s[8:9], vcc
	s_cbranch_execz .LBB75_88
; %bb.87:                               ;   in Loop: Header=BB75_72 Depth=1
	v_add_co_u32_e32 v62, vcc, v26, v2
	v_addc_co_u32_e32 v63, vcc, v23, v3, vcc
	global_load_dword v108, v[62:63], off
.LBB75_88:                              ;   in Loop: Header=BB75_72 Depth=1
	s_or_b64 exec, exec, s[8:9]
	v_cmp_gt_i32_e32 vcc, s16, v89
	v_mov_b32_e32 v110, 0
	v_mov_b32_e32 v109, 0
	s_and_saveexec_b64 s[8:9], vcc
	s_cbranch_execz .LBB75_90
; %bb.89:                               ;   in Loop: Header=BB75_72 Depth=1
	v_add_co_u32_e32 v62, vcc, v28, v2
	v_addc_co_u32_e32 v63, vcc, v25, v3, vcc
	global_load_dword v109, v[62:63], off
.LBB75_90:                              ;   in Loop: Header=BB75_72 Depth=1
	s_or_b64 exec, exec, s[8:9]
	v_cmp_gt_i32_e32 vcc, s16, v90
	s_and_saveexec_b64 s[8:9], vcc
	s_cbranch_execz .LBB75_92
; %bb.91:                               ;   in Loop: Header=BB75_72 Depth=1
	v_add_co_u32_e32 v62, vcc, v30, v2
	v_addc_co_u32_e32 v63, vcc, v27, v3, vcc
	global_load_dword v110, v[62:63], off
.LBB75_92:                              ;   in Loop: Header=BB75_72 Depth=1
	s_or_b64 exec, exec, s[8:9]
	s_branch .LBB75_94
.LBB75_93:                              ;   in Loop: Header=BB75_72 Depth=1
	global_load_dword v107, v[60:61], off
	v_add_co_u32_e32 v60, vcc, v26, v2
	v_addc_co_u32_e32 v61, vcc, v23, v3, vcc
	global_load_dword v108, v[60:61], off
	v_add_co_u32_e32 v60, vcc, v32, v2
	v_addc_co_u32_e32 v61, vcc, v29, v3, vcc
	;; [unrolled: 3-line block ×3, first 2 shown]
	global_load_dword v110, v[60:61], off
.LBB75_94:                              ;   in Loop: Header=BB75_72 Depth=1
	ds_read_b32 v55, v82
	ds_read_b32 v111, v79 offset:64
	v_add_co_u32_e64 v64, s[8:9], v34, v2
	s_and_b64 vcc, exec, s[4:5]
	s_waitcnt vmcnt(0) lgkmcnt(1)
	v_mul_f32_e32 v60, v107, v55
	v_mul_f32_e32 v61, v108, v55
	ds_write_b32 v86, v60
	v_mul_f32_e32 v62, v109, v55
	ds_read_b32 v112, v79 offset:68
	ds_write_b32 v86, v61 offset:268
	ds_read_b32 v113, v79 offset:72
	ds_write_b32 v86, v62 offset:536
	v_mul_f32_e32 v55, v110, v55
	ds_read_b32 v114, v79 offset:76
	ds_write_b32 v86, v55 offset:804
	s_waitcnt lgkmcnt(0)
	s_barrier
	ds_read2_b32 v[62:63], v78 offset1:1
	ds_read2_b32 v[60:61], v78 offset0:2 offset1:3
	v_addc_co_u32_e64 v65, s[8:9], v31, v3, s[8:9]
	s_waitcnt lgkmcnt(0)
	s_barrier
	s_cbranch_vccnz .LBB75_122
; %bb.95:                               ;   in Loop: Header=BB75_72 Depth=1
	v_cmp_gt_i32_e32 vcc, s16, v91
	v_mov_b32_e32 v116, 0
	v_mov_b32_e32 v115, 0
	s_and_saveexec_b64 s[8:9], vcc
	s_cbranch_execz .LBB75_97
; %bb.96:                               ;   in Loop: Header=BB75_72 Depth=1
	global_load_dword v115, v[64:65], off
.LBB75_97:                              ;   in Loop: Header=BB75_72 Depth=1
	s_or_b64 exec, exec, s[8:9]
	v_cmp_gt_i32_e32 vcc, s16, v92
	s_and_saveexec_b64 s[8:9], vcc
	s_cbranch_execz .LBB75_99
; %bb.98:                               ;   in Loop: Header=BB75_72 Depth=1
	v_add_co_u32_e32 v66, vcc, v36, v2
	v_addc_co_u32_e32 v67, vcc, v33, v3, vcc
	global_load_dword v116, v[66:67], off
.LBB75_99:                              ;   in Loop: Header=BB75_72 Depth=1
	s_or_b64 exec, exec, s[8:9]
	v_cmp_gt_i32_e32 vcc, s16, v93
	v_mov_b32_e32 v118, 0
	v_mov_b32_e32 v117, 0
	s_and_saveexec_b64 s[8:9], vcc
	s_cbranch_execz .LBB75_101
; %bb.100:                              ;   in Loop: Header=BB75_72 Depth=1
	v_add_co_u32_e32 v66, vcc, v38, v2
	v_addc_co_u32_e32 v67, vcc, v35, v3, vcc
	global_load_dword v117, v[66:67], off
.LBB75_101:                             ;   in Loop: Header=BB75_72 Depth=1
	s_or_b64 exec, exec, s[8:9]
	v_cmp_gt_i32_e32 vcc, s16, v94
	s_and_saveexec_b64 s[8:9], vcc
	s_cbranch_execz .LBB75_103
; %bb.102:                              ;   in Loop: Header=BB75_72 Depth=1
	v_add_co_u32_e32 v66, vcc, v40, v2
	v_addc_co_u32_e32 v67, vcc, v37, v3, vcc
	global_load_dword v118, v[66:67], off
.LBB75_103:                             ;   in Loop: Header=BB75_72 Depth=1
	s_or_b64 exec, exec, s[8:9]
	s_branch .LBB75_105
.LBB75_104:                             ;   in Loop: Header=BB75_72 Depth=1
	global_load_dword v115, v[64:65], off
	v_add_co_u32_e32 v64, vcc, v36, v2
	v_addc_co_u32_e32 v65, vcc, v33, v3, vcc
	global_load_dword v116, v[64:65], off
	v_add_co_u32_e32 v64, vcc, v42, v2
	v_addc_co_u32_e32 v65, vcc, v39, v3, vcc
	;; [unrolled: 3-line block ×3, first 2 shown]
	global_load_dword v118, v[64:65], off
.LBB75_105:                             ;   in Loop: Header=BB75_72 Depth=1
	ds_read_b32 v55, v82
	ds_read_b32 v119, v79 offset:128
	s_and_b64 vcc, exec, s[4:5]
	v_add_co_u32_e64 v68, s[4:5], v20, v75
	s_waitcnt vmcnt(0) lgkmcnt(1)
	v_mul_f32_e32 v64, v115, v55
	v_mul_f32_e32 v65, v116, v55
	ds_write_b32 v86, v64
	v_mul_f32_e32 v66, v117, v55
	ds_read_b32 v120, v79 offset:132
	ds_write_b32 v86, v65 offset:268
	ds_read_b32 v121, v79 offset:136
	ds_write_b32 v86, v66 offset:536
	v_mul_f32_e32 v55, v118, v55
	ds_read_b32 v122, v79 offset:140
	ds_write_b32 v86, v55 offset:804
	s_waitcnt lgkmcnt(0)
	s_barrier
	ds_read2_b32 v[66:67], v78 offset1:1
	ds_read2_b32 v[64:65], v78 offset0:2 offset1:3
	v_addc_co_u32_e64 v69, s[4:5], v17, v76, s[4:5]
	s_waitcnt lgkmcnt(0)
	s_barrier
	s_cbranch_vccnz .LBB75_123
; %bb.106:                              ;   in Loop: Header=BB75_72 Depth=1
	v_cmp_gt_i32_e32 vcc, s16, v95
	v_mov_b32_e32 v124, 0
	v_mov_b32_e32 v123, 0
	s_and_saveexec_b64 s[4:5], vcc
	s_cbranch_execz .LBB75_108
; %bb.107:                              ;   in Loop: Header=BB75_72 Depth=1
	global_load_dword v123, v[68:69], off
.LBB75_108:                             ;   in Loop: Header=BB75_72 Depth=1
	s_or_b64 exec, exec, s[4:5]
	v_cmp_gt_i32_e32 vcc, s16, v96
	s_and_saveexec_b64 s[4:5], vcc
	s_cbranch_execz .LBB75_110
; %bb.109:                              ;   in Loop: Header=BB75_72 Depth=1
	v_add_co_u32_e32 v124, vcc, v46, v75
	v_addc_co_u32_e32 v125, vcc, v43, v76, vcc
	global_load_dword v124, v[124:125], off
.LBB75_110:                             ;   in Loop: Header=BB75_72 Depth=1
	s_or_b64 exec, exec, s[4:5]
	v_cmp_gt_i32_e32 vcc, s16, v97
	v_mov_b32_e32 v126, 0
	v_mov_b32_e32 v125, 0
	s_and_saveexec_b64 s[4:5], vcc
	s_cbranch_execz .LBB75_112
; %bb.111:                              ;   in Loop: Header=BB75_72 Depth=1
	v_add_co_u32_e32 v128, vcc, v48, v75
	v_addc_co_u32_e32 v129, vcc, v45, v76, vcc
	global_load_dword v125, v[128:129], off
.LBB75_112:                             ;   in Loop: Header=BB75_72 Depth=1
	s_or_b64 exec, exec, s[4:5]
	v_cmp_gt_i32_e32 vcc, s16, v98
	s_and_saveexec_b64 s[4:5], vcc
	s_cbranch_execz .LBB75_114
; %bb.113:                              ;   in Loop: Header=BB75_72 Depth=1
	v_add_co_u32_e32 v126, vcc, v50, v75
	v_addc_co_u32_e32 v127, vcc, v47, v76, vcc
	global_load_dword v126, v[126:127], off
.LBB75_114:                             ;   in Loop: Header=BB75_72 Depth=1
	s_or_b64 exec, exec, s[4:5]
	s_branch .LBB75_116
.LBB75_115:                             ;   in Loop: Header=BB75_72 Depth=1
	global_load_dword v123, v[68:69], off
	v_add_co_u32_e32 v68, vcc, v46, v75
	v_addc_co_u32_e32 v69, vcc, v43, v76, vcc
	global_load_dword v124, v[68:69], off
	v_add_co_u32_e32 v68, vcc, v52, v75
	v_addc_co_u32_e32 v69, vcc, v49, v76, vcc
	global_load_dword v125, v[68:69], off
	v_add_co_u32_e32 v68, vcc, v22, v75
	v_addc_co_u32_e32 v69, vcc, v19, v76, vcc
	global_load_dword v126, v[68:69], off
.LBB75_116:                             ;   in Loop: Header=BB75_72 Depth=1
	v_add_f32_e32 v62, 0, v62
	v_add_f32_e32 v62, v62, v63
	ds_read_b32 v63, v82
	v_add_f32_e32 v60, v62, v60
	v_add_f32_e32 v55, 0, v66
	v_add_f32_e32 v68, v60, v61
	v_add_f32_e32 v66, 0, v58
	ds_read_b32 v58, v79 offset:192
	s_waitcnt vmcnt(0) lgkmcnt(1)
	v_mul_f32_e32 v60, v123, v63
	ds_write_b32 v86, v60
	v_mul_f32_e32 v61, v124, v63
	v_add_f32_e32 v55, v55, v67
	ds_read_b32 v60, v79 offset:196
	ds_write_b32 v86, v61 offset:268
	v_mul_f32_e32 v62, v125, v63
	v_add_f32_e32 v55, v55, v64
	ds_read_b32 v61, v79 offset:200
	ds_write_b32 v86, v62 offset:536
	v_mul_f32_e32 v63, v126, v63
	v_add_f32_e32 v55, v55, v65
	ds_read_b32 v62, v79 offset:204
	ds_write_b32 v86, v63 offset:804
	s_waitcnt lgkmcnt(0)
	s_barrier
	ds_read2_b32 v[64:65], v78 offset1:1
	v_add_f32_e32 v59, v66, v59
	ds_read2_b32 v[66:67], v78 offset0:2 offset1:3
	v_add_f32_e32 v56, v59, v56
	v_add_f32_e32 v56, v56, v57
	s_waitcnt lgkmcnt(1)
	v_add_f32_e32 v57, 0, v64
	v_cmp_gt_i32_e32 vcc, s16, v6
	v_add_f32_e32 v57, v57, v65
	s_or_b64 s[4:5], s[14:15], vcc
	s_waitcnt lgkmcnt(0)
	v_add_f32_e32 v57, v57, v66
	s_and_b64 s[8:9], s[2:3], s[4:5]
	v_add_f32_e32 v57, v57, v67
	s_barrier
	ds_write2_b32 v80, v56, v68 offset1:16
	ds_write2_b32 v80, v55, v57 offset0:32 offset1:48
	s_waitcnt lgkmcnt(0)
	s_barrier
	s_and_saveexec_b64 s[4:5], s[8:9]
	s_cbranch_execz .LBB75_118
; %bb.117:                              ;   in Loop: Header=BB75_72 Depth=1
	ds_read2_b32 v[56:57], v53 offset1:1
	ds_read2_b32 v[64:65], v53 offset0:2 offset1:3
	ds_read2_b32 v[66:67], v53 offset0:4 offset1:5
	;; [unrolled: 1-line block ×3, first 2 shown]
	s_waitcnt lgkmcnt(3)
	v_add_f32_e32 v55, v56, v57
	s_waitcnt lgkmcnt(2)
	v_add_f32_e32 v55, v55, v64
	v_add_f32_e32 v55, v55, v65
	ds_read2_b32 v[56:57], v53 offset0:8 offset1:9
	s_waitcnt lgkmcnt(2)
	v_add_f32_e32 v55, v55, v66
	v_add_f32_e32 v55, v55, v67
	s_waitcnt lgkmcnt(1)
	v_add_f32_e32 v55, v55, v68
	v_add_f32_e32 v55, v55, v69
	ds_read2_b32 v[64:65], v53 offset0:10 offset1:11
	ds_read2_b32 v[66:67], v53 offset0:12 offset1:13
	ds_read_b32 v59, v53 offset:56
	s_waitcnt lgkmcnt(3)
	v_add_f32_e32 v55, v55, v56
	v_add_f32_e32 v55, v55, v57
	s_waitcnt lgkmcnt(2)
	v_add_f32_e32 v55, v55, v64
	ds_read_b32 v56, v77
	v_add_f32_e32 v55, v55, v65
	s_waitcnt lgkmcnt(2)
	v_add_f32_e32 v55, v55, v66
	v_add_f32_e32 v55, v55, v67
	s_waitcnt lgkmcnt(1)
	v_add_f32_e32 v55, v55, v59
	s_waitcnt lgkmcnt(0)
	v_add_f32_e32 v59, v55, v56
	v_ashrrev_i32_e32 v55, 31, v54
	v_lshlrev_b64 v[56:57], 2, v[54:55]
	v_mov_b32_e32 v55, s19
	v_add_co_u32_e32 v56, vcc, s7, v56
	v_addc_co_u32_e32 v57, vcc, v55, v57, vcc
	global_store_dword v[56:57], v59, off
.LBB75_118:                             ;   in Loop: Header=BB75_72 Depth=1
	s_or_b64 exec, exec, s[4:5]
	v_mov_b32_e32 v55, s13
	v_add_co_u32_e32 v0, vcc, s12, v0
	v_addc_co_u32_e32 v1, vcc, v1, v55, vcc
	v_add_co_u32_e32 v8, vcc, s12, v8
	v_addc_co_u32_e32 v5, vcc, v5, v55, vcc
	;; [unrolled: 2-line block ×16, first 2 shown]
	v_fmac_f32_e32 v70, v99, v103
	v_add_co_u32_e32 v42, vcc, s12, v42
	v_fmac_f32_e32 v70, v100, v104
	v_addc_co_u32_e32 v39, vcc, v39, v55, vcc
	v_fmac_f32_e32 v70, v101, v105
	v_add_co_u32_e32 v44, vcc, s12, v44
	v_fmac_f32_e32 v70, v102, v106
	v_addc_co_u32_e32 v41, vcc, v41, v55, vcc
	;; [unrolled: 4-line block ×7, first 2 shown]
	v_fmac_f32_e32 v70, v125, v61
	s_add_i32 s4, s6, 1
	s_add_i32 s10, s10, s26
	;; [unrolled: 1-line block ×3, first 2 shown]
	v_add_co_u32_e32 v22, vcc, s12, v22
	v_fmac_f32_e32 v70, v126, v62
	v_add_u32_e32 v54, 64, v54
	s_cmp_ge_u32 s5, s27
	v_addc_co_u32_e32 v19, vcc, v19, v55, vcc
	s_barrier
	s_cbranch_scc1 .LBB75_124
; %bb.119:                              ;   in Loop: Header=BB75_72 Depth=1
	s_mov_b32 s6, s4
	s_cmp_eq_u32 s23, s6
	s_cselect_b32 s16, s33, 0
	s_and_saveexec_b64 s[4:5], s[0:1]
	s_cbranch_execnz .LBB75_69
	s_branch .LBB75_72
.LBB75_120:                             ;   in Loop: Header=BB75_72 Depth=1
                                        ; implicit-def: $vgpr102
                                        ; implicit-def: $vgpr101
                                        ; implicit-def: $vgpr100
                                        ; implicit-def: $vgpr99
	s_cbranch_execnz .LBB75_82
	s_branch .LBB75_83
.LBB75_121:                             ;   in Loop: Header=BB75_72 Depth=1
                                        ; implicit-def: $vgpr110
                                        ; implicit-def: $vgpr109
                                        ; implicit-def: $vgpr108
                                        ; implicit-def: $vgpr107
	s_cbranch_execnz .LBB75_93
	s_branch .LBB75_94
.LBB75_122:                             ;   in Loop: Header=BB75_72 Depth=1
                                        ; implicit-def: $vgpr118
                                        ; implicit-def: $vgpr117
                                        ; implicit-def: $vgpr116
                                        ; implicit-def: $vgpr115
	s_cbranch_execnz .LBB75_104
	s_branch .LBB75_105
.LBB75_123:                             ;   in Loop: Header=BB75_72 Depth=1
                                        ; implicit-def: $vgpr126
                                        ; implicit-def: $vgpr125
                                        ; implicit-def: $vgpr124
                                        ; implicit-def: $vgpr123
	s_cbranch_execnz .LBB75_115
	s_branch .LBB75_116
.LBB75_124:
	s_movk_i32 s2, 0x10c
	v_cmp_gt_i32_e32 vcc, s18, v6
	v_mad_u32_u24 v0, v51, s2, v71
	s_or_b64 s[2:3], s[20:21], vcc
	s_and_b64 s[0:1], s[0:1], s[2:3]
	ds_write_b32 v0, v70
	s_waitcnt lgkmcnt(0)
	s_barrier
	s_and_saveexec_b64 s[2:3], s[0:1]
	s_cbranch_execz .LBB75_126
; %bb.125:
	ds_read2_b32 v[0:1], v71 offset1:67
	ds_read2_b32 v[2:3], v71 offset0:134 offset1:201
	v_ashrrev_i32_e32 v5, 31, v4
	v_lshlrev_b64 v[4:5], 2, v[4:5]
	v_mov_b32_e32 v6, s19
	s_waitcnt lgkmcnt(1)
	v_add_f32_e32 v0, v0, v1
	s_waitcnt lgkmcnt(0)
	v_add_f32_e32 v0, v0, v2
	v_add_f32_e32 v2, v0, v3
	v_add_co_u32_e32 v0, vcc, s7, v4
	v_addc_co_u32_e32 v1, vcc, v6, v5, vcc
	global_store_dword v[0:1], v2, off
.LBB75_126:
	s_endpgm
	.section	.rodata,"a",@progbits
	.p2align	6, 0x0
	.amdhsa_kernel _ZL26rocblas_hemvn_kernel_upperILb0ELi64ELi4ELi33ELi32ELi16EifPKfPfEviT6_lT7_lT5_lS4_lS5_lS3_lT8_i
		.amdhsa_group_segment_fixed_size 4800
		.amdhsa_private_segment_fixed_size 0
		.amdhsa_kernarg_size 368
		.amdhsa_user_sgpr_count 6
		.amdhsa_user_sgpr_private_segment_buffer 1
		.amdhsa_user_sgpr_dispatch_ptr 0
		.amdhsa_user_sgpr_queue_ptr 0
		.amdhsa_user_sgpr_kernarg_segment_ptr 1
		.amdhsa_user_sgpr_dispatch_id 0
		.amdhsa_user_sgpr_flat_scratch_init 0
		.amdhsa_user_sgpr_kernarg_preload_length 0
		.amdhsa_user_sgpr_kernarg_preload_offset 0
		.amdhsa_user_sgpr_private_segment_size 0
		.amdhsa_uses_dynamic_stack 0
		.amdhsa_system_sgpr_private_segment_wavefront_offset 0
		.amdhsa_system_sgpr_workgroup_id_x 1
		.amdhsa_system_sgpr_workgroup_id_y 0
		.amdhsa_system_sgpr_workgroup_id_z 1
		.amdhsa_system_sgpr_workgroup_info 0
		.amdhsa_system_vgpr_workitem_id 1
		.amdhsa_next_free_vgpr 130
		.amdhsa_next_free_sgpr 55
		.amdhsa_accum_offset 132
		.amdhsa_reserve_vcc 1
		.amdhsa_reserve_flat_scratch 0
		.amdhsa_float_round_mode_32 0
		.amdhsa_float_round_mode_16_64 0
		.amdhsa_float_denorm_mode_32 3
		.amdhsa_float_denorm_mode_16_64 3
		.amdhsa_dx10_clamp 1
		.amdhsa_ieee_mode 1
		.amdhsa_fp16_overflow 0
		.amdhsa_tg_split 0
		.amdhsa_exception_fp_ieee_invalid_op 0
		.amdhsa_exception_fp_denorm_src 0
		.amdhsa_exception_fp_ieee_div_zero 0
		.amdhsa_exception_fp_ieee_overflow 0
		.amdhsa_exception_fp_ieee_underflow 0
		.amdhsa_exception_fp_ieee_inexact 0
		.amdhsa_exception_int_div_zero 0
	.end_amdhsa_kernel
	.section	.text._ZL26rocblas_hemvn_kernel_upperILb0ELi64ELi4ELi33ELi32ELi16EifPKfPfEviT6_lT7_lT5_lS4_lS5_lS3_lT8_i,"axG",@progbits,_ZL26rocblas_hemvn_kernel_upperILb0ELi64ELi4ELi33ELi32ELi16EifPKfPfEviT6_lT7_lT5_lS4_lS5_lS3_lT8_i,comdat
.Lfunc_end75:
	.size	_ZL26rocblas_hemvn_kernel_upperILb0ELi64ELi4ELi33ELi32ELi16EifPKfPfEviT6_lT7_lT5_lS4_lS5_lS3_lT8_i, .Lfunc_end75-_ZL26rocblas_hemvn_kernel_upperILb0ELi64ELi4ELi33ELi32ELi16EifPKfPfEviT6_lT7_lT5_lS4_lS5_lS3_lT8_i
                                        ; -- End function
	.section	.AMDGPU.csdata,"",@progbits
; Kernel info:
; codeLenInByte = 6796
; NumSgprs: 59
; NumVgprs: 130
; NumAgprs: 0
; TotalNumVgprs: 130
; ScratchSize: 0
; MemoryBound: 0
; FloatMode: 240
; IeeeMode: 1
; LDSByteSize: 4800 bytes/workgroup (compile time only)
; SGPRBlocks: 7
; VGPRBlocks: 16
; NumSGPRsForWavesPerEU: 59
; NumVGPRsForWavesPerEU: 130
; AccumOffset: 132
; Occupancy: 3
; WaveLimiterHint : 1
; COMPUTE_PGM_RSRC2:SCRATCH_EN: 0
; COMPUTE_PGM_RSRC2:USER_SGPR: 6
; COMPUTE_PGM_RSRC2:TRAP_HANDLER: 0
; COMPUTE_PGM_RSRC2:TGID_X_EN: 1
; COMPUTE_PGM_RSRC2:TGID_Y_EN: 0
; COMPUTE_PGM_RSRC2:TGID_Z_EN: 1
; COMPUTE_PGM_RSRC2:TIDIG_COMP_CNT: 1
; COMPUTE_PGM_RSRC3_GFX90A:ACCUM_OFFSET: 32
; COMPUTE_PGM_RSRC3_GFX90A:TG_SPLIT: 0
	.section	.text._ZL36rocblas_hemvn_kernel_upper_block_sumILi64EifPffEviT1_lS1_lT2_lT0_lPT3_i,"axG",@progbits,_ZL36rocblas_hemvn_kernel_upper_block_sumILi64EifPffEviT1_lS1_lT2_lT0_lPT3_i,comdat
	.globl	_ZL36rocblas_hemvn_kernel_upper_block_sumILi64EifPffEviT1_lS1_lT2_lT0_lPT3_i ; -- Begin function _ZL36rocblas_hemvn_kernel_upper_block_sumILi64EifPffEviT1_lS1_lT2_lT0_lPT3_i
	.p2align	8
	.type	_ZL36rocblas_hemvn_kernel_upper_block_sumILi64EifPffEviT1_lS1_lT2_lT0_lPT3_i,@function
_ZL36rocblas_hemvn_kernel_upper_block_sumILi64EifPffEviT1_lS1_lT2_lT0_lPT3_i: ; @_ZL36rocblas_hemvn_kernel_upper_block_sumILi64EifPffEviT1_lS1_lT2_lT0_lPT3_i
; %bb.0:
	s_load_dwordx2 s[8:9], s[4:5], 0x0
	s_load_dword s18, s[4:5], 0x10
	s_waitcnt lgkmcnt(0)
	v_cmp_eq_f32_e64 s[0:1], s9, 0
	v_cmp_eq_f32_e64 s[2:3], s18, 1.0
	s_and_b64 s[0:1], s[0:1], s[2:3]
	s_and_b64 vcc, exec, s[0:1]
	s_cbranch_vccnz .LBB76_19
; %bb.1:
	s_load_dwordx4 s[0:3], s[4:5], 0x38
	s_load_dwordx4 s[12:15], s[4:5], 0x20
	s_load_dword s19, s[4:5], 0x30
	v_lshl_or_b32 v0, s6, 6, v0
	s_waitcnt lgkmcnt(0)
	s_mul_i32 s1, s7, s1
	s_mul_hi_u32 s10, s7, s0
	s_mul_i32 s0, s7, s0
	s_add_i32 s1, s10, s1
	s_lshl_b64 s[0:1], s[0:1], 2
	s_add_u32 s10, s12, s0
	s_addc_u32 s11, s13, s1
	s_lshl_b64 s[0:1], s[14:15], 2
	s_add_u32 s16, s10, s0
	s_addc_u32 s17, s11, s1
	v_cmp_neq_f32_e64 s[0:1], s9, 0
	s_and_b64 vcc, exec, s[0:1]
	v_cmp_gt_i32_e64 s[0:1], s8, v0
	s_cbranch_vccnz .LBB76_6
; %bb.2:
	s_mov_b64 s[12:13], 0
	s_mov_b64 s[10:11], 0
                                        ; implicit-def: $vgpr4
                                        ; implicit-def: $vgpr2_vgpr3
	s_and_saveexec_b64 s[14:15], s[0:1]
	s_cbranch_execz .LBB76_7
; %bb.3:
	v_cmp_eq_f32_e64 s[0:1], s18, 0
	v_mul_lo_u32 v2, v0, s19
	v_mov_b32_e32 v4, 0
	v_ashrrev_i32_e32 v3, 31, v2
	s_and_b64 vcc, exec, s[0:1]
	s_cbranch_vccnz .LBB76_5
; %bb.4:
	v_lshlrev_b64 v[4:5], 2, v[2:3]
	v_mov_b32_e32 v1, s17
	v_add_co_u32_e32 v4, vcc, s16, v4
	v_addc_co_u32_e32 v5, vcc, v1, v5, vcc
	global_load_dword v1, v[4:5], off
	s_waitcnt vmcnt(0)
	v_mul_f32_e32 v4, s18, v1
.LBB76_5:
	s_mov_b64 s[10:11], exec
	s_or_b64 exec, exec, s[14:15]
	s_and_b64 vcc, exec, s[12:13]
	s_cbranch_vccnz .LBB76_8
	s_branch .LBB76_17
.LBB76_6:
	s_mov_b64 s[10:11], 0
                                        ; implicit-def: $vgpr4
                                        ; implicit-def: $vgpr2_vgpr3
	s_cbranch_execnz .LBB76_8
	s_branch .LBB76_17
.LBB76_7:
	s_or_b64 exec, exec, s[14:15]
	s_and_b64 vcc, exec, s[12:13]
	s_cbranch_vccz .LBB76_17
.LBB76_8:
	v_cmp_gt_i32_e32 vcc, s8, v0
                                        ; implicit-def: $vgpr4
                                        ; implicit-def: $vgpr2_vgpr3
	s_and_saveexec_b64 s[0:1], vcc
	s_cbranch_execz .LBB76_16
; %bb.9:
	s_cmp_lt_i32 s6, 0
	v_mov_b32_e32 v1, 0
	s_cbranch_scc1 .LBB76_12
; %bb.10:
	s_load_dword s4, s[4:5], 0x50
	s_ashr_i32 s13, s8, 31
	s_mul_hi_u32 s5, s8, s7
	s_mul_i32 s14, s13, s7
	s_add_i32 s5, s5, s14
	s_mul_i32 s7, s8, s7
	s_mov_b32 s12, s8
	s_waitcnt lgkmcnt(0)
	s_mul_i32 s5, s5, s4
	s_mul_hi_u32 s8, s7, s4
	s_add_i32 s5, s8, s5
	s_mul_i32 s4, s7, s4
	s_lshl_b64 s[4:5], s[4:5], 2
	s_add_u32 s2, s2, s4
	v_mov_b32_e32 v1, 0
	s_addc_u32 s3, s3, s5
	v_lshlrev_b64 v[2:3], 2, v[0:1]
	v_mov_b32_e32 v4, s3
	v_add_co_u32_e32 v2, vcc, s2, v2
	s_lshl_b64 s[2:3], s[12:13], 2
	v_addc_co_u32_e32 v3, vcc, v4, v3, vcc
	s_add_i32 s4, s6, 1
	v_mov_b32_e32 v4, s3
.LBB76_11:                              ; =>This Inner Loop Header: Depth=1
	global_load_dword v5, v[2:3], off
	s_add_i32 s4, s4, -1
	v_add_co_u32_e32 v2, vcc, s2, v2
	v_addc_co_u32_e32 v3, vcc, v3, v4, vcc
	s_cmp_eq_u32 s4, 0
	s_waitcnt vmcnt(0)
	v_add_f32_e32 v1, v1, v5
	s_cbranch_scc0 .LBB76_11
.LBB76_12:
	v_cmp_eq_f32_e64 s[2:3], s18, 0
	v_mul_lo_u32 v2, v0, s19
	s_and_b64 vcc, exec, s[2:3]
	v_ashrrev_i32_e32 v3, 31, v2
	s_cbranch_vccz .LBB76_20
; %bb.13:
	v_mul_f32_e32 v4, s9, v1
	s_cbranch_execnz .LBB76_15
.LBB76_14:
	v_lshlrev_b64 v[4:5], 2, v[2:3]
	v_mov_b32_e32 v0, s17
	v_add_co_u32_e32 v4, vcc, s16, v4
	v_addc_co_u32_e32 v5, vcc, v0, v5, vcc
	global_load_dword v0, v[4:5], off
	s_waitcnt vmcnt(0)
	v_mul_f32_e32 v4, s18, v0
	v_fmac_f32_e32 v4, s9, v1
.LBB76_15:
	s_or_b64 s[10:11], s[10:11], exec
.LBB76_16:
	s_or_b64 exec, exec, s[0:1]
.LBB76_17:
	s_and_saveexec_b64 s[0:1], s[10:11]
	s_cbranch_execz .LBB76_19
; %bb.18:
	v_lshlrev_b64 v[0:1], 2, v[2:3]
	v_mov_b32_e32 v2, s17
	v_add_co_u32_e32 v0, vcc, s16, v0
	v_addc_co_u32_e32 v1, vcc, v2, v1, vcc
	global_store_dword v[0:1], v4, off
.LBB76_19:
	s_endpgm
.LBB76_20:
                                        ; implicit-def: $vgpr4
	s_branch .LBB76_14
	.section	.rodata,"a",@progbits
	.p2align	6, 0x0
	.amdhsa_kernel _ZL36rocblas_hemvn_kernel_upper_block_sumILi64EifPffEviT1_lS1_lT2_lT0_lPT3_i
		.amdhsa_group_segment_fixed_size 0
		.amdhsa_private_segment_fixed_size 0
		.amdhsa_kernarg_size 336
		.amdhsa_user_sgpr_count 6
		.amdhsa_user_sgpr_private_segment_buffer 1
		.amdhsa_user_sgpr_dispatch_ptr 0
		.amdhsa_user_sgpr_queue_ptr 0
		.amdhsa_user_sgpr_kernarg_segment_ptr 1
		.amdhsa_user_sgpr_dispatch_id 0
		.amdhsa_user_sgpr_flat_scratch_init 0
		.amdhsa_user_sgpr_kernarg_preload_length 0
		.amdhsa_user_sgpr_kernarg_preload_offset 0
		.amdhsa_user_sgpr_private_segment_size 0
		.amdhsa_uses_dynamic_stack 0
		.amdhsa_system_sgpr_private_segment_wavefront_offset 0
		.amdhsa_system_sgpr_workgroup_id_x 1
		.amdhsa_system_sgpr_workgroup_id_y 0
		.amdhsa_system_sgpr_workgroup_id_z 1
		.amdhsa_system_sgpr_workgroup_info 0
		.amdhsa_system_vgpr_workitem_id 0
		.amdhsa_next_free_vgpr 6
		.amdhsa_next_free_sgpr 20
		.amdhsa_accum_offset 8
		.amdhsa_reserve_vcc 1
		.amdhsa_reserve_flat_scratch 0
		.amdhsa_float_round_mode_32 0
		.amdhsa_float_round_mode_16_64 0
		.amdhsa_float_denorm_mode_32 3
		.amdhsa_float_denorm_mode_16_64 3
		.amdhsa_dx10_clamp 1
		.amdhsa_ieee_mode 1
		.amdhsa_fp16_overflow 0
		.amdhsa_tg_split 0
		.amdhsa_exception_fp_ieee_invalid_op 0
		.amdhsa_exception_fp_denorm_src 0
		.amdhsa_exception_fp_ieee_div_zero 0
		.amdhsa_exception_fp_ieee_overflow 0
		.amdhsa_exception_fp_ieee_underflow 0
		.amdhsa_exception_fp_ieee_inexact 0
		.amdhsa_exception_int_div_zero 0
	.end_amdhsa_kernel
	.section	.text._ZL36rocblas_hemvn_kernel_upper_block_sumILi64EifPffEviT1_lS1_lT2_lT0_lPT3_i,"axG",@progbits,_ZL36rocblas_hemvn_kernel_upper_block_sumILi64EifPffEviT1_lS1_lT2_lT0_lPT3_i,comdat
.Lfunc_end76:
	.size	_ZL36rocblas_hemvn_kernel_upper_block_sumILi64EifPffEviT1_lS1_lT2_lT0_lPT3_i, .Lfunc_end76-_ZL36rocblas_hemvn_kernel_upper_block_sumILi64EifPffEviT1_lS1_lT2_lT0_lPT3_i
                                        ; -- End function
	.section	.AMDGPU.csdata,"",@progbits
; Kernel info:
; codeLenInByte = 564
; NumSgprs: 24
; NumVgprs: 6
; NumAgprs: 0
; TotalNumVgprs: 6
; ScratchSize: 0
; MemoryBound: 0
; FloatMode: 240
; IeeeMode: 1
; LDSByteSize: 0 bytes/workgroup (compile time only)
; SGPRBlocks: 2
; VGPRBlocks: 0
; NumSGPRsForWavesPerEU: 24
; NumVGPRsForWavesPerEU: 6
; AccumOffset: 8
; Occupancy: 8
; WaveLimiterHint : 0
; COMPUTE_PGM_RSRC2:SCRATCH_EN: 0
; COMPUTE_PGM_RSRC2:USER_SGPR: 6
; COMPUTE_PGM_RSRC2:TRAP_HANDLER: 0
; COMPUTE_PGM_RSRC2:TGID_X_EN: 1
; COMPUTE_PGM_RSRC2:TGID_Y_EN: 0
; COMPUTE_PGM_RSRC2:TGID_Z_EN: 1
; COMPUTE_PGM_RSRC2:TIDIG_COMP_CNT: 0
; COMPUTE_PGM_RSRC3_GFX90A:ACCUM_OFFSET: 1
; COMPUTE_PGM_RSRC3_GFX90A:TG_SPLIT: 0
	.section	.text._ZL50rocblas_symv_kernel_lower_double_buffered_diagonalILi32ELi4E24rocblas_internal_val_ptrIfEPKfPfEvbiT1_lT2_lllS6_lllS5_lT3_llli,"axG",@progbits,_ZL50rocblas_symv_kernel_lower_double_buffered_diagonalILi32ELi4E24rocblas_internal_val_ptrIfEPKfPfEvbiT1_lT2_lllS6_lllS5_lT3_llli,comdat
	.globl	_ZL50rocblas_symv_kernel_lower_double_buffered_diagonalILi32ELi4E24rocblas_internal_val_ptrIfEPKfPfEvbiT1_lT2_lllS6_lllS5_lT3_llli ; -- Begin function _ZL50rocblas_symv_kernel_lower_double_buffered_diagonalILi32ELi4E24rocblas_internal_val_ptrIfEPKfPfEvbiT1_lT2_lllS6_lllS5_lT3_llli
	.p2align	8
	.type	_ZL50rocblas_symv_kernel_lower_double_buffered_diagonalILi32ELi4E24rocblas_internal_val_ptrIfEPKfPfEvbiT1_lT2_lllS6_lllS5_lT3_llli,@function
_ZL50rocblas_symv_kernel_lower_double_buffered_diagonalILi32ELi4E24rocblas_internal_val_ptrIfEPKfPfEvbiT1_lT2_lllS6_lllS5_lT3_llli: ; @_ZL50rocblas_symv_kernel_lower_double_buffered_diagonalILi32ELi4E24rocblas_internal_val_ptrIfEPKfPfEvbiT1_lT2_lllS6_lllS5_lT3_llli
; %bb.0:
	s_load_dword s0, s[4:5], 0x0
	s_load_dwordx16 s[8:23], s[4:5], 0x8
	s_mov_b64 s[2:3], -1
                                        ; implicit-def: $sgpr33
	s_waitcnt lgkmcnt(0)
	s_bitcmp1_b32 s0, 0
	s_cselect_b64 s[0:1], -1, 0
	s_xor_b64 s[0:1], s[0:1], -1
	s_and_b64 vcc, exec, s[0:1]
	s_cbranch_vccnz .LBB77_10
; %bb.1:
	s_load_dwordx8 s[24:31], s[4:5], 0x48
	s_andn2_b64 vcc, exec, s[2:3]
	s_cbranch_vccz .LBB77_11
.LBB77_2:
	s_andn2_b64 vcc, exec, s[0:1]
	s_cbranch_vccnz .LBB77_4
.LBB77_3:
	s_waitcnt lgkmcnt(0)
	s_mul_i32 s0, s7, s31
	s_mul_hi_u32 s1, s7, s30
	s_add_i32 s1, s1, s0
	s_mul_i32 s0, s7, s30
	s_lshl_b64 s[0:1], s[0:1], 2
	s_add_u32 s0, s28, s0
	s_addc_u32 s1, s29, s1
	s_load_dword s28, s[0:1], 0x0
.LBB77_4:
	s_waitcnt lgkmcnt(0)
	v_cmp_eq_f32_e64 s[0:1], s33, 0
	v_cmp_eq_f32_e64 s[2:3], s28, 1.0
	s_and_b64 s[0:1], s[0:1], s[2:3]
	s_and_b64 vcc, exec, s[0:1]
	s_cbranch_vccnz .LBB77_9
; %bb.5:
	s_load_dwordx2 s[8:9], s[4:5], 0x80
	s_load_dwordx2 s[10:11], s[4:5], 0x68
	s_load_dwordx4 s[0:3], s[4:5], 0x70
	v_bfe_u32 v3, v0, 10, 10
	v_and_b32_e32 v2, 0x3ff, v0
	s_waitcnt lgkmcnt(0)
	s_mul_i32 s5, s7, s9
	s_mul_hi_u32 s9, s7, s8
	s_mul_i32 s4, s7, s8
	s_add_i32 s5, s9, s5
	s_lshl_b64 s[4:5], s[4:5], 2
	s_add_u32 s4, s10, s4
	s_addc_u32 s5, s11, s5
	s_lshl_b64 s[0:1], s[0:1], 2
	s_add_u32 s4, s4, s0
	s_addc_u32 s5, s5, s1
	s_lshl_b32 s6, s6, 5
	s_ashr_i32 s10, s6, 31
	s_mul_i32 s0, s6, s3
	s_mul_hi_u32 s1, s6, s2
	s_add_i32 s0, s1, s0
	s_mul_i32 s1, s10, s2
	s_add_i32 s1, s0, s1
	s_mul_i32 s0, s6, s2
	s_lshl_b64 s[0:1], s[0:1], 2
	s_add_u32 s8, s4, s0
	s_addc_u32 s9, s5, s1
	v_cmp_neq_f32_e64 s[0:1], s33, 0
	s_and_b64 vcc, exec, s[0:1]
	v_cmp_eq_u32_e64 s[0:1], 0, v3
	s_cbranch_vccnz .LBB77_12
; %bb.6:
	s_and_saveexec_b64 s[4:5], s[0:1]
	s_cbranch_execz .LBB77_8
; %bb.7:
	v_mad_u64_u32 v[0:1], s[0:1], v2, s2, 0
	v_mov_b32_e32 v4, v1
	v_mad_u64_u32 v[4:5], s[0:1], v2, s3, v[4:5]
	v_mov_b32_e32 v1, v4
	v_lshlrev_b64 v[0:1], 2, v[0:1]
	v_mov_b32_e32 v4, s9
	v_add_co_u32_e32 v0, vcc, s8, v0
	v_addc_co_u32_e32 v1, vcc, v4, v1, vcc
	global_load_dword v4, v[0:1], off
	s_waitcnt vmcnt(0)
	v_mul_f32_e32 v4, s28, v4
	global_store_dword v[0:1], v4, off
.LBB77_8:
	s_or_b64 exec, exec, s[4:5]
	s_cbranch_execz .LBB77_13
.LBB77_9:
	s_endpgm
.LBB77_10:
	s_mul_i32 s2, s7, s11
	s_mul_hi_u32 s3, s7, s10
	s_add_i32 s3, s3, s2
	s_mul_i32 s2, s7, s10
	s_lshl_b64 s[2:3], s[2:3], 2
	s_add_u32 s2, s8, s2
	s_addc_u32 s3, s9, s3
	s_load_dword s33, s[2:3], 0x0
	s_load_dwordx8 s[24:31], s[4:5], 0x48
	s_cbranch_execnz .LBB77_2
.LBB77_11:
	s_waitcnt lgkmcnt(0)
	s_mov_b32 s33, s8
	s_andn2_b64 vcc, exec, s[0:1]
	s_cbranch_vccz .LBB77_3
	s_branch .LBB77_4
.LBB77_12:
.LBB77_13:
	v_mov_b32_e32 v4, 0
	v_cmp_eq_u32_e64 s[0:1], 0, v3
	s_and_saveexec_b64 s[4:5], s[0:1]
	s_cbranch_execz .LBB77_17
; %bb.14:
	v_cmp_eq_f32_e64 s[30:31], s28, 0
	v_mov_b32_e32 v4, 0
	s_and_b64 vcc, exec, s[30:31]
	s_cbranch_vccnz .LBB77_16
; %bb.15:
	v_mad_u64_u32 v[0:1], s[30:31], v2, s2, 0
	v_mov_b32_e32 v4, v1
	v_mad_u64_u32 v[4:5], s[30:31], v2, s3, v[4:5]
	v_mov_b32_e32 v1, v4
	v_lshlrev_b64 v[0:1], 2, v[0:1]
	v_mov_b32_e32 v4, s9
	v_add_co_u32_e32 v0, vcc, s8, v0
	v_addc_co_u32_e32 v1, vcc, v4, v1, vcc
	global_load_dword v0, v[0:1], off
	s_waitcnt vmcnt(0)
	v_mul_f32_e32 v4, s28, v0
.LBB77_16:
	s_mul_i32 s11, s7, s27
	s_mul_hi_u32 s27, s7, s26
	s_add_i32 s27, s27, s11
	s_mul_i32 s26, s7, s26
	s_lshl_b64 s[26:27], s[26:27], 2
	s_add_u32 s11, s20, s26
	s_addc_u32 s26, s21, s27
	s_lshl_b64 s[20:21], s[22:23], 2
	s_add_u32 s11, s11, s20
	s_addc_u32 s22, s26, s21
	s_mul_i32 s20, s6, s25
	s_mul_hi_u32 s21, s6, s24
	s_add_i32 s20, s21, s20
	s_mul_i32 s21, s10, s24
	s_add_i32 s21, s20, s21
	s_mul_i32 s20, s6, s24
	s_lshl_b64 s[20:21], s[20:21], 2
	s_add_u32 s11, s11, s20
	s_addc_u32 s22, s22, s21
	v_mad_u64_u32 v[0:1], s[20:21], v2, s24, 0
	v_mov_b32_e32 v6, v1
	v_mad_u64_u32 v[6:7], s[20:21], v2, s25, v[6:7]
	v_mov_b32_e32 v1, v6
	v_lshlrev_b64 v[0:1], 2, v[0:1]
	v_mov_b32_e32 v5, s22
	v_add_co_u32_e32 v0, vcc, s11, v0
	v_addc_co_u32_e32 v1, vcc, v5, v1, vcc
	global_load_dword v0, v[0:1], off
	v_lshlrev_b32_e32 v1, 2, v2
	s_waitcnt vmcnt(0)
	ds_write_b32 v1, v0 offset:5120
.LBB77_17:
	s_or_b64 exec, exec, s[4:5]
	s_mul_i32 s4, s7, s19
	s_mul_hi_u32 s5, s7, s18
	s_add_i32 s5, s5, s4
	s_mul_i32 s4, s7, s18
	s_lshl_b64 s[4:5], s[4:5], 2
	s_add_u32 s7, s12, s4
	s_addc_u32 s11, s13, s5
	s_lshl_b64 s[4:5], s[14:15], 2
	s_add_u32 s7, s7, s4
	s_addc_u32 s11, s11, s5
	s_add_u32 s4, s16, 1
	s_addc_u32 s5, s17, 0
	s_mul_i32 s10, s4, s10
	s_mul_hi_u32 s12, s4, s6
	s_add_i32 s10, s12, s10
	s_mul_i32 s5, s5, s6
	s_add_i32 s5, s10, s5
	s_mul_i32 s4, s4, s6
	s_lshl_b64 s[4:5], s[4:5], 2
	s_add_u32 s6, s7, s4
	s_addc_u32 s7, s11, s5
	v_mad_u64_u32 v[0:1], s[4:5], v3, s16, 0
	v_mov_b32_e32 v6, v1
	v_mad_u64_u32 v[6:7], s[4:5], v3, s17, v[6:7]
	v_mov_b32_e32 v1, v6
	v_lshlrev_b64 v[0:1], 2, v[0:1]
	v_mov_b32_e32 v5, s7
	v_add_co_u32_e32 v0, vcc, s6, v0
	v_addc_co_u32_e32 v1, vcc, v5, v1, vcc
	v_lshlrev_b32_e32 v5, 2, v2
	v_add_co_u32_e32 v0, vcc, v0, v5
	v_addc_co_u32_e32 v1, vcc, 0, v1, vcc
	s_lshl_b64 s[4:5], s[16:17], 4
	v_mov_b32_e32 v8, s5
	v_add_co_u32_e32 v6, vcc, s4, v0
	v_addc_co_u32_e32 v7, vcc, v1, v8, vcc
	global_load_dword v13, v[0:1], off
	global_load_dword v14, v[6:7], off
	v_add_co_u32_e32 v0, vcc, s4, v6
	v_addc_co_u32_e32 v1, vcc, v7, v8, vcc
	global_load_dword v15, v[0:1], off
	v_add_co_u32_e32 v0, vcc, s4, v0
	v_addc_co_u32_e32 v1, vcc, v1, v8, vcc
	global_load_dword v16, v[0:1], off
	v_add_u32_e32 v12, 4, v3
	v_add_u32_e32 v11, 8, v3
	;; [unrolled: 1-line block ×3, first 2 shown]
	v_lshl_add_u32 v6, v3, 5, v2
	v_lshlrev_b32_e32 v7, 5, v12
	v_lshlrev_b32_e32 v8, 5, v11
	;; [unrolled: 1-line block ×4, first 2 shown]
	v_add_lshl_u32 v9, v7, v2, 2
	v_add_lshl_u32 v8, v8, v2, 2
	;; [unrolled: 1-line block ×3, first 2 shown]
	v_cmp_lt_u32_e32 vcc, 15, v2
	s_waitcnt vmcnt(3)
	ds_write_b32 v6, v13
	s_waitcnt vmcnt(2)
	ds_write_b32 v9, v14
	;; [unrolled: 2-line block ×4, first 2 shown]
	s_and_saveexec_b64 s[6:7], vcc
	s_cbranch_execz .LBB77_19
; %bb.18:
	s_lshl_b64 s[10:11], s[16:17], 2
	v_mov_b32_e32 v13, s5
	v_add_co_u32_e32 v0, vcc, s4, v0
	v_addc_co_u32_e32 v1, vcc, v1, v13, vcc
	s_lshl_b64 s[10:11], s[10:11], 2
	global_load_dword v14, v[0:1], off
	v_mov_b32_e32 v15, s11
	v_add_co_u32_e32 v0, vcc, s10, v0
	v_addc_co_u32_e32 v1, vcc, v1, v15, vcc
	global_load_dword v15, v[0:1], off
	v_add_co_u32_e32 v0, vcc, s4, v0
	v_addc_co_u32_e32 v1, vcc, v1, v13, vcc
	global_load_dword v16, v[0:1], off
	;; [unrolled: 3-line block ×3, first 2 shown]
	s_waitcnt vmcnt(2)
	ds_write2st64_b32 v6, v14, v15 offset0:8 offset1:10
	s_waitcnt vmcnt(0)
	ds_write2st64_b32 v6, v16, v0 offset0:12 offset1:14
.LBB77_19:
	s_or_b64 exec, exec, s[6:7]
	v_cmp_lt_u32_e32 vcc, v2, v3
	v_lshlrev_b32_e32 v0, 5, v2
	s_waitcnt lgkmcnt(0)
	s_barrier
	s_and_saveexec_b64 s[4:5], vcc
	s_cbranch_execz .LBB77_21
; %bb.20:
	v_add_lshl_u32 v1, v0, v3, 2
	ds_read_b32 v1, v1
	s_waitcnt lgkmcnt(0)
	ds_write_b32 v6, v1
.LBB77_21:
	s_or_b64 exec, exec, s[4:5]
	v_sub_u32_e32 v1, v2, v3
	v_sub_u32_e32 v13, 0, v1
	v_max_i32_e32 v13, v1, v13
	v_cmp_gt_u32_e32 vcc, 4, v13
	v_add_lshl_u32 v14, v3, v0, 2
	s_and_saveexec_b64 s[4:5], vcc
	s_cbranch_execnz .LBB77_35
; %bb.22:
	s_or_b64 exec, exec, s[4:5]
	v_cmp_gt_u32_e32 vcc, 8, v13
	s_and_saveexec_b64 s[4:5], vcc
	s_cbranch_execnz .LBB77_36
.LBB77_23:
	s_or_b64 exec, exec, s[4:5]
	v_cmp_gt_u32_e32 vcc, 12, v13
	s_and_saveexec_b64 s[4:5], vcc
	s_cbranch_execz .LBB77_25
.LBB77_24:
	ds_read_b32 v1, v14 offset:48
	s_waitcnt lgkmcnt(0)
	ds_write_b32 v7, v1
.LBB77_25:
	s_or_b64 exec, exec, s[4:5]
	v_add_u32_e32 v1, 16, v3
	v_cmp_gt_u32_e32 vcc, 16, v13
	v_lshlrev_b32_e32 v1, 5, v1
	s_and_saveexec_b64 s[4:5], vcc
	s_cbranch_execnz .LBB77_37
; %bb.26:
	s_or_b64 exec, exec, s[4:5]
	v_cmp_gt_u32_e32 vcc, 20, v13
	s_and_saveexec_b64 s[4:5], vcc
	s_cbranch_execnz .LBB77_38
.LBB77_27:
	s_or_b64 exec, exec, s[4:5]
	v_cmp_gt_u32_e32 vcc, 24, v13
	s_and_saveexec_b64 s[4:5], vcc
	s_cbranch_execz .LBB77_29
.LBB77_28:
	v_add_lshl_u32 v11, v11, v0, 2
	ds_read_b32 v11, v11 offset:64
	s_waitcnt lgkmcnt(0)
	ds_write_b32 v6, v11 offset:3072
.LBB77_29:
	s_or_b64 exec, exec, s[4:5]
	v_cmp_lt_u32_e32 vcc, 27, v13
	v_add_u32_e32 v11, 28, v3
                                        ; implicit-def: $vgpr12
	s_and_saveexec_b64 s[4:5], vcc
	s_xor_b64 s[4:5], exec, s[4:5]
; %bb.30:
	v_add_u32_e32 v11, 28, v3
	v_lshl_add_u32 v12, v11, 5, v2
                                        ; implicit-def: $vgpr10
                                        ; implicit-def: $vgpr0
; %bb.31:
	s_andn2_saveexec_b64 s[4:5], s[4:5]
	s_cbranch_execz .LBB77_33
; %bb.32:
	v_add_lshl_u32 v0, v10, v0, 2
	ds_read_b32 v0, v0 offset:64
	v_lshl_add_u32 v12, v11, 5, v2
	v_lshlrev_b32_e32 v10, 2, v12
	s_waitcnt lgkmcnt(0)
	ds_write_b32 v10, v0
.LBB77_33:
	s_or_b64 exec, exec, s[4:5]
	v_lshlrev_b32_e32 v0, 2, v3
	v_add_u32_e32 v10, 0x1400, v0
	s_waitcnt lgkmcnt(0)
	s_barrier
	ds_read2_b32 v[14:15], v10 offset1:4
	ds_read2_b32 v[16:17], v10 offset0:8 offset1:12
	ds_read_b32 v13, v6
	ds_read_b32 v18, v9
	;; [unrolled: 1-line block ×4, first 2 shown]
	v_add_lshl_u32 v1, v1, v2, 2
	v_lshlrev_b32_e32 v8, 2, v12
	v_lshlrev_b32_e32 v3, 5, v3
	;; [unrolled: 1-line block ×3, first 2 shown]
	ds_read_b32 v11, v8
	ds_read_b32 v12, v9 offset:5120
	ds_read_b32 v20, v1
	ds_read_b32 v21, v0 offset:5216
	ds_read2_b32 v[0:1], v10 offset0:16 offset1:20
	v_add_lshl_u32 v3, v3, v2, 2
	s_waitcnt lgkmcnt(8)
	v_fma_f32 v13, v13, v14, 0
	ds_read2st64_b32 v[8:9], v3 offset0:10 offset1:12
	s_waitcnt lgkmcnt(8)
	v_fmac_f32_e32 v13, v18, v15
	s_waitcnt lgkmcnt(7)
	v_fmac_f32_e32 v13, v19, v16
	;; [unrolled: 2-line block ×5, first 2 shown]
	v_fmac_f32_e32 v13, v9, v21
	v_fmac_f32_e32 v13, v11, v12
	ds_write_b32 v6, v13 offset:4096
	s_waitcnt lgkmcnt(0)
	s_barrier
	s_and_saveexec_b64 s[4:5], s[0:1]
	s_cbranch_execz .LBB77_9
; %bb.34:
	v_add_u32_e32 v3, 0x1000, v5
	ds_read2_b32 v[0:1], v3 offset1:32
	ds_read2_b32 v[6:7], v3 offset0:64 offset1:96
	v_cmp_neq_f32_e64 vcc, s28, 0
	s_waitcnt lgkmcnt(1)
	v_add_f32_e32 v0, 0, v0
	v_add_f32_e32 v0, v0, v1
	s_waitcnt lgkmcnt(0)
	v_add_f32_e32 v0, v0, v6
	v_add_f32_e32 v0, v0, v7
	v_mul_f32_e32 v1, s33, v0
	v_fmac_f32_e32 v4, s33, v0
	v_cndmask_b32_e32 v5, v1, v4, vcc
	v_mad_u64_u32 v[0:1], s[0:1], v2, s2, 0
	v_mov_b32_e32 v4, v1
	v_mad_u64_u32 v[2:3], s[0:1], v2, s3, v[4:5]
	v_mov_b32_e32 v1, v2
	v_lshlrev_b64 v[0:1], 2, v[0:1]
	v_mov_b32_e32 v2, s9
	v_add_co_u32_e32 v0, vcc, s8, v0
	v_addc_co_u32_e32 v1, vcc, v2, v1, vcc
	global_store_dword v[0:1], v5, off
	s_endpgm
.LBB77_35:
	ds_read_b32 v1, v14 offset:16
	s_waitcnt lgkmcnt(0)
	ds_write_b32 v9, v1
	s_or_b64 exec, exec, s[4:5]
	v_cmp_gt_u32_e32 vcc, 8, v13
	s_and_saveexec_b64 s[4:5], vcc
	s_cbranch_execz .LBB77_23
.LBB77_36:
	ds_read_b32 v1, v14 offset:32
	s_waitcnt lgkmcnt(0)
	ds_write_b32 v8, v1
	s_or_b64 exec, exec, s[4:5]
	v_cmp_gt_u32_e32 vcc, 12, v13
	s_and_saveexec_b64 s[4:5], vcc
	s_cbranch_execnz .LBB77_24
	s_branch .LBB77_25
.LBB77_37:
	ds_read_b32 v14, v14 offset:64
	v_add_lshl_u32 v15, v1, v2, 2
	s_waitcnt lgkmcnt(0)
	ds_write_b32 v15, v14
	s_or_b64 exec, exec, s[4:5]
	v_cmp_gt_u32_e32 vcc, 20, v13
	s_and_saveexec_b64 s[4:5], vcc
	s_cbranch_execz .LBB77_27
.LBB77_38:
	v_add_lshl_u32 v12, v12, v0, 2
	ds_read_b32 v12, v12 offset:64
	s_waitcnt lgkmcnt(0)
	ds_write_b32 v6, v12 offset:2560
	s_or_b64 exec, exec, s[4:5]
	v_cmp_gt_u32_e32 vcc, 24, v13
	s_and_saveexec_b64 s[4:5], vcc
	s_cbranch_execnz .LBB77_28
	s_branch .LBB77_29
	.section	.rodata,"a",@progbits
	.p2align	6, 0x0
	.amdhsa_kernel _ZL50rocblas_symv_kernel_lower_double_buffered_diagonalILi32ELi4E24rocblas_internal_val_ptrIfEPKfPfEvbiT1_lT2_lllS6_lllS5_lT3_llli
		.amdhsa_group_segment_fixed_size 5248
		.amdhsa_private_segment_fixed_size 0
		.amdhsa_kernarg_size 140
		.amdhsa_user_sgpr_count 6
		.amdhsa_user_sgpr_private_segment_buffer 1
		.amdhsa_user_sgpr_dispatch_ptr 0
		.amdhsa_user_sgpr_queue_ptr 0
		.amdhsa_user_sgpr_kernarg_segment_ptr 1
		.amdhsa_user_sgpr_dispatch_id 0
		.amdhsa_user_sgpr_flat_scratch_init 0
		.amdhsa_user_sgpr_kernarg_preload_length 0
		.amdhsa_user_sgpr_kernarg_preload_offset 0
		.amdhsa_user_sgpr_private_segment_size 0
		.amdhsa_uses_dynamic_stack 0
		.amdhsa_system_sgpr_private_segment_wavefront_offset 0
		.amdhsa_system_sgpr_workgroup_id_x 1
		.amdhsa_system_sgpr_workgroup_id_y 0
		.amdhsa_system_sgpr_workgroup_id_z 1
		.amdhsa_system_sgpr_workgroup_info 0
		.amdhsa_system_vgpr_workitem_id 1
		.amdhsa_next_free_vgpr 22
		.amdhsa_next_free_sgpr 34
		.amdhsa_accum_offset 24
		.amdhsa_reserve_vcc 1
		.amdhsa_reserve_flat_scratch 0
		.amdhsa_float_round_mode_32 0
		.amdhsa_float_round_mode_16_64 0
		.amdhsa_float_denorm_mode_32 3
		.amdhsa_float_denorm_mode_16_64 3
		.amdhsa_dx10_clamp 1
		.amdhsa_ieee_mode 1
		.amdhsa_fp16_overflow 0
		.amdhsa_tg_split 0
		.amdhsa_exception_fp_ieee_invalid_op 0
		.amdhsa_exception_fp_denorm_src 0
		.amdhsa_exception_fp_ieee_div_zero 0
		.amdhsa_exception_fp_ieee_overflow 0
		.amdhsa_exception_fp_ieee_underflow 0
		.amdhsa_exception_fp_ieee_inexact 0
		.amdhsa_exception_int_div_zero 0
	.end_amdhsa_kernel
	.section	.text._ZL50rocblas_symv_kernel_lower_double_buffered_diagonalILi32ELi4E24rocblas_internal_val_ptrIfEPKfPfEvbiT1_lT2_lllS6_lllS5_lT3_llli,"axG",@progbits,_ZL50rocblas_symv_kernel_lower_double_buffered_diagonalILi32ELi4E24rocblas_internal_val_ptrIfEPKfPfEvbiT1_lT2_lllS6_lllS5_lT3_llli,comdat
.Lfunc_end77:
	.size	_ZL50rocblas_symv_kernel_lower_double_buffered_diagonalILi32ELi4E24rocblas_internal_val_ptrIfEPKfPfEvbiT1_lT2_lllS6_lllS5_lT3_llli, .Lfunc_end77-_ZL50rocblas_symv_kernel_lower_double_buffered_diagonalILi32ELi4E24rocblas_internal_val_ptrIfEPKfPfEvbiT1_lT2_lllS6_lllS5_lT3_llli
                                        ; -- End function
	.section	.AMDGPU.csdata,"",@progbits
; Kernel info:
; codeLenInByte = 1956
; NumSgprs: 38
; NumVgprs: 22
; NumAgprs: 0
; TotalNumVgprs: 22
; ScratchSize: 0
; MemoryBound: 0
; FloatMode: 240
; IeeeMode: 1
; LDSByteSize: 5248 bytes/workgroup (compile time only)
; SGPRBlocks: 4
; VGPRBlocks: 2
; NumSGPRsForWavesPerEU: 38
; NumVGPRsForWavesPerEU: 22
; AccumOffset: 24
; Occupancy: 6
; WaveLimiterHint : 0
; COMPUTE_PGM_RSRC2:SCRATCH_EN: 0
; COMPUTE_PGM_RSRC2:USER_SGPR: 6
; COMPUTE_PGM_RSRC2:TRAP_HANDLER: 0
; COMPUTE_PGM_RSRC2:TGID_X_EN: 1
; COMPUTE_PGM_RSRC2:TGID_Y_EN: 0
; COMPUTE_PGM_RSRC2:TGID_Z_EN: 1
; COMPUTE_PGM_RSRC2:TIDIG_COMP_CNT: 1
; COMPUTE_PGM_RSRC3_GFX90A:ACCUM_OFFSET: 5
; COMPUTE_PGM_RSRC3_GFX90A:TG_SPLIT: 0
	.section	.text._ZL54rocblas_symv_kernel_lower_double_buffered_non_diagonalILi32ELi4ELi4E24rocblas_internal_val_ptrIfEPKfPfEvbiT2_lT3_lllS6_lllT4_llli,"axG",@progbits,_ZL54rocblas_symv_kernel_lower_double_buffered_non_diagonalILi32ELi4ELi4E24rocblas_internal_val_ptrIfEPKfPfEvbiT2_lT3_lllS6_lllT4_llli,comdat
	.globl	_ZL54rocblas_symv_kernel_lower_double_buffered_non_diagonalILi32ELi4ELi4E24rocblas_internal_val_ptrIfEPKfPfEvbiT2_lT3_lllS6_lllT4_llli ; -- Begin function _ZL54rocblas_symv_kernel_lower_double_buffered_non_diagonalILi32ELi4ELi4E24rocblas_internal_val_ptrIfEPKfPfEvbiT2_lT3_lllS6_lllT4_llli
	.p2align	8
	.type	_ZL54rocblas_symv_kernel_lower_double_buffered_non_diagonalILi32ELi4ELi4E24rocblas_internal_val_ptrIfEPKfPfEvbiT2_lT3_lllS6_lllT4_llli,@function
_ZL54rocblas_symv_kernel_lower_double_buffered_non_diagonalILi32ELi4ELi4E24rocblas_internal_val_ptrIfEPKfPfEvbiT2_lT3_lllS6_lllT4_llli: ; @_ZL54rocblas_symv_kernel_lower_double_buffered_non_diagonalILi32ELi4ELi4E24rocblas_internal_val_ptrIfEPKfPfEvbiT2_lT3_lllS6_lllT4_llli
; %bb.0:
	s_load_dword s0, s[4:5], 0x0
	s_load_dwordx16 s[12:27], s[4:5], 0x8
	s_waitcnt lgkmcnt(0)
	s_bitcmp0_b32 s0, 0
	s_cbranch_scc0 .LBB78_2
; %bb.1:
	s_mul_i32 s0, s8, s15
	s_mul_hi_u32 s1, s8, s14
	s_add_i32 s1, s1, s0
	s_mul_i32 s0, s8, s14
	s_lshl_b64 s[0:1], s[0:1], 2
	s_add_u32 s0, s12, s0
	s_addc_u32 s1, s13, s1
	s_load_dword s33, s[0:1], 0x0
	s_cbranch_execz .LBB78_3
	s_branch .LBB78_4
.LBB78_2:
                                        ; implicit-def: $sgpr33
.LBB78_3:
	s_waitcnt lgkmcnt(0)
	s_mov_b32 s33, s12
.LBB78_4:
	s_waitcnt lgkmcnt(0)
	v_cmp_eq_f32_e64 s[0:1], s33, 0
	s_and_b64 vcc, exec, s[0:1]
	s_cbranch_vccnz .LBB78_24
; %bb.5:
	s_load_dwordx2 s[2:3], s[4:5], 0x80
	s_waitcnt lgkmcnt(0)
	v_cvt_f32_u32_e32 v1, s3
	s_add_i32 s0, s2, -1
	s_cmp_eq_u32 s6, s0
	v_rcp_iflag_f32_e32 v1, v1
	v_mul_f32_e32 v1, 0x4f7ffffe, v1
	v_cvt_u32_f32_e32 v1, v1
	v_readfirstlane_b32 s0, v1
	s_cbranch_scc1 .LBB78_24
; %bb.6:
	s_not_b32 s1, s6
	s_load_dwordx4 s[28:31], s[4:5], 0x48
	s_add_i32 s2, s2, s1
	s_sub_i32 s1, 0, s3
	s_mul_i32 s1, s1, s0
	s_mul_hi_u32 s1, s0, s1
	s_add_i32 s0, s0, s1
	s_mul_hi_u32 s12, s2, s0
	s_waitcnt lgkmcnt(0)
	s_mul_i32 s0, s8, s31
	s_mul_hi_u32 s1, s8, s30
	s_add_i32 s1, s1, s0
	s_mul_i32 s0, s8, s30
	s_lshl_b64 s[0:1], s[0:1], 2
	s_add_u32 s9, s24, s0
	s_addc_u32 s10, s25, s1
	s_lshl_b64 s[0:1], s[26:27], 2
	s_add_u32 s9, s9, s0
	s_addc_u32 s10, s10, s1
	s_lshl_b32 s26, s6, 5
	s_ashr_i32 s27, s26, 31
	s_mul_i32 s0, s26, s29
	s_mul_hi_u32 s1, s26, s28
	s_add_i32 s0, s1, s0
	s_mul_i32 s1, s27, s28
	s_add_i32 s1, s0, s1
	s_mul_i32 s0, s26, s28
	s_lshl_b64 s[0:1], s[0:1], 2
	v_and_b32_e32 v24, 0x3ff, v0
	v_bfe_u32 v0, v0, 10, 10
	s_add_u32 s6, s9, s0
	s_addc_u32 s9, s10, s1
	v_cmp_eq_u32_e32 vcc, 0, v0
	s_and_saveexec_b64 s[10:11], vcc
	s_cbranch_execz .LBB78_8
; %bb.7:
	v_mad_u64_u32 v[2:3], s[0:1], v24, s28, 0
	v_mov_b32_e32 v4, v3
	v_mad_u64_u32 v[4:5], s[0:1], v24, s29, v[4:5]
	v_mov_b32_e32 v3, v4
	v_lshlrev_b64 v[2:3], 2, v[2:3]
	v_mov_b32_e32 v1, s9
	v_add_co_u32_e64 v2, s[0:1], s6, v2
	v_addc_co_u32_e64 v3, s[0:1], v1, v3, s[0:1]
	global_load_dword v1, v[2:3], off
	v_lshlrev_b32_e32 v2, 2, v24
	s_waitcnt vmcnt(0)
	ds_write_b32 v2, v1 offset:3072
.LBB78_8:
	s_or_b64 exec, exec, s[10:11]
	s_mul_i32 s0, s12, s3
	s_sub_i32 s0, s2, s0
	s_add_i32 s1, s12, 1
	s_sub_i32 s10, s0, s3
	s_cmp_ge_u32 s0, s3
	s_cselect_b32 s1, s1, s12
	s_cselect_b32 s0, s10, s0
	s_add_i32 s10, s1, 1
	s_cmp_ge_u32 s0, s3
	s_cselect_b32 s0, s10, s1
	s_add_i32 s1, s3, -1
	s_cmp_lg_u32 s7, s1
	s_mov_b32 s24, s0
	s_cbranch_scc1 .LBB78_10
; %bb.9:
	s_mul_i32 s1, s0, s3
	s_sub_i32 s1, s2, s1
	s_add_i32 s24, s1, s0
.LBB78_10:
	s_cmp_eq_u32 s24, 0
	s_cbranch_scc1 .LBB78_24
; %bb.11:
	s_load_dwordx2 s[2:3], s[4:5], 0x70
	s_load_dwordx2 s[10:11], s[4:5], 0x58
	s_load_dwordx4 s[12:15], s[4:5], 0x60
	v_lshl_add_u32 v0, v0, 5, v24
	v_and_b32_e32 v4, 15, v24
	s_waitcnt lgkmcnt(0)
	s_mul_i32 s1, s8, s3
	s_mul_hi_u32 s3, s8, s2
	s_mul_i32 s2, s8, s2
	s_add_i32 s3, s3, s1
	s_lshl_b64 s[2:3], s[2:3], 2
	s_add_u32 s1, s10, s2
	s_addc_u32 s4, s11, s3
	s_lshl_b64 s[2:3], s[12:13], 2
	s_add_u32 s1, s1, s2
	s_addc_u32 s4, s4, s3
	s_mul_i32 s2, s26, s15
	s_mul_hi_u32 s3, s26, s14
	s_add_i32 s2, s3, s2
	s_mul_i32 s3, s27, s14
	s_add_i32 s3, s2, s3
	s_mul_i32 s2, s26, s14
	s_lshl_b64 s[2:3], s[2:3], 2
	s_add_u32 s12, s1, s2
	s_addc_u32 s13, s4, s3
	v_lshrrev_b32_e32 v25, 4, v0
	s_mov_b32 s25, 0
	s_cmp_lt_i32 s24, 1
	v_mov_b32_e32 v28, 0
	v_lshlrev_b32_e32 v26, 2, v4
	v_mov_b32_e32 v30, 0
	v_mov_b32_e32 v32, 0
	;; [unrolled: 1-line block ×3, first 2 shown]
	s_barrier
	s_cbranch_scc1 .LBB78_21
; %bb.12:
	v_lshlrev_b32_e32 v3, 2, v25
	v_mov_b32_e32 v5, 0
	v_mad_u64_u32 v[0:1], s[2:3], v3, s20, v[4:5]
	v_mov_b32_e32 v2, v1
	s_mul_i32 s7, s7, s0
	v_mad_u64_u32 v[2:3], s[2:3], v3, s21, v[2:3]
	s_lshl_b32 s0, s7, 5
	s_ashr_i32 s1, s0, 31
	s_mul_i32 s2, s0, s15
	s_mul_hi_u32 s3, s0, s14
	s_add_i32 s2, s3, s2
	s_mul_i32 s3, s1, s14
	s_add_i32 s3, s2, s3
	s_mul_i32 s2, s0, s14
	s_lshl_b64 s[10:11], s[28:29], 7
	s_lshl_b64 s[2:3], s[2:3], 2
	s_add_u32 s2, s12, s2
	s_mul_i32 s4, s8, s23
	s_mul_hi_u32 s5, s8, s22
	s_addc_u32 s3, s13, s3
	s_add_i32 s5, s5, s4
	s_mul_i32 s4, s8, s22
	s_lshl_b64 s[4:5], s[4:5], 2
	s_add_u32 s7, s16, s4
	s_addc_u32 s8, s17, s5
	s_lshl_b64 s[4:5], s[18:19], 2
	s_add_u32 s7, s7, s4
	s_addc_u32 s8, s8, s5
	s_add_u32 s4, s20, 1
	s_addc_u32 s5, s21, 0
	s_mul_i32 s16, s4, s27
	s_mul_hi_u32 s17, s4, s26
	s_add_i32 s16, s17, s16
	s_mul_i32 s5, s5, s26
	s_add_i32 s5, s16, s5
	s_mul_i32 s4, s4, s26
	s_lshl_b64 s[4:5], s[4:5], 2
	s_add_u32 s7, s7, s4
	s_addc_u32 s8, s8, s5
	s_lshl_b64 s[4:5], s[0:1], 2
	s_add_u32 s4, s7, s4
	s_addc_u32 s5, s8, s5
	s_mul_i32 s7, s0, s29
	s_mul_hi_u32 s8, s0, s28
	s_add_i32 s7, s8, s7
	s_mul_i32 s1, s1, s28
	s_add_i32 s1, s7, s1
	s_mul_i32 s0, s0, s28
	s_lshl_b64 s[0:1], s[0:1], 2
	v_mov_b32_e32 v1, v2
	s_add_u32 s16, s6, s0
	s_addc_u32 s17, s9, s1
	v_lshlrev_b64 v[6:7], 2, v[0:1]
	s_add_u32 s18, s4, 0x80
	v_mov_b32_e32 v1, s5
	v_add_co_u32_e64 v0, s[0:1], s4, v6
	s_addc_u32 s19, s5, 0
	v_addc_co_u32_e64 v1, s[0:1], v1, v7, s[0:1]
	s_lshl_b64 s[6:7], s[20:21], 2
	global_load_dword v31, v[0:1], off offset:128
	v_mov_b32_e32 v27, s7
	v_add_co_u32_e64 v0, s[0:1], s6, v0
	v_addc_co_u32_e64 v1, s[0:1], v1, v27, s[0:1]
	global_load_dword v34, v[0:1], off offset:128
	v_add_co_u32_e64 v0, s[0:1], s6, v0
	v_addc_co_u32_e64 v1, s[0:1], v1, v27, s[0:1]
	global_load_dword v36, v[0:1], off offset:128
	;; [unrolled: 3-line block ×3, first 2 shown]
	v_mad_u64_u32 v[0:1], s[0:1], v4, s28, 0
	v_mov_b32_e32 v2, v1
	v_mad_u64_u32 v[2:3], s[0:1], v4, s29, v[2:3]
	v_or_b32_e32 v9, 16, v4
	v_mov_b32_e32 v1, v2
	v_mad_u64_u32 v[2:3], s[0:1], v9, s28, 0
	v_mov_b32_e32 v8, v3
	v_mad_u64_u32 v[8:9], s[0:1], v9, s29, v[8:9]
	v_mov_b32_e32 v3, v8
	v_lshl_or_b32 v8, v25, 7, v26
	v_mad_u64_u32 v[14:15], s[0:1], v24, s14, 0
	v_add_u32_e32 v29, 0x800, v8
	v_mov_b32_e32 v8, v15
	v_mad_u64_u32 v[8:9], s[0:1], v24, s15, v[8:9]
	v_mov_b32_e32 v15, v8
	v_mov_b32_e32 v8, 0xc00
	v_lshl_add_u32 v33, v25, 4, v8
	v_mov_b32_e32 v8, 0x800
	s_add_i32 s20, s24, -1
	s_lshl_b64 s[8:9], s[14:15], 7
	v_lshl_add_u32 v35, v24, 2, v8
	v_pk_mov_b32 v[8:9], s[2:3], s[2:3] op_sel:[0,1]
	v_lshlrev_b64 v[10:11], 2, v[0:1]
	v_lshlrev_b64 v[12:13], 2, v[2:3]
	;; [unrolled: 1-line block ×3, first 2 shown]
	v_mov_b32_e32 v32, v5
	v_mov_b32_e32 v30, v5
	;; [unrolled: 1-line block ×3, first 2 shown]
	s_waitcnt vmcnt(3)
	v_mov_b32_e32 v38, v31
	s_waitcnt vmcnt(2)
	v_mov_b32_e32 v39, v34
	;; [unrolled: 2-line block ×4, first 2 shown]
.LBB78_13:                              ; =>This Loop Header: Depth=1
                                        ;     Child Loop BB78_17 Depth 2
	s_add_u32 s16, s16, s10
	s_addc_u32 s17, s17, s11
	v_mov_b32_e32 v1, s17
	v_add_co_u32_e64 v0, s[0:1], s16, v10
	v_addc_co_u32_e64 v1, s[0:1], v1, v11, s[0:1]
	v_mov_b32_e32 v3, s17
	v_add_co_u32_e64 v2, s[0:1], s16, v12
	v_addc_co_u32_e64 v3, s[0:1], v3, v13, s[0:1]
	global_load_dword v43, v[0:1], off
	global_load_dword v42, v[2:3], off
	v_mov_b32_e32 v0, s19
	v_add_co_u32_e64 v16, s[0:1], s18, v6
	v_addc_co_u32_e64 v17, s[0:1], v0, v7, s[0:1]
	v_add_co_u32_e64 v18, s[0:1], s6, v16
	v_addc_co_u32_e64 v19, s[0:1], v17, v27, s[0:1]
	;; [unrolled: 2-line block ×3, first 2 shown]
	v_add_co_u32_e64 v22, s[2:3], s6, v20
	global_load_dword v44, v[16:17], off offset:64
	global_load_dword v45, v[18:19], off offset:64
	v_addc_co_u32_e64 v23, s[4:5], v21, v27, s[2:3]
	global_load_dword v46, v[20:21], off offset:64
	global_load_dword v47, v[22:23], off offset:64
	ds_read_b128 v[0:3], v33
	s_cmp_eq_u32 s25, s20
	s_cbranch_scc1 .LBB78_15
; %bb.14:                               ;   in Loop: Header=BB78_13 Depth=1
	v_mov_b32_e32 v23, s7
	v_addc_co_u32_e64 v21, s[0:1], v19, v23, s[0:1]
	v_addc_co_u32_e64 v23, s[0:1], v21, v23, s[2:3]
	global_load_dword v38, v[16:17], off offset:128
	global_load_dword v39, v[18:19], off offset:128
	global_load_dword v40, v[20:21], off offset:128
	global_load_dword v41, v[22:23], off offset:128
.LBB78_15:                              ;   in Loop: Header=BB78_13 Depth=1
	s_waitcnt lgkmcnt(0)
	v_fma_f32 v16, v31, v0, 0
	s_waitcnt vmcnt(3)
	v_fma_f32 v0, v44, v0, 0
	v_fmac_f32_e32 v16, v34, v1
	s_waitcnt vmcnt(2)
	v_fmac_f32_e32 v0, v45, v1
	v_fmac_f32_e32 v16, v36, v2
	s_waitcnt vmcnt(1)
	v_fmac_f32_e32 v0, v46, v2
	;; [unrolled: 3-line block ×3, first 2 shown]
	s_barrier
	ds_write2_b32 v29, v16, v0 offset1:16
	s_waitcnt lgkmcnt(0)
	s_barrier
	s_and_saveexec_b64 s[2:3], vcc
	s_cbranch_execz .LBB78_19
; %bb.16:                               ;   in Loop: Header=BB78_13 Depth=1
	v_mov_b32_e32 v0, s9
	v_add_co_u32_e64 v8, s[0:1], s8, v8
	v_addc_co_u32_e64 v9, s[0:1], v9, v0, s[0:1]
	v_add_co_u32_e64 v0, s[0:1], v8, v14
	v_addc_co_u32_e64 v1, s[0:1], v9, v15, s[0:1]
	global_load_dword v3, v[0:1], off
	ds_read2_b32 v[16:17], v35 offset1:32
	ds_read2_b32 v[18:19], v35 offset0:64 offset1:96
	ds_read2_b32 v[20:21], v35 offset0:128 offset1:160
	s_mov_b64 s[4:5], 0
	s_waitcnt lgkmcnt(2)
	v_add_f32_e32 v2, 0, v16
	v_add_f32_e32 v2, v2, v17
	ds_read2_b32 v[16:17], v35 offset0:192 offset1:224
	s_waitcnt lgkmcnt(2)
	v_add_f32_e32 v2, v2, v18
	v_add_f32_e32 v2, v2, v19
	s_waitcnt lgkmcnt(1)
	v_add_f32_e32 v2, v2, v20
	v_add_f32_e32 v2, v2, v21
	;; [unrolled: 3-line block ×3, first 2 shown]
	v_mul_f32_e32 v16, s33, v2
.LBB78_17:                              ;   Parent Loop BB78_13 Depth=1
                                        ; =>  This Inner Loop Header: Depth=2
	s_waitcnt vmcnt(0)
	v_add_f32_e32 v2, v3, v16
	global_atomic_cmpswap v2, v[0:1], v[2:3], off glc
	s_waitcnt vmcnt(0)
	v_cmp_eq_u32_e64 s[0:1], v2, v3
	s_or_b64 s[4:5], s[0:1], s[4:5]
	v_mov_b32_e32 v3, v2
	s_andn2_b64 exec, exec, s[4:5]
	s_cbranch_execnz .LBB78_17
; %bb.18:                               ;   in Loop: Header=BB78_13 Depth=1
	s_or_b64 exec, exec, s[4:5]
.LBB78_19:                              ;   in Loop: Header=BB78_13 Depth=1
	s_or_b64 exec, exec, s[2:3]
	s_add_u32 s18, s18, 0x80
	v_fmac_f32_e32 v5, v43, v31
	v_fmac_f32_e32 v32, v43, v34
	;; [unrolled: 1-line block ×4, first 2 shown]
	s_addc_u32 s19, s19, 0
	s_add_i32 s25, s25, 1
	v_fmac_f32_e32 v5, v42, v44
	v_fmac_f32_e32 v32, v42, v45
	;; [unrolled: 1-line block ×4, first 2 shown]
	s_cmp_eq_u32 s25, s24
	s_cbranch_scc1 .LBB78_21
; %bb.20:                               ;   in Loop: Header=BB78_13 Depth=1
	v_mov_b32_e32 v31, v38
	v_mov_b32_e32 v34, v39
	;; [unrolled: 1-line block ×4, first 2 shown]
	s_branch .LBB78_13
.LBB78_21:
	v_lshl_or_b32 v0, v25, 8, v26
	ds_write2_b32 v0, v5, v32 offset1:16
	ds_write2_b32 v0, v30, v28 offset0:32 offset1:48
	s_waitcnt lgkmcnt(0)
	s_barrier
	s_and_saveexec_b64 s[0:1], vcc
	s_cbranch_execz .LBB78_24
; %bb.22:
	v_mad_u64_u32 v[0:1], s[0:1], v24, s14, 0
	v_mov_b32_e32 v2, v1
	v_mad_u64_u32 v[2:3], s[0:1], v24, s15, v[2:3]
	v_mov_b32_e32 v1, v2
	v_lshlrev_b64 v[0:1], 2, v[0:1]
	v_mov_b32_e32 v2, s13
	v_add_co_u32_e32 v0, vcc, s12, v0
	v_addc_co_u32_e32 v1, vcc, v2, v1, vcc
	global_load_dword v3, v[0:1], off
	v_lshlrev_b32_e32 v5, 4, v24
	v_add_u32_e32 v6, 1, v24
	v_add_u32_e32 v7, 2, v24
	;; [unrolled: 1-line block ×7, first 2 shown]
	v_or_b32_e32 v4, v4, v5
	v_and_or_b32 v6, v6, 15, v5
	v_and_or_b32 v7, v7, 15, v5
	;; [unrolled: 1-line block ×7, first 2 shown]
	v_lshlrev_b32_e32 v2, 2, v4
	v_lshlrev_b32_e32 v6, 2, v6
	;; [unrolled: 1-line block ×8, first 2 shown]
	ds_read_b32 v2, v2
	ds_read_b32 v6, v6
	;; [unrolled: 1-line block ×8, first 2 shown]
	s_waitcnt lgkmcnt(7)
	v_add_f32_e32 v2, 0, v2
	s_waitcnt lgkmcnt(6)
	v_add_f32_e32 v2, v2, v6
	;; [unrolled: 2-line block ×8, first 2 shown]
	v_add_u32_e32 v6, 9, v24
	v_add_u32_e32 v7, 10, v24
	;; [unrolled: 1-line block ×6, first 2 shown]
	v_add_u32_e32 v12, -1, v24
	v_xor_b32_e32 v4, 8, v4
	v_and_or_b32 v6, v6, 15, v5
	v_and_or_b32 v7, v7, 15, v5
	v_and_or_b32 v8, v8, 15, v5
	v_and_or_b32 v9, v9, 15, v5
	v_and_or_b32 v10, v10, 15, v5
	v_and_or_b32 v11, v11, 15, v5
	v_and_or_b32 v5, v12, 15, v5
	v_lshlrev_b32_e32 v4, 2, v4
	v_lshlrev_b32_e32 v6, 2, v6
	;; [unrolled: 1-line block ×8, first 2 shown]
	ds_read_b32 v4, v4
	ds_read_b32 v6, v6
	;; [unrolled: 1-line block ×8, first 2 shown]
	s_waitcnt lgkmcnt(7)
	v_add_f32_e32 v2, v2, v4
	s_waitcnt lgkmcnt(6)
	v_add_f32_e32 v2, v2, v6
	;; [unrolled: 2-line block ×8, first 2 shown]
	v_mul_f32_e32 v4, s33, v2
	s_mov_b64 s[0:1], 0
.LBB78_23:                              ; =>This Inner Loop Header: Depth=1
	s_waitcnt vmcnt(0)
	v_add_f32_e32 v2, v3, v4
	global_atomic_cmpswap v2, v[0:1], v[2:3], off glc
	s_waitcnt vmcnt(0)
	v_cmp_eq_u32_e32 vcc, v2, v3
	s_or_b64 s[0:1], vcc, s[0:1]
	v_mov_b32_e32 v3, v2
	s_andn2_b64 exec, exec, s[0:1]
	s_cbranch_execnz .LBB78_23
.LBB78_24:
	s_endpgm
	.section	.rodata,"a",@progbits
	.p2align	6, 0x0
	.amdhsa_kernel _ZL54rocblas_symv_kernel_lower_double_buffered_non_diagonalILi32ELi4ELi4E24rocblas_internal_val_ptrIfEPKfPfEvbiT2_lT3_lllS6_lllT4_llli
		.amdhsa_group_segment_fixed_size 3200
		.amdhsa_private_segment_fixed_size 0
		.amdhsa_kernarg_size 384
		.amdhsa_user_sgpr_count 6
		.amdhsa_user_sgpr_private_segment_buffer 1
		.amdhsa_user_sgpr_dispatch_ptr 0
		.amdhsa_user_sgpr_queue_ptr 0
		.amdhsa_user_sgpr_kernarg_segment_ptr 1
		.amdhsa_user_sgpr_dispatch_id 0
		.amdhsa_user_sgpr_flat_scratch_init 0
		.amdhsa_user_sgpr_kernarg_preload_length 0
		.amdhsa_user_sgpr_kernarg_preload_offset 0
		.amdhsa_user_sgpr_private_segment_size 0
		.amdhsa_uses_dynamic_stack 0
		.amdhsa_system_sgpr_private_segment_wavefront_offset 0
		.amdhsa_system_sgpr_workgroup_id_x 1
		.amdhsa_system_sgpr_workgroup_id_y 1
		.amdhsa_system_sgpr_workgroup_id_z 1
		.amdhsa_system_sgpr_workgroup_info 0
		.amdhsa_system_vgpr_workitem_id 1
		.amdhsa_next_free_vgpr 48
		.amdhsa_next_free_sgpr 34
		.amdhsa_accum_offset 48
		.amdhsa_reserve_vcc 1
		.amdhsa_reserve_flat_scratch 0
		.amdhsa_float_round_mode_32 0
		.amdhsa_float_round_mode_16_64 0
		.amdhsa_float_denorm_mode_32 3
		.amdhsa_float_denorm_mode_16_64 3
		.amdhsa_dx10_clamp 1
		.amdhsa_ieee_mode 1
		.amdhsa_fp16_overflow 0
		.amdhsa_tg_split 0
		.amdhsa_exception_fp_ieee_invalid_op 0
		.amdhsa_exception_fp_denorm_src 0
		.amdhsa_exception_fp_ieee_div_zero 0
		.amdhsa_exception_fp_ieee_overflow 0
		.amdhsa_exception_fp_ieee_underflow 0
		.amdhsa_exception_fp_ieee_inexact 0
		.amdhsa_exception_int_div_zero 0
	.end_amdhsa_kernel
	.section	.text._ZL54rocblas_symv_kernel_lower_double_buffered_non_diagonalILi32ELi4ELi4E24rocblas_internal_val_ptrIfEPKfPfEvbiT2_lT3_lllS6_lllT4_llli,"axG",@progbits,_ZL54rocblas_symv_kernel_lower_double_buffered_non_diagonalILi32ELi4ELi4E24rocblas_internal_val_ptrIfEPKfPfEvbiT2_lT3_lllS6_lllT4_llli,comdat
.Lfunc_end78:
	.size	_ZL54rocblas_symv_kernel_lower_double_buffered_non_diagonalILi32ELi4ELi4E24rocblas_internal_val_ptrIfEPKfPfEvbiT2_lT3_lllS6_lllT4_llli, .Lfunc_end78-_ZL54rocblas_symv_kernel_lower_double_buffered_non_diagonalILi32ELi4ELi4E24rocblas_internal_val_ptrIfEPKfPfEvbiT2_lT3_lllS6_lllT4_llli
                                        ; -- End function
	.section	.AMDGPU.csdata,"",@progbits
; Kernel info:
; codeLenInByte = 2388
; NumSgprs: 38
; NumVgprs: 48
; NumAgprs: 0
; TotalNumVgprs: 48
; ScratchSize: 0
; MemoryBound: 0
; FloatMode: 240
; IeeeMode: 1
; LDSByteSize: 3200 bytes/workgroup (compile time only)
; SGPRBlocks: 4
; VGPRBlocks: 5
; NumSGPRsForWavesPerEU: 38
; NumVGPRsForWavesPerEU: 48
; AccumOffset: 48
; Occupancy: 8
; WaveLimiterHint : 0
; COMPUTE_PGM_RSRC2:SCRATCH_EN: 0
; COMPUTE_PGM_RSRC2:USER_SGPR: 6
; COMPUTE_PGM_RSRC2:TRAP_HANDLER: 0
; COMPUTE_PGM_RSRC2:TGID_X_EN: 1
; COMPUTE_PGM_RSRC2:TGID_Y_EN: 1
; COMPUTE_PGM_RSRC2:TGID_Z_EN: 1
; COMPUTE_PGM_RSRC2:TIDIG_COMP_CNT: 1
; COMPUTE_PGM_RSRC3_GFX90A:ACCUM_OFFSET: 11
; COMPUTE_PGM_RSRC3_GFX90A:TG_SPLIT: 0
	.section	.text._ZL58rocblas_symv_kernel_lower_double_buffered_diagonal_genericILi32ELi4E24rocblas_internal_val_ptrIfEPKfPfEvbiT1_lT2_lllS6_lllS5_lT3_lllii,"axG",@progbits,_ZL58rocblas_symv_kernel_lower_double_buffered_diagonal_genericILi32ELi4E24rocblas_internal_val_ptrIfEPKfPfEvbiT1_lT2_lllS6_lllS5_lT3_lllii,comdat
	.globl	_ZL58rocblas_symv_kernel_lower_double_buffered_diagonal_genericILi32ELi4E24rocblas_internal_val_ptrIfEPKfPfEvbiT1_lT2_lllS6_lllS5_lT3_lllii ; -- Begin function _ZL58rocblas_symv_kernel_lower_double_buffered_diagonal_genericILi32ELi4E24rocblas_internal_val_ptrIfEPKfPfEvbiT1_lT2_lllS6_lllS5_lT3_lllii
	.p2align	8
	.type	_ZL58rocblas_symv_kernel_lower_double_buffered_diagonal_genericILi32ELi4E24rocblas_internal_val_ptrIfEPKfPfEvbiT1_lT2_lllS6_lllS5_lT3_lllii,@function
_ZL58rocblas_symv_kernel_lower_double_buffered_diagonal_genericILi32ELi4E24rocblas_internal_val_ptrIfEPKfPfEvbiT1_lT2_lllS6_lllS5_lT3_lllii: ; @_ZL58rocblas_symv_kernel_lower_double_buffered_diagonal_genericILi32ELi4E24rocblas_internal_val_ptrIfEPKfPfEvbiT1_lT2_lllS6_lllS5_lT3_lllii
; %bb.0:
	s_load_dword s0, s[4:5], 0x0
	s_load_dwordx16 s[8:23], s[4:5], 0x8
	s_mov_b64 s[2:3], -1
                                        ; implicit-def: $sgpr33
	s_waitcnt lgkmcnt(0)
	s_bitcmp1_b32 s0, 0
	s_cselect_b64 s[0:1], -1, 0
	s_xor_b64 s[0:1], s[0:1], -1
	s_and_b64 vcc, exec, s[0:1]
	s_cbranch_vccnz .LBB79_13
; %bb.1:
	s_load_dwordx8 s[24:31], s[4:5], 0x48
	s_andn2_b64 vcc, exec, s[2:3]
	s_cbranch_vccz .LBB79_14
.LBB79_2:
	s_andn2_b64 vcc, exec, s[0:1]
	s_cbranch_vccnz .LBB79_4
.LBB79_3:
	s_waitcnt lgkmcnt(0)
	s_mul_i32 s0, s7, s31
	s_mul_hi_u32 s1, s7, s30
	s_add_i32 s1, s1, s0
	s_mul_i32 s0, s7, s30
	s_lshl_b64 s[0:1], s[0:1], 2
	s_add_u32 s0, s28, s0
	s_addc_u32 s1, s29, s1
	s_load_dword s28, s[0:1], 0x0
.LBB79_4:
	s_waitcnt lgkmcnt(0)
	v_cmp_eq_f32_e64 s[0:1], s33, 0
	v_cmp_eq_f32_e64 s[2:3], s28, 1.0
	s_and_b64 s[0:1], s[0:1], s[2:3]
	s_and_b64 vcc, exec, s[0:1]
	s_cbranch_vccnz .LBB79_12
; %bb.5:
	s_load_dwordx2 s[0:1], s[4:5], 0x80
	s_load_dwordx2 s[2:3], s[4:5], 0x68
	s_load_dwordx4 s[8:11], s[4:5], 0x70
	s_load_dword s29, s[4:5], 0x88
	v_bfe_u32 v5, v0, 10, 10
	s_waitcnt lgkmcnt(0)
	s_mul_i32 s1, s7, s1
	s_mul_hi_u32 s30, s7, s0
	s_add_i32 s1, s30, s1
	s_mul_i32 s0, s7, s0
	s_lshl_b64 s[0:1], s[0:1], 2
	s_add_u32 s2, s2, s0
	s_addc_u32 s3, s3, s1
	s_lshl_b64 s[0:1], s[8:9], 2
	s_add_u32 s2, s2, s0
	s_addc_u32 s3, s3, s1
	s_lshl_b32 s34, s6, 5
	s_ashr_i32 s35, s34, 31
	s_mul_i32 s0, s34, s11
	s_mul_hi_u32 s1, s34, s10
	s_add_i32 s0, s1, s0
	s_mul_i32 s1, s35, s10
	s_add_i32 s1, s0, s1
	s_mul_i32 s0, s34, s10
	s_lshl_b64 s[0:1], s[0:1], 2
	s_add_u32 s30, s2, s0
	s_addc_u32 s31, s3, s1
	v_cmp_neq_f32_e64 s[0:1], s33, 0
	v_and_b32_e32 v4, 0x3ff, v0
	s_and_b64 vcc, exec, s[0:1]
	v_cmp_eq_u32_e64 s[0:1], 0, v5
	s_cbranch_vccnz .LBB79_15
; %bb.6:
	s_and_saveexec_b64 s[2:3], s[0:1]
	s_cbranch_execz .LBB79_11
; %bb.7:
	v_cmp_gt_i32_e64 s[0:1], s29, v4
	v_cmp_le_i32_e32 vcc, s29, v4
	s_and_saveexec_b64 s[8:9], vcc
	s_cbranch_execz .LBB79_9
; %bb.8:
	s_load_dword s36, s[4:5], 0x90
	s_waitcnt lgkmcnt(0)
	s_add_i32 s36, s36, -1
	s_cmp_lt_u32 s6, s36
	s_cselect_b64 s[36:37], -1, 0
	s_andn2_b64 s[0:1], s[0:1], exec
	s_and_b64 s[36:37], s[36:37], exec
	s_or_b64 s[0:1], s[0:1], s[36:37]
.LBB79_9:
	s_or_b64 exec, exec, s[8:9]
	s_and_b64 exec, exec, s[0:1]
	s_cbranch_execz .LBB79_11
; %bb.10:
	v_mad_u64_u32 v[0:1], s[0:1], v4, s10, 0
	v_mov_b32_e32 v2, v1
	v_mad_u64_u32 v[2:3], s[0:1], v4, s11, v[2:3]
	v_mov_b32_e32 v1, v2
	v_lshlrev_b64 v[0:1], 2, v[0:1]
	v_mov_b32_e32 v2, s31
	v_add_co_u32_e32 v0, vcc, s30, v0
	v_addc_co_u32_e32 v1, vcc, v2, v1, vcc
	global_load_dword v2, v[0:1], off
	s_waitcnt vmcnt(0)
	v_mul_f32_e32 v2, s28, v2
	global_store_dword v[0:1], v2, off
.LBB79_11:
	s_or_b64 exec, exec, s[2:3]
	s_cbranch_execz .LBB79_16
.LBB79_12:
	s_endpgm
.LBB79_13:
	s_mul_i32 s2, s7, s11
	s_mul_hi_u32 s3, s7, s10
	s_add_i32 s3, s3, s2
	s_mul_i32 s2, s7, s10
	s_lshl_b64 s[2:3], s[2:3], 2
	s_add_u32 s2, s8, s2
	s_addc_u32 s3, s9, s3
	s_load_dword s33, s[2:3], 0x0
	s_load_dwordx8 s[24:31], s[4:5], 0x48
	s_cbranch_execnz .LBB79_2
.LBB79_14:
	s_waitcnt lgkmcnt(0)
	s_mov_b32 s33, s8
	s_andn2_b64 vcc, exec, s[0:1]
	s_cbranch_vccz .LBB79_3
	s_branch .LBB79_4
.LBB79_15:
.LBB79_16:
	s_mul_i32 s0, s7, s27
	s_mul_hi_u32 s1, s7, s26
	s_add_i32 s1, s1, s0
	s_mul_i32 s0, s7, s26
	s_lshl_b64 s[0:1], s[0:1], 2
	s_add_u32 s2, s20, s0
	s_addc_u32 s3, s21, s1
	s_lshl_b64 s[0:1], s[22:23], 2
	s_add_u32 s2, s2, s0
	s_addc_u32 s3, s3, s1
	s_mul_i32 s0, s34, s25
	s_mul_hi_u32 s1, s34, s24
	s_load_dword s4, s[4:5], 0x90
	s_add_i32 s0, s1, s0
	s_mul_i32 s1, s35, s24
	s_add_i32 s1, s0, s1
	s_mul_i32 s0, s34, s24
	s_lshl_b64 s[0:1], s[0:1], 2
	s_add_u32 s20, s2, s0
	s_addc_u32 s21, s3, s1
	s_waitcnt lgkmcnt(0)
	s_add_i32 s4, s4, -1
	s_cmp_lg_u32 s6, s4
	s_cselect_b64 s[4:5], -1, 0
	v_mov_b32_e32 v6, 0
	v_cmp_eq_u32_e64 s[0:1], 0, v5
	s_and_b64 vcc, exec, s[4:5]
	s_cbranch_vccz .LBB79_21
; %bb.17:
	s_and_saveexec_b64 s[2:3], s[0:1]
	s_cbranch_execz .LBB79_20
; %bb.18:
	v_mad_u64_u32 v[0:1], s[8:9], v4, s24, 0
	v_mov_b32_e32 v2, v1
	v_mad_u64_u32 v[2:3], s[8:9], v4, s25, v[2:3]
	v_mov_b32_e32 v1, v2
	v_lshlrev_b64 v[0:1], 2, v[0:1]
	v_mov_b32_e32 v2, s21
	v_add_co_u32_e32 v0, vcc, s20, v0
	v_addc_co_u32_e32 v1, vcc, v2, v1, vcc
	global_load_dword v0, v[0:1], off
	v_cmp_eq_f32_e64 s[8:9], s28, 0
	v_lshlrev_b32_e32 v1, 2, v4
	v_mov_b32_e32 v6, 0
	s_and_b64 vcc, exec, s[8:9]
	s_waitcnt vmcnt(0)
	ds_write_b32 v1, v0 offset:5120
	s_cbranch_vccnz .LBB79_20
; %bb.19:
	v_mad_u64_u32 v[0:1], s[8:9], v4, s10, 0
	v_mov_b32_e32 v2, v1
	v_mad_u64_u32 v[2:3], s[8:9], v4, s11, v[2:3]
	v_mov_b32_e32 v1, v2
	v_lshlrev_b64 v[0:1], 2, v[0:1]
	v_mov_b32_e32 v2, s31
	v_add_co_u32_e32 v0, vcc, s30, v0
	v_addc_co_u32_e32 v1, vcc, v2, v1, vcc
	global_load_dword v0, v[0:1], off
	s_waitcnt vmcnt(0)
	v_mul_f32_e32 v6, s28, v0
.LBB79_20:
	s_or_b64 exec, exec, s[2:3]
	s_cbranch_execz .LBB79_22
	s_branch .LBB79_30
.LBB79_21:
                                        ; implicit-def: $vgpr6
.LBB79_22:
	v_mov_b32_e32 v6, 0
	s_and_saveexec_b64 s[2:3], s[0:1]
	s_cbranch_execz .LBB79_29
; %bb.23:
	v_cmp_le_i32_e32 vcc, s29, v4
                                        ; implicit-def: $sgpr6
	s_and_saveexec_b64 s[8:9], vcc
	s_xor_b64 s[8:9], exec, s[8:9]
	s_cbranch_execz .LBB79_25
; %bb.24:
	v_lshlrev_b32_e32 v0, 2, v4
	v_mov_b32_e32 v1, 0
	ds_write_b32 v0, v1 offset:5120
	s_mov_b32 s6, 0
.LBB79_25:
	s_or_saveexec_b64 s[8:9], s[8:9]
	v_mov_b32_e32 v6, s6
	s_xor_b64 exec, exec, s[8:9]
	s_cbranch_execz .LBB79_28
; %bb.26:
	v_mad_u64_u32 v[0:1], s[22:23], v4, s24, 0
	v_mov_b32_e32 v2, v1
	v_mad_u64_u32 v[2:3], s[22:23], v4, s25, v[2:3]
	v_mov_b32_e32 v1, v2
	v_lshlrev_b64 v[0:1], 2, v[0:1]
	v_mov_b32_e32 v2, s21
	v_add_co_u32_e32 v0, vcc, s20, v0
	v_addc_co_u32_e32 v1, vcc, v2, v1, vcc
	global_load_dword v0, v[0:1], off
	v_cmp_eq_f32_e64 s[20:21], s28, 0
	v_lshlrev_b32_e32 v1, 2, v4
	v_mov_b32_e32 v6, 0
	s_and_b64 vcc, exec, s[20:21]
	s_waitcnt vmcnt(0)
	ds_write_b32 v1, v0 offset:5120
	s_cbranch_vccnz .LBB79_28
; %bb.27:
	v_mad_u64_u32 v[0:1], s[20:21], v4, s10, 0
	v_mov_b32_e32 v2, v1
	v_mad_u64_u32 v[2:3], s[20:21], v4, s11, v[2:3]
	v_mov_b32_e32 v1, v2
	v_lshlrev_b64 v[0:1], 2, v[0:1]
	v_mov_b32_e32 v2, s31
	v_add_co_u32_e32 v0, vcc, s30, v0
	v_addc_co_u32_e32 v1, vcc, v2, v1, vcc
	global_load_dword v0, v[0:1], off
	s_waitcnt vmcnt(0)
	v_mul_f32_e32 v6, s28, v0
.LBB79_28:
	s_or_b64 exec, exec, s[8:9]
.LBB79_29:
	s_or_b64 exec, exec, s[2:3]
.LBB79_30:
	s_mul_i32 s2, s7, s19
	s_mul_hi_u32 s3, s7, s18
	s_add_i32 s3, s3, s2
	s_mul_i32 s2, s7, s18
	s_lshl_b64 s[18:19], s[2:3], 2
	s_add_u32 s2, s12, s18
	s_addc_u32 s3, s13, s19
	s_lshl_b64 s[8:9], s[14:15], 2
	s_add_u32 s6, s2, s8
	s_addc_u32 s7, s3, s9
	s_add_u32 s2, s16, 1
	s_addc_u32 s3, s17, 0
	s_mul_i32 s14, s2, s35
	s_mul_hi_u32 s15, s2, s34
	s_add_i32 s14, s15, s14
	s_mul_i32 s3, s3, s34
	s_add_i32 s3, s14, s3
	s_mul_i32 s2, s2, s34
	s_lshl_b64 s[14:15], s[2:3], 2
	v_mad_u64_u32 v[0:1], s[2:3], v5, s16, 0
	v_mov_b32_e32 v2, v1
	v_mad_u64_u32 v[2:3], s[2:3], v5, s17, v[2:3]
	s_add_u32 s6, s6, s14
	v_mov_b32_e32 v1, v2
	s_addc_u32 s7, s7, s15
	v_lshlrev_b64 v[0:1], 2, v[0:1]
	v_mov_b32_e32 v2, s7
	v_add_co_u32_e32 v0, vcc, s6, v0
	v_addc_co_u32_e32 v1, vcc, v2, v1, vcc
	v_lshlrev_b32_e32 v7, 2, v4
	v_add_co_u32_e32 v0, vcc, v0, v7
	v_addc_co_u32_e32 v1, vcc, 0, v1, vcc
	v_lshl_add_u32 v9, v5, 5, v4
	s_andn2_b64 vcc, exec, s[4:5]
	v_lshlrev_b32_e32 v8, 2, v9
	s_cbranch_vccnz .LBB79_32
; %bb.31:
	s_lshl_b64 s[2:3], s[16:17], 4
	v_mov_b32_e32 v10, s3
	v_add_co_u32_e32 v2, vcc, s2, v0
	v_addc_co_u32_e32 v3, vcc, v1, v10, vcc
	global_load_dword v16, v[0:1], off
	global_load_dword v17, v[2:3], off
	v_add_co_u32_e32 v2, vcc, s2, v2
	v_addc_co_u32_e32 v3, vcc, v3, v10, vcc
	v_mad_u64_u32 v[10:11], s[2:3], s16, 48, v[0:1]
	v_mov_b32_e32 v12, v11
	v_mad_u64_u32 v[12:13], s[2:3], s17, 48, v[12:13]
	s_lshl_b64 s[2:3], s[16:17], 5
	global_load_dword v18, v[2:3], off
	v_mov_b32_e32 v11, v12
	v_mov_b32_e32 v12, s3
	v_add_co_u32_e32 v2, vcc, s2, v2
	v_addc_co_u32_e32 v3, vcc, v3, v12, vcc
	v_mov_b32_e32 v12, 0x50
	v_mad_u64_u32 v[12:13], s[2:3], s16, v12, v[0:1]
	s_mul_i32 s2, s17, 0x50
	v_mov_b32_e32 v14, 0x60
	v_add_u32_e32 v13, s2, v13
	v_mad_u64_u32 v[14:15], s[2:3], s16, v14, v[0:1]
	s_mul_i32 s2, s17, 0x60
	v_add_u32_e32 v15, s2, v15
	global_load_dword v19, v[10:11], off
	global_load_dword v20, v[12:13], off
	;; [unrolled: 1-line block ×4, first 2 shown]
	v_mov_b32_e32 v2, 0x70
	s_mul_i32 s20, s17, 0x70
	v_mad_u64_u32 v[2:3], s[6:7], s16, v2, v[0:1]
	v_add_u32_e32 v10, 0x380, v9
	v_add_u32_e32 v3, s20, v3
	s_mov_b64 s[6:7], -1
	s_waitcnt vmcnt(5)
	ds_write2st64_b32 v8, v16, v17 offset1:2
	s_waitcnt vmcnt(3)
	ds_write2st64_b32 v8, v18, v19 offset0:4 offset1:6
	s_waitcnt vmcnt(1)
	ds_write_b32 v8, v21 offset:3072
	s_waitcnt vmcnt(0)
	ds_write2st64_b32 v8, v22, v20 offset0:8 offset1:10
	s_cbranch_execz .LBB79_33
	s_branch .LBB79_51
.LBB79_32:
	s_mov_b64 s[6:7], 0
                                        ; implicit-def: $vgpr2_vgpr3
                                        ; implicit-def: $vgpr10
.LBB79_33:
	v_mov_b32_e32 v2, 0
	v_cmp_gt_i32_e32 vcc, s29, v4
	ds_write2st64_b32 v8, v2, v2 offset1:2
	ds_write2st64_b32 v8, v2, v2 offset0:4 offset1:6
	ds_write2st64_b32 v8, v2, v2 offset0:8 offset1:10
	;; [unrolled: 1-line block ×3, first 2 shown]
                                        ; implicit-def: $vgpr2_vgpr3
                                        ; implicit-def: $vgpr10
	s_and_saveexec_b64 s[20:21], vcc
	s_cbranch_execz .LBB79_50
; %bb.34:
	s_cmp_lt_u32 s29, 4
	s_mov_b32 s24, 0
	s_cbranch_scc1 .LBB79_47
; %bb.35:
	s_lshr_b32 s24, s29, 2
	s_cmp_lt_u32 s29, 8
	s_cbranch_scc1 .LBB79_39
; %bb.36:
	s_add_i32 s25, s24, -2
	s_cmp_lt_u32 s25, 2
	s_cbranch_scc1 .LBB79_40
; %bb.37:
	s_lshr_b32 s2, s25, 1
	s_add_i32 s2, s2, 1
	s_mov_b32 s22, 1
	s_and_b32 s26, s2, -2
	s_mov_b32 s23, 0
.LBB79_38:                              ; =>This Inner Loop Header: Depth=1
	s_lshl_b32 s3, s23, 2
	s_lshl_b32 s2, s22, 2
	s_add_i32 s27, s22, 2
	s_add_i32 s40, s23, 2
	s_mul_i32 s35, s17, s2
	s_mul_hi_u32 s36, s16, s2
	s_mul_i32 s37, s17, s3
	s_mul_hi_u32 s38, s16, s3
	s_mul_i32 s2, s16, s2
	s_mul_i32 s34, s16, s3
	s_lshl_b32 s39, s40, 2
	s_lshl_b32 s41, s27, 2
	s_add_i32 s3, s36, s35
	s_add_i32 s35, s38, s37
	s_mul_i32 s37, s17, s41
	s_mul_hi_u32 s42, s16, s41
	s_mul_i32 s36, s16, s41
	s_mul_i32 s41, s17, s39
	s_mul_hi_u32 s43, s16, s39
	s_lshl_b64 s[34:35], s[34:35], 2
	s_lshl_b64 s[2:3], s[2:3], 2
	s_mul_i32 s38, s16, s39
	s_add_i32 s37, s42, s37
	s_add_i32 s39, s43, s41
	v_mov_b32_e32 v3, s35
	v_mov_b32_e32 v12, s3
	v_add_co_u32_e32 v2, vcc, s2, v0
	v_add_co_u32_e64 v10, s[2:3], s34, v0
	s_lshl_b64 s[38:39], s[38:39], 2
	s_lshl_b64 s[36:37], s[36:37], 2
	v_addc_co_u32_e64 v11, s[2:3], v1, v3, s[2:3]
	v_addc_co_u32_e32 v3, vcc, v1, v12, vcc
	v_mov_b32_e32 v13, s39
	v_mov_b32_e32 v16, s37
	v_add_co_u32_e32 v12, vcc, s36, v0
	v_add_co_u32_e64 v14, s[2:3], s38, v0
	v_addc_co_u32_e64 v15, s[2:3], v1, v13, s[2:3]
	v_addc_co_u32_e32 v13, vcc, v1, v16, vcc
	global_load_dword v16, v[10:11], off
	global_load_dword v17, v[2:3], off
	;; [unrolled: 1-line block ×4, first 2 shown]
	s_lshl_b32 s2, s22, 7
	s_lshl_b32 s3, s23, 7
	s_add_i32 s23, s23, 4
	s_add_i32 s22, s22, 4
	s_add_i32 s26, s26, -2
	v_add_lshl_u32 v2, s3, v9, 2
	v_add_lshl_u32 v3, s2, v9, 2
	s_lshl_b32 s2, s27, 7
	s_lshl_b32 s3, s40, 7
	s_cmp_lg_u32 s26, 0
	v_add_lshl_u32 v10, s3, v9, 2
	v_add_lshl_u32 v11, s2, v9, 2
	s_waitcnt vmcnt(3)
	ds_write_b32 v2, v16
	s_waitcnt vmcnt(2)
	ds_write_b32 v3, v17
	;; [unrolled: 2-line block ×4, first 2 shown]
	s_cbranch_scc1 .LBB79_38
	s_branch .LBB79_41
.LBB79_39:
	s_mov_b64 s[22:23], -1
	s_mov_b32 s2, 0
	s_branch .LBB79_44
.LBB79_40:
	s_mov_b32 s23, 0
	s_mov_b32 s22, 1
.LBB79_41:
	s_bitcmp1_b32 s25, 1
	s_cbranch_scc1 .LBB79_43
; %bb.42:
	s_lshl_b32 s2, s22, 2
	s_lshl_b32 s25, s23, 2
	s_mul_i32 s3, s17, s2
	s_mul_hi_u32 s26, s16, s2
	s_add_i32 s3, s26, s3
	s_mul_i32 s26, s17, s25
	s_mul_hi_u32 s27, s16, s25
	s_add_i32 s27, s27, s26
	s_mul_i32 s26, s16, s25
	s_lshl_b64 s[26:27], s[26:27], 2
	s_mul_i32 s2, s16, s2
	v_mov_b32_e32 v3, s27
	v_add_co_u32_e32 v2, vcc, s26, v0
	v_addc_co_u32_e32 v3, vcc, v1, v3, vcc
	s_lshl_b64 s[2:3], s[2:3], 2
	v_mov_b32_e32 v11, s3
	v_add_co_u32_e32 v10, vcc, s2, v0
	v_addc_co_u32_e32 v11, vcc, v1, v11, vcc
	global_load_dword v12, v[2:3], off
	global_load_dword v13, v[10:11], off
	s_lshl_b32 s3, s23, 7
	s_lshl_b32 s2, s22, 7
	v_add_lshl_u32 v2, s3, v9, 2
	v_add_lshl_u32 v3, s2, v9, 2
	s_waitcnt vmcnt(1)
	ds_write_b32 v2, v12
	s_waitcnt vmcnt(0)
	ds_write_b32 v3, v13
.LBB79_43:
	s_and_b32 s2, s24, 0x3ffffffe
	s_cmp_lg_u32 s24, s2
	s_cselect_b64 s[22:23], -1, 0
.LBB79_44:
	s_and_b64 vcc, exec, s[22:23]
	s_cbranch_vccz .LBB79_47
; %bb.45:
	s_lshl_b32 s3, s2, 9
	v_lshlrev_b32_e32 v2, 7, v5
	s_sub_i32 s22, s24, s2
	v_add3_u32 v10, s3, v2, v7
	s_add_u32 s14, s14, s18
	s_mov_b32 s3, 0
	s_addc_u32 s15, s15, s19
	s_lshl_b64 s[2:3], s[2:3], 4
	v_lshlrev_b32_e32 v2, 2, v5
	v_add_co_u32_e32 v11, vcc, s2, v2
	s_add_u32 s2, s8, s14
	v_mov_b32_e32 v3, s3
	s_addc_u32 s3, s9, s15
	v_addc_co_u32_e32 v12, vcc, 0, v3, vcc
	v_pk_mov_b32 v[2:3], s[2:3], s[2:3] op_sel:[0,1]
	v_mad_u64_u32 v[2:3], s[2:3], s16, v11, v[2:3]
	v_mul_lo_u32 v12, s16, v12
	v_mul_lo_u32 v11, s17, v11
	v_add3_u32 v3, v11, v3, v12
	v_add_co_u32_e32 v2, vcc, v2, v7
	v_addc_co_u32_e32 v3, vcc, 0, v3, vcc
	v_mov_b32_e32 v11, s13
	v_add_co_u32_e32 v2, vcc, s12, v2
	s_lshl_b64 s[2:3], s[16:17], 4
	v_addc_co_u32_e32 v3, vcc, v11, v3, vcc
	v_mov_b32_e32 v11, s3
.LBB79_46:                              ; =>This Inner Loop Header: Depth=1
	global_load_dword v12, v[2:3], off
	s_add_i32 s22, s22, -1
	v_add_co_u32_e32 v2, vcc, s2, v2
	v_addc_co_u32_e32 v3, vcc, v3, v11, vcc
	s_cmp_lg_u32 s22, 0
	s_waitcnt vmcnt(0)
	ds_write_b32 v10, v12
	v_add_u32_e32 v10, 0x200, v10
	s_cbranch_scc1 .LBB79_46
.LBB79_47:
	s_and_b32 s2, s29, 3
	v_cmp_gt_u32_e32 vcc, s2, v5
	s_mov_b64 s[8:9], s[6:7]
                                        ; implicit-def: $vgpr2_vgpr3
                                        ; implicit-def: $vgpr10
	s_and_saveexec_b64 s[2:3], vcc
; %bb.48:
	s_lshl_b32 s8, s24, 2
	s_mul_i32 s9, s8, s17
	s_mul_hi_u32 s12, s8, s16
	s_add_i32 s9, s12, s9
	s_mul_i32 s8, s8, s16
	s_lshl_b64 s[8:9], s[8:9], 2
	v_mov_b32_e32 v3, s9
	v_add_co_u32_e32 v2, vcc, s8, v0
	v_addc_co_u32_e32 v3, vcc, v1, v3, vcc
	v_lshl_add_u32 v10, s24, 7, v9
	s_or_b64 s[8:9], s[6:7], exec
; %bb.49:
	s_or_b64 exec, exec, s[2:3]
	s_andn2_b64 s[2:3], s[6:7], exec
	s_and_b64 s[6:7], s[8:9], exec
	s_or_b64 s[6:7], s[2:3], s[6:7]
.LBB79_50:
	s_or_b64 exec, exec, s[20:21]
.LBB79_51:
	s_and_saveexec_b64 s[2:3], s[6:7]
	s_cbranch_execz .LBB79_53
; %bb.52:
	global_load_dword v0, v[2:3], off
	v_lshlrev_b32_e32 v1, 2, v10
	s_waitcnt vmcnt(0)
	ds_write_b32 v1, v0
.LBB79_53:
	s_or_b64 exec, exec, s[2:3]
	v_cmp_ge_u32_e32 vcc, v4, v5
	v_lshlrev_b32_e32 v1, 5, v4
	s_waitcnt lgkmcnt(0)
	s_barrier
	s_and_saveexec_b64 s[2:3], vcc
	s_xor_b64 s[2:3], exec, s[2:3]
; %bb.54:
	v_lshlrev_b32_e32 v1, 5, v4
; %bb.55:
	s_andn2_saveexec_b64 s[2:3], s[2:3]
	s_cbranch_execz .LBB79_57
; %bb.56:
	v_add_lshl_u32 v0, v1, v5, 2
	ds_read_b32 v0, v0
	s_waitcnt lgkmcnt(0)
	ds_write_b32 v8, v0
.LBB79_57:
	s_or_b64 exec, exec, s[2:3]
	v_sub_u32_e32 v0, v4, v5
	v_sub_u32_e32 v2, 0, v0
	v_max_i32_e32 v3, v0, v2
	v_cmp_gt_u32_e32 vcc, 4, v3
	v_lshlrev_b32_e32 v0, 5, v5
	v_add_lshl_u32 v2, v1, v5, 2
	s_and_saveexec_b64 s[2:3], vcc
	s_cbranch_execnz .LBB79_75
; %bb.58:
	s_or_b64 exec, exec, s[2:3]
	v_cmp_gt_u32_e32 vcc, 8, v3
	s_and_saveexec_b64 s[2:3], vcc
	s_cbranch_execnz .LBB79_76
.LBB79_59:
	s_or_b64 exec, exec, s[2:3]
	v_cmp_gt_u32_e32 vcc, 12, v3
	s_and_saveexec_b64 s[2:3], vcc
	s_cbranch_execz .LBB79_61
.LBB79_60:
	ds_read_b32 v1, v2 offset:48
	v_add_lshl_u32 v9, v0, v4, 2
	s_waitcnt lgkmcnt(0)
	ds_write_b32 v9, v1 offset:1536
.LBB79_61:
	s_or_b64 exec, exec, s[2:3]
	v_add_u32_e32 v1, 16, v5
	v_cmp_gt_u32_e32 vcc, 16, v3
	v_lshlrev_b32_e32 v1, 5, v1
	s_and_saveexec_b64 s[2:3], vcc
	s_cbranch_execnz .LBB79_77
; %bb.62:
	s_or_b64 exec, exec, s[2:3]
	v_cmp_gt_u32_e32 vcc, 20, v3
	s_and_saveexec_b64 s[2:3], vcc
	s_cbranch_execnz .LBB79_78
.LBB79_63:
	s_or_b64 exec, exec, s[2:3]
	v_cmp_gt_u32_e32 vcc, 24, v3
	s_and_saveexec_b64 s[2:3], vcc
	s_cbranch_execz .LBB79_65
.LBB79_64:
	ds_read_b32 v9, v2 offset:96
	s_waitcnt lgkmcnt(0)
	ds_write_b32 v8, v9 offset:3072
.LBB79_65:
	s_or_b64 exec, exec, s[2:3]
	v_cmp_lt_u32_e32 vcc, 27, v3
	v_add_u32_e32 v3, 28, v5
                                        ; implicit-def: $vgpr9
	s_and_saveexec_b64 s[2:3], vcc
	s_xor_b64 s[2:3], exec, s[2:3]
; %bb.66:
	v_add_u32_e32 v3, 28, v5
	v_lshl_add_u32 v9, v3, 5, v4
                                        ; implicit-def: $vgpr2
; %bb.67:
	s_andn2_saveexec_b64 s[2:3], s[2:3]
	s_cbranch_execz .LBB79_69
; %bb.68:
	ds_read_b32 v2, v2 offset:112
	v_lshl_add_u32 v9, v3, 5, v4
	v_lshlrev_b32_e32 v10, 2, v9
	s_waitcnt lgkmcnt(0)
	ds_write_b32 v10, v2
.LBB79_69:
	s_or_b64 exec, exec, s[2:3]
	v_lshlrev_b32_e32 v5, 2, v5
	s_waitcnt lgkmcnt(0)
	s_barrier
	ds_read_b32 v2, v8
	v_add_u32_e32 v16, 0x1400, v5
	ds_read2_b32 v[10:11], v16 offset1:4
	ds_read2_b32 v[12:13], v16 offset0:8 offset1:12
	v_add_lshl_u32 v17, v0, v4, 2
	ds_read2st64_b32 v[14:15], v17 offset0:2 offset1:4
	v_lshlrev_b32_e32 v0, 2, v9
	ds_read_b32 v9, v0
	v_lshlrev_b32_e32 v0, 2, v3
	s_waitcnt lgkmcnt(3)
	v_fma_f32 v10, v2, v10, 0
	ds_read2st64_b32 v[2:3], v17 offset0:6 offset1:10
	s_waitcnt lgkmcnt(2)
	v_fmac_f32_e32 v10, v14, v11
	v_add_lshl_u32 v11, v1, v4, 2
	ds_read_b32 v18, v0 offset:5120
	ds_read2_b32 v[0:1], v16 offset0:16 offset1:20
	ds_read_b32 v11, v11
	ds_read_b32 v14, v17 offset:3072
	ds_read_b32 v5, v5 offset:5216
	v_fmac_f32_e32 v10, v15, v12
	s_waitcnt lgkmcnt(5)
	v_fmac_f32_e32 v10, v2, v13
	s_waitcnt lgkmcnt(2)
	v_fmac_f32_e32 v10, v11, v0
	v_fmac_f32_e32 v10, v3, v1
	s_waitcnt lgkmcnt(0)
	v_fmac_f32_e32 v10, v14, v5
	v_fmac_f32_e32 v10, v9, v18
	ds_write_b32 v8, v10 offset:4096
	s_waitcnt lgkmcnt(0)
	s_barrier
	s_and_saveexec_b64 s[2:3], s[0:1]
	s_cbranch_execz .LBB79_12
; %bb.70:
	v_add_u32_e32 v2, 0x1000, v7
	ds_read2_b32 v[0:1], v2 offset1:32
	ds_read2_b32 v[2:3], v2 offset0:64 offset1:96
	v_cmp_neq_f32_e64 vcc, s28, 0
	s_mov_b64 s[0:1], -1
	s_waitcnt lgkmcnt(1)
	v_add_f32_e32 v0, 0, v0
	v_add_f32_e32 v0, v0, v1
	s_waitcnt lgkmcnt(0)
	v_add_f32_e32 v0, v0, v2
	v_add_f32_e32 v0, v0, v3
	v_mul_f32_e32 v1, s33, v0
	v_fmac_f32_e32 v6, s33, v0
	v_cndmask_b32_e32 v0, v1, v6, vcc
	s_and_b64 vcc, exec, s[4:5]
	s_cbranch_vccz .LBB79_72
; %bb.71:
	v_mad_u64_u32 v[2:3], s[0:1], v4, s10, 0
	v_mov_b32_e32 v6, v3
	v_mad_u64_u32 v[6:7], s[0:1], v4, s11, v[6:7]
	v_mov_b32_e32 v3, v6
	v_lshlrev_b64 v[2:3], 2, v[2:3]
	v_mov_b32_e32 v1, s31
	v_add_co_u32_e32 v2, vcc, s30, v2
	v_addc_co_u32_e32 v3, vcc, v1, v3, vcc
	global_store_dword v[2:3], v0, off
	s_mov_b64 s[0:1], 0
.LBB79_72:
	s_andn2_b64 vcc, exec, s[0:1]
	s_cbranch_vccnz .LBB79_12
; %bb.73:
	v_cmp_gt_i32_e32 vcc, s29, v4
	s_and_b64 exec, exec, vcc
	s_cbranch_execz .LBB79_12
; %bb.74:
	v_mad_u64_u32 v[2:3], s[0:1], v4, s10, 0
	v_mov_b32_e32 v6, v3
	v_mad_u64_u32 v[4:5], s[0:1], v4, s11, v[6:7]
	v_mov_b32_e32 v3, v4
	v_lshlrev_b64 v[2:3], 2, v[2:3]
	v_mov_b32_e32 v1, s31
	v_add_co_u32_e32 v2, vcc, s30, v2
	v_addc_co_u32_e32 v3, vcc, v1, v3, vcc
	global_store_dword v[2:3], v0, off
	s_endpgm
.LBB79_75:
	ds_read_b32 v1, v2 offset:16
	v_add_lshl_u32 v9, v0, v4, 2
	s_waitcnt lgkmcnt(0)
	ds_write_b32 v9, v1 offset:512
	s_or_b64 exec, exec, s[2:3]
	v_cmp_gt_u32_e32 vcc, 8, v3
	s_and_saveexec_b64 s[2:3], vcc
	s_cbranch_execz .LBB79_59
.LBB79_76:
	ds_read_b32 v1, v2 offset:32
	v_add_lshl_u32 v9, v0, v4, 2
	s_waitcnt lgkmcnt(0)
	ds_write_b32 v9, v1 offset:1024
	s_or_b64 exec, exec, s[2:3]
	v_cmp_gt_u32_e32 vcc, 12, v3
	s_and_saveexec_b64 s[2:3], vcc
	s_cbranch_execnz .LBB79_60
	s_branch .LBB79_61
.LBB79_77:
	ds_read_b32 v9, v2 offset:64
	v_add_lshl_u32 v10, v1, v4, 2
	s_waitcnt lgkmcnt(0)
	ds_write_b32 v10, v9
	s_or_b64 exec, exec, s[2:3]
	v_cmp_gt_u32_e32 vcc, 20, v3
	s_and_saveexec_b64 s[2:3], vcc
	s_cbranch_execz .LBB79_63
.LBB79_78:
	ds_read_b32 v9, v2 offset:80
	s_waitcnt lgkmcnt(0)
	ds_write_b32 v8, v9 offset:2560
	s_or_b64 exec, exec, s[2:3]
	v_cmp_gt_u32_e32 vcc, 24, v3
	s_and_saveexec_b64 s[2:3], vcc
	s_cbranch_execnz .LBB79_64
	s_branch .LBB79_65
	.section	.rodata,"a",@progbits
	.p2align	6, 0x0
	.amdhsa_kernel _ZL58rocblas_symv_kernel_lower_double_buffered_diagonal_genericILi32ELi4E24rocblas_internal_val_ptrIfEPKfPfEvbiT1_lT2_lllS6_lllS5_lT3_lllii
		.amdhsa_group_segment_fixed_size 5248
		.amdhsa_private_segment_fixed_size 0
		.amdhsa_kernarg_size 400
		.amdhsa_user_sgpr_count 6
		.amdhsa_user_sgpr_private_segment_buffer 1
		.amdhsa_user_sgpr_dispatch_ptr 0
		.amdhsa_user_sgpr_queue_ptr 0
		.amdhsa_user_sgpr_kernarg_segment_ptr 1
		.amdhsa_user_sgpr_dispatch_id 0
		.amdhsa_user_sgpr_flat_scratch_init 0
		.amdhsa_user_sgpr_kernarg_preload_length 0
		.amdhsa_user_sgpr_kernarg_preload_offset 0
		.amdhsa_user_sgpr_private_segment_size 0
		.amdhsa_uses_dynamic_stack 0
		.amdhsa_system_sgpr_private_segment_wavefront_offset 0
		.amdhsa_system_sgpr_workgroup_id_x 1
		.amdhsa_system_sgpr_workgroup_id_y 0
		.amdhsa_system_sgpr_workgroup_id_z 1
		.amdhsa_system_sgpr_workgroup_info 0
		.amdhsa_system_vgpr_workitem_id 1
		.amdhsa_next_free_vgpr 23
		.amdhsa_next_free_sgpr 44
		.amdhsa_accum_offset 24
		.amdhsa_reserve_vcc 1
		.amdhsa_reserve_flat_scratch 0
		.amdhsa_float_round_mode_32 0
		.amdhsa_float_round_mode_16_64 0
		.amdhsa_float_denorm_mode_32 3
		.amdhsa_float_denorm_mode_16_64 3
		.amdhsa_dx10_clamp 1
		.amdhsa_ieee_mode 1
		.amdhsa_fp16_overflow 0
		.amdhsa_tg_split 0
		.amdhsa_exception_fp_ieee_invalid_op 0
		.amdhsa_exception_fp_denorm_src 0
		.amdhsa_exception_fp_ieee_div_zero 0
		.amdhsa_exception_fp_ieee_overflow 0
		.amdhsa_exception_fp_ieee_underflow 0
		.amdhsa_exception_fp_ieee_inexact 0
		.amdhsa_exception_int_div_zero 0
	.end_amdhsa_kernel
	.section	.text._ZL58rocblas_symv_kernel_lower_double_buffered_diagonal_genericILi32ELi4E24rocblas_internal_val_ptrIfEPKfPfEvbiT1_lT2_lllS6_lllS5_lT3_lllii,"axG",@progbits,_ZL58rocblas_symv_kernel_lower_double_buffered_diagonal_genericILi32ELi4E24rocblas_internal_val_ptrIfEPKfPfEvbiT1_lT2_lllS6_lllS5_lT3_lllii,comdat
.Lfunc_end79:
	.size	_ZL58rocblas_symv_kernel_lower_double_buffered_diagonal_genericILi32ELi4E24rocblas_internal_val_ptrIfEPKfPfEvbiT1_lT2_lllS6_lllS5_lT3_lllii, .Lfunc_end79-_ZL58rocblas_symv_kernel_lower_double_buffered_diagonal_genericILi32ELi4E24rocblas_internal_val_ptrIfEPKfPfEvbiT1_lT2_lllS6_lllS5_lT3_lllii
                                        ; -- End function
	.section	.AMDGPU.csdata,"",@progbits
; Kernel info:
; codeLenInByte = 3292
; NumSgprs: 48
; NumVgprs: 23
; NumAgprs: 0
; TotalNumVgprs: 23
; ScratchSize: 0
; MemoryBound: 0
; FloatMode: 240
; IeeeMode: 1
; LDSByteSize: 5248 bytes/workgroup (compile time only)
; SGPRBlocks: 5
; VGPRBlocks: 2
; NumSGPRsForWavesPerEU: 48
; NumVGPRsForWavesPerEU: 23
; AccumOffset: 24
; Occupancy: 6
; WaveLimiterHint : 0
; COMPUTE_PGM_RSRC2:SCRATCH_EN: 0
; COMPUTE_PGM_RSRC2:USER_SGPR: 6
; COMPUTE_PGM_RSRC2:TRAP_HANDLER: 0
; COMPUTE_PGM_RSRC2:TGID_X_EN: 1
; COMPUTE_PGM_RSRC2:TGID_Y_EN: 0
; COMPUTE_PGM_RSRC2:TGID_Z_EN: 1
; COMPUTE_PGM_RSRC2:TIDIG_COMP_CNT: 1
; COMPUTE_PGM_RSRC3_GFX90A:ACCUM_OFFSET: 5
; COMPUTE_PGM_RSRC3_GFX90A:TG_SPLIT: 0
	.section	.text._ZL62rocblas_symv_kernel_lower_double_buffered_non_diagonal_genericILi32ELi4ELi4E24rocblas_internal_val_ptrIfEPKfPfEvbiT2_lT3_lllS6_lllT4_lllii,"axG",@progbits,_ZL62rocblas_symv_kernel_lower_double_buffered_non_diagonal_genericILi32ELi4ELi4E24rocblas_internal_val_ptrIfEPKfPfEvbiT2_lT3_lllS6_lllT4_lllii,comdat
	.globl	_ZL62rocblas_symv_kernel_lower_double_buffered_non_diagonal_genericILi32ELi4ELi4E24rocblas_internal_val_ptrIfEPKfPfEvbiT2_lT3_lllS6_lllT4_lllii ; -- Begin function _ZL62rocblas_symv_kernel_lower_double_buffered_non_diagonal_genericILi32ELi4ELi4E24rocblas_internal_val_ptrIfEPKfPfEvbiT2_lT3_lllS6_lllT4_lllii
	.p2align	8
	.type	_ZL62rocblas_symv_kernel_lower_double_buffered_non_diagonal_genericILi32ELi4ELi4E24rocblas_internal_val_ptrIfEPKfPfEvbiT2_lT3_lllS6_lllT4_lllii,@function
_ZL62rocblas_symv_kernel_lower_double_buffered_non_diagonal_genericILi32ELi4ELi4E24rocblas_internal_val_ptrIfEPKfPfEvbiT2_lT3_lllS6_lllT4_lllii: ; @_ZL62rocblas_symv_kernel_lower_double_buffered_non_diagonal_genericILi32ELi4ELi4E24rocblas_internal_val_ptrIfEPKfPfEvbiT2_lT3_lllS6_lllT4_lllii
; %bb.0:
	s_load_dword s0, s[4:5], 0x0
	s_load_dwordx16 s[12:27], s[4:5], 0x8
	s_waitcnt lgkmcnt(0)
	s_bitcmp0_b32 s0, 0
	s_cbranch_scc0 .LBB80_2
; %bb.1:
	s_mul_i32 s0, s8, s15
	s_mul_hi_u32 s1, s8, s14
	s_add_i32 s1, s1, s0
	s_mul_i32 s0, s8, s14
	s_lshl_b64 s[0:1], s[0:1], 2
	s_add_u32 s0, s12, s0
	s_addc_u32 s1, s13, s1
	s_load_dword s33, s[0:1], 0x0
	s_cbranch_execz .LBB80_3
	s_branch .LBB80_4
.LBB80_2:
                                        ; implicit-def: $sgpr33
.LBB80_3:
	s_waitcnt lgkmcnt(0)
	s_mov_b32 s33, s12
.LBB80_4:
	s_waitcnt lgkmcnt(0)
	v_cmp_eq_f32_e64 s[0:1], s33, 0
	s_and_b64 vcc, exec, s[0:1]
	s_cbranch_vccnz .LBB80_37
; %bb.5:
	s_load_dwordx2 s[12:13], s[4:5], 0x80
	s_waitcnt lgkmcnt(0)
	v_cvt_f32_u32_e32 v1, s13
	s_add_i32 s14, s12, -1
	s_cmp_eq_u32 s6, s14
	v_rcp_iflag_f32_e32 v1, v1
	v_mul_f32_e32 v1, 0x4f7ffffe, v1
	v_cvt_u32_f32_e32 v1, v1
	v_readfirstlane_b32 s0, v1
	s_cbranch_scc1 .LBB80_37
; %bb.6:
	s_not_b32 s1, s6
	s_load_dwordx4 s[28:31], s[4:5], 0x48
	s_add_i32 s14, s14, s1
	s_sub_i32 s1, 0, s13
	s_mul_i32 s1, s1, s0
	s_mul_hi_u32 s1, s0, s1
	s_add_i32 s0, s0, s1
	s_mul_hi_u32 s15, s14, s0
	s_waitcnt lgkmcnt(0)
	s_mul_i32 s0, s8, s31
	s_mul_hi_u32 s1, s8, s30
	s_add_i32 s1, s1, s0
	s_mul_i32 s0, s8, s30
	s_lshl_b64 s[0:1], s[0:1], 2
	s_add_u32 s2, s24, s0
	s_addc_u32 s3, s25, s1
	s_lshl_b64 s[0:1], s[26:27], 2
	s_add_u32 s2, s2, s0
	s_addc_u32 s3, s3, s1
	s_lshl_b32 s9, s6, 5
	s_ashr_i32 s37, s9, 31
	s_mul_i32 s0, s9, s29
	s_mul_hi_u32 s1, s9, s28
	s_add_i32 s0, s1, s0
	s_mul_i32 s1, s37, s28
	s_add_i32 s1, s0, s1
	s_mul_i32 s0, s9, s28
	s_lshl_b64 s[0:1], s[0:1], 2
	v_and_b32_e32 v22, 0x3ff, v0
	v_bfe_u32 v0, v0, 10, 10
	s_add_u32 s10, s2, s0
	s_addc_u32 s11, s3, s1
	v_cmp_eq_u32_e64 s[0:1], 0, v0
	s_and_saveexec_b64 s[2:3], s[0:1]
	s_cbranch_execz .LBB80_8
; %bb.7:
	v_mad_u64_u32 v[2:3], s[24:25], v22, s28, 0
	v_mov_b32_e32 v4, v3
	v_mad_u64_u32 v[4:5], s[24:25], v22, s29, v[4:5]
	v_mov_b32_e32 v3, v4
	v_lshlrev_b64 v[2:3], 2, v[2:3]
	v_mov_b32_e32 v1, s11
	v_add_co_u32_e32 v2, vcc, s10, v2
	v_addc_co_u32_e32 v3, vcc, v1, v3, vcc
	global_load_dword v1, v[2:3], off
	v_lshlrev_b32_e32 v2, 2, v22
	s_waitcnt vmcnt(0)
	ds_write_b32 v2, v1 offset:3072
.LBB80_8:
	s_or_b64 exec, exec, s[2:3]
	s_mul_i32 s2, s15, s13
	s_sub_i32 s2, s14, s2
	s_add_i32 s3, s15, 1
	s_sub_i32 s24, s2, s13
	s_cmp_ge_u32 s2, s13
	s_cselect_b32 s3, s3, s15
	s_cselect_b32 s2, s24, s2
	s_add_i32 s15, s3, 1
	s_cmp_ge_u32 s2, s13
	s_cselect_b32 s15, s15, s3
	s_add_i32 s24, s13, -1
	s_cmp_eq_u32 s7, s24
	s_cselect_b64 s[2:3], -1, 0
	s_cmp_lg_u32 s7, s24
	s_mov_b32 s34, s15
	s_cbranch_scc1 .LBB80_10
; %bb.9:
	s_mul_i32 s13, s15, s13
	s_sub_i32 s13, s14, s13
	s_add_i32 s34, s13, s15
.LBB80_10:
	s_cmp_lg_u32 s7, s24
	s_cselect_b64 s[24:25], -1, 0
	s_cmp_eq_u32 s34, 0
	s_cselect_b64 s[26:27], -1, 0
	s_and_b64 s[24:25], s[24:25], s[26:27]
	s_and_b64 vcc, exec, s[24:25]
	s_cbranch_vccnz .LBB80_37
; %bb.11:
	s_mul_i32 s7, s7, s15
	s_lshl_b32 s24, s7, 5
	s_mul_i32 s7, s8, s23
	s_mul_hi_u32 s13, s8, s22
	s_add_i32 s15, s13, s7
	s_mul_i32 s14, s8, s22
	s_ashr_i32 s25, s24, 31
	s_lshl_b64 s[14:15], s[14:15], 2
	s_add_u32 s7, s16, s14
	s_addc_u32 s13, s17, s15
	s_lshl_b64 s[14:15], s[18:19], 2
	s_add_u32 s7, s7, s14
	s_addc_u32 s13, s13, s15
	s_add_u32 s14, s20, 1
	s_addc_u32 s15, s21, 0
	s_mul_i32 s16, s14, s37
	s_mul_hi_u32 s17, s14, s9
	s_add_i32 s16, s17, s16
	s_mul_i32 s15, s15, s9
	s_add_i32 s15, s16, s15
	s_mul_i32 s14, s14, s9
	s_lshl_b64 s[14:15], s[14:15], 2
	s_add_u32 s7, s7, s14
	s_addc_u32 s13, s13, s15
	s_lshl_b64 s[14:15], s[24:25], 2
	s_add_u32 s30, s7, s14
	s_addc_u32 s31, s13, s15
	s_mul_i32 s7, s24, s29
	s_mul_hi_u32 s13, s24, s28
	s_add_i32 s7, s13, s7
	s_mul_i32 s13, s25, s28
	s_add_i32 s15, s7, s13
	s_mul_i32 s14, s24, s28
	v_lshl_add_u32 v0, v0, 5, v22
	s_lshl_b64 s[14:15], s[14:15], 2
	v_lshrrev_b32_e32 v23, 4, v0
	s_add_u32 s35, s10, s14
	v_and_b32_e32 v4, 15, v22
	v_lshlrev_b32_e32 v24, 2, v23
	v_mov_b32_e32 v5, 0
	s_load_dwordx2 s[26:27], s[4:5], 0x58
	s_addc_u32 s36, s11, s15
	v_mad_u64_u32 v[6:7], s[10:11], v24, s20, v[4:5]
	v_mov_b32_e32 v0, v7
	v_mad_u64_u32 v[0:1], s[10:11], v24, s21, v[0:1]
	s_lshl_b64 s[10:11], s[28:29], 5
	s_add_i32 s7, s12, -2
	v_mov_b32_e32 v7, v0
	s_cmp_ge_u32 s6, s7
	s_waitcnt lgkmcnt(0)
	s_barrier
	s_cbranch_scc1 .LBB80_13
; %bb.12:
	s_lshl_b64 s[6:7], s[10:11], 2
	v_lshlrev_b64 v[0:1], 2, v[6:7]
	s_add_u32 s12, s35, s6
	v_mov_b32_e32 v2, s31
	v_add_co_u32_e32 v0, vcc, s30, v0
	s_addc_u32 s13, s36, s7
	v_addc_co_u32_e32 v1, vcc, v2, v1, vcc
	s_lshl_b64 s[6:7], s[20:21], 2
	v_mov_b32_e32 v3, s7
	v_add_co_u32_e32 v2, vcc, s6, v0
	v_addc_co_u32_e32 v3, vcc, v1, v3, vcc
	s_lshl_b64 s[6:7], s[20:21], 3
	v_mov_b32_e32 v5, s7
	v_add_co_u32_e32 v8, vcc, s6, v0
	global_load_dword v32, v[0:1], off offset:128
	v_addc_co_u32_e32 v9, vcc, v1, v5, vcc
	v_mad_u64_u32 v[0:1], s[6:7], s20, 12, v[0:1]
	global_load_dword v33, v[2:3], off offset:128
	global_load_dword v34, v[8:9], off offset:128
	v_mov_b32_e32 v2, v1
	v_mad_u64_u32 v[2:3], s[6:7], s21, 12, v[2:3]
	v_mov_b32_e32 v1, v2
	global_load_dword v35, v[0:1], off offset:128
	v_mad_u64_u32 v[0:1], s[6:7], v4, s28, 0
	v_mov_b32_e32 v2, v1
	v_mad_u64_u32 v[2:3], s[6:7], v4, s29, v[2:3]
	v_mov_b32_e32 v1, v2
	v_lshlrev_b64 v[0:1], 2, v[0:1]
	v_mov_b32_e32 v2, s13
	v_add_co_u32_e32 v0, vcc, s12, v0
	v_addc_co_u32_e32 v1, vcc, v2, v1, vcc
	global_load_dword v5, v[0:1], off
	s_branch .LBB80_14
.LBB80_13:
                                        ; implicit-def: $vgpr32
                                        ; implicit-def: $vgpr33
                                        ; implicit-def: $vgpr34
                                        ; implicit-def: $vgpr35
.LBB80_14:
	s_load_dwordx2 s[6:7], s[4:5], 0x70
	s_load_dwordx4 s[12:15], s[4:5], 0x60
	v_mov_b32_e32 v27, 0
	v_or_b32_e32 v30, 16, v4
	v_lshlrev_b32_e32 v25, 2, v4
	s_waitcnt lgkmcnt(0)
	s_mul_i32 s7, s8, s7
	s_mul_hi_u32 s16, s8, s6
	s_mul_i32 s6, s8, s6
	s_add_i32 s7, s16, s7
	s_lshl_b64 s[6:7], s[6:7], 2
	s_add_u32 s8, s26, s6
	s_addc_u32 s16, s27, s7
	s_lshl_b64 s[6:7], s[12:13], 2
	s_add_u32 s8, s8, s6
	s_addc_u32 s12, s16, s7
	s_mul_i32 s6, s9, s15
	s_mul_hi_u32 s7, s9, s14
	s_add_i32 s6, s7, s6
	s_mul_i32 s7, s37, s14
	s_add_i32 s7, s6, s7
	s_mul_i32 s6, s9, s14
	s_lshl_b64 s[6:7], s[6:7], 2
	s_add_u32 s22, s8, s6
	s_addc_u32 s23, s12, s7
	s_mul_i32 s6, s24, s15
	s_mul_hi_u32 s7, s24, s14
	s_add_i32 s6, s7, s6
	s_mul_i32 s7, s25, s14
	s_add_i32 s7, s6, s7
	s_mul_i32 s6, s24, s14
	s_lshl_b64 s[6:7], s[6:7], 2
	s_add_u32 s12, s22, s6
	s_addc_u32 s13, s23, s7
	s_mov_b32 s24, 0
	s_cmp_lt_i32 s34, 1
	s_cbranch_scc1 .LBB80_24
; %bb.15:
	v_mad_u64_u32 v[0:1], s[6:7], v30, s28, 0
	v_mov_b32_e32 v2, v1
	v_mad_u64_u32 v[2:3], s[6:7], v30, s29, v[2:3]
	v_mov_b32_e32 v1, v2
	;; [unrolled: 2-line block ×4, first 2 shown]
	v_lshl_or_b32 v8, v23, 7, v25
	v_mad_u64_u32 v[16:17], s[8:9], v22, s14, 0
	v_add_u32_e32 v37, 0x800, v8
	v_mov_b32_e32 v8, v17
	v_mad_u64_u32 v[8:9], s[8:9], v22, s15, v[8:9]
	s_add_i32 s25, s34, -1
	s_lshl_b64 s[6:7], s[14:15], 7
	v_mov_b32_e32 v17, v8
	v_mov_b32_e32 v8, 0xc00
	s_lshl_b64 s[8:9], s[20:21], 2
	s_lshl_b64 s[16:17], s[20:21], 3
	v_lshl_add_u32 v38, v24, 2, v8
	v_mov_b32_e32 v8, 0x800
	s_sub_u32 s26, 0, s16
	v_lshl_add_u32 v39, v22, 2, v8
	s_subb_u32 s27, 0, s17
	v_pk_mov_b32 v[8:9], s[12:13], s[12:13] op_sel:[0,1]
	v_mov_b32_e32 v26, 0
	v_lshlrev_b64 v[10:11], 2, v[0:1]
	v_lshlrev_b64 v[12:13], 2, v[6:7]
	v_mov_b32_e32 v40, s9
	v_lshlrev_b64 v[14:15], 2, v[2:3]
	v_lshlrev_b64 v[16:17], 2, v[16:17]
	s_lshl_b64 s[12:13], s[10:11], 2
	v_mov_b32_e32 v29, 0
	v_mov_b32_e32 v28, 0
	;; [unrolled: 1-line block ×3, first 2 shown]
	s_waitcnt vmcnt(4)
	v_mov_b32_e32 v41, v32
	s_waitcnt vmcnt(3)
	v_mov_b32_e32 v42, v33
	;; [unrolled: 2-line block ×4, first 2 shown]
.LBB80_16:                              ; =>This Loop Header: Depth=1
                                        ;     Child Loop BB80_20 Depth 2
	s_add_u32 s35, s35, s12
	s_addc_u32 s36, s36, s13
	v_mov_b32_e32 v1, s36
	v_add_co_u32_e32 v0, vcc, s35, v10
	v_addc_co_u32_e32 v1, vcc, v1, v11, vcc
	global_load_dword v31, v[0:1], off
	v_mov_b32_e32 v0, s31
	v_add_co_u32_e32 v18, vcc, s30, v12
	v_addc_co_u32_e32 v19, vcc, v0, v13, vcc
	v_add_co_u32_e32 v0, vcc, s8, v18
	v_addc_co_u32_e32 v1, vcc, v19, v40, vcc
	;; [unrolled: 2-line block ×3, first 2 shown]
	v_add_co_u32_e32 v20, vcc, s8, v2
	global_load_dword v45, v[0:1], off offset:192
	global_load_dword v46, v[2:3], off offset:192
	v_addc_co_u32_e32 v21, vcc, v3, v40, vcc
	global_load_dword v48, v[18:19], off offset:192
	global_load_dword v47, v[20:21], off offset:192
	ds_read_b128 v[0:3], v38
	s_cmp_eq_u32 s24, s25
	s_waitcnt vmcnt(5)
	v_mov_b32_e32 v36, v5
	s_cbranch_scc1 .LBB80_18
; %bb.17:                               ;   in Loop: Header=BB80_16 Depth=1
	v_mov_b32_e32 v36, s27
	v_add_co_u32_e32 v20, vcc, s26, v20
	v_addc_co_u32_e32 v21, vcc, v21, v36, vcc
	global_load_dword v41, v[18:19], off offset:256
	global_load_dword v42, v[20:21], off offset:256
	v_mov_b32_e32 v36, s9
	v_add_co_u32_e32 v18, vcc, s8, v20
	v_addc_co_u32_e32 v19, vcc, v21, v36, vcc
	s_add_u32 s16, s35, s12
	global_load_dword v43, v[18:19], off offset:256
	v_add_co_u32_e32 v18, vcc, s8, v18
	s_addc_u32 s17, s36, s13
	v_addc_co_u32_e32 v19, vcc, v19, v36, vcc
	global_load_dword v44, v[18:19], off offset:256
	v_mov_b32_e32 v19, s17
	v_add_co_u32_e32 v18, vcc, s16, v14
	v_addc_co_u32_e32 v19, vcc, v19, v15, vcc
	global_load_dword v36, v[18:19], off
.LBB80_18:                              ;   in Loop: Header=BB80_16 Depth=1
	s_waitcnt lgkmcnt(0)
	v_fma_f32 v18, v32, v0, 0
	s_waitcnt vmcnt(1)
	v_fma_f32 v0, v48, v0, 0
	v_fmac_f32_e32 v18, v33, v1
	v_fmac_f32_e32 v0, v45, v1
	;; [unrolled: 1-line block ×5, first 2 shown]
	s_waitcnt vmcnt(0)
	v_fmac_f32_e32 v0, v47, v3
	s_barrier
	ds_write2_b32 v37, v18, v0 offset1:16
	s_waitcnt lgkmcnt(0)
	s_barrier
	s_and_saveexec_b64 s[16:17], s[0:1]
	s_cbranch_execz .LBB80_22
; %bb.19:                               ;   in Loop: Header=BB80_16 Depth=1
	v_mov_b32_e32 v0, s7
	v_add_co_u32_e32 v8, vcc, s6, v8
	v_addc_co_u32_e32 v9, vcc, v9, v0, vcc
	v_add_co_u32_e32 v0, vcc, v8, v16
	v_addc_co_u32_e32 v1, vcc, v9, v17, vcc
	global_load_dword v3, v[0:1], off
	ds_read2_b32 v[18:19], v39 offset1:32
	ds_read2_b32 v[20:21], v39 offset0:64 offset1:96
	ds_read2_b32 v[50:51], v39 offset0:128 offset1:160
	s_mov_b64 s[18:19], 0
	s_waitcnt lgkmcnt(2)
	v_add_f32_e32 v2, 0, v18
	v_add_f32_e32 v2, v2, v19
	ds_read2_b32 v[18:19], v39 offset0:192 offset1:224
	s_waitcnt lgkmcnt(2)
	v_add_f32_e32 v2, v2, v20
	v_add_f32_e32 v2, v2, v21
	s_waitcnt lgkmcnt(1)
	v_add_f32_e32 v2, v2, v50
	v_add_f32_e32 v2, v2, v51
	;; [unrolled: 3-line block ×3, first 2 shown]
	v_mul_f32_e32 v18, s33, v2
.LBB80_20:                              ;   Parent Loop BB80_16 Depth=1
                                        ; =>  This Inner Loop Header: Depth=2
	s_waitcnt vmcnt(0)
	v_add_f32_e32 v2, v3, v18
	global_atomic_cmpswap v2, v[0:1], v[2:3], off glc
	s_waitcnt vmcnt(0)
	v_cmp_eq_u32_e32 vcc, v2, v3
	s_or_b64 s[18:19], vcc, s[18:19]
	v_mov_b32_e32 v3, v2
	s_andn2_b64 exec, exec, s[18:19]
	s_cbranch_execnz .LBB80_20
; %bb.21:                               ;   in Loop: Header=BB80_16 Depth=1
	s_or_b64 exec, exec, s[18:19]
.LBB80_22:                              ;   in Loop: Header=BB80_16 Depth=1
	s_or_b64 exec, exec, s[16:17]
	s_add_u32 s30, s30, 0x80
	v_fmac_f32_e32 v26, v5, v32
	v_fmac_f32_e32 v29, v5, v33
	;; [unrolled: 1-line block ×4, first 2 shown]
	s_addc_u32 s31, s31, 0
	s_add_i32 s24, s24, 1
	v_fmac_f32_e32 v26, v31, v48
	v_fmac_f32_e32 v29, v31, v45
	;; [unrolled: 1-line block ×4, first 2 shown]
	s_cmp_eq_u32 s24, s34
	s_cbranch_scc1 .LBB80_25
; %bb.23:                               ;   in Loop: Header=BB80_16 Depth=1
	v_mov_b32_e32 v5, v36
	v_mov_b32_e32 v32, v41
	;; [unrolled: 1-line block ×5, first 2 shown]
	s_branch .LBB80_16
.LBB80_24:
	v_pk_mov_b32 v[8:9], s[12:13], s[12:13] op_sel:[0,1]
	v_mov_b32_e32 v28, 0
	v_mov_b32_e32 v29, 0
	;; [unrolled: 1-line block ×4, first 2 shown]
	s_waitcnt vmcnt(0)
	v_mov_b32_e32 v36, v5
.LBB80_25:
	s_and_b64 vcc, exec, s[2:3]
	s_cbranch_vccz .LBB80_34
; %bb.26:
	s_load_dword s4, s[4:5], 0x78
	s_lshl_b64 s[2:3], s[10:11], 2
	s_add_u32 s5, s35, s2
	v_mov_b32_e32 v5, 0
	s_addc_u32 s6, s36, s3
	s_waitcnt lgkmcnt(0)
	v_cmp_gt_i32_e32 vcc, s4, v4
	v_mov_b32_e32 v0, 0
	v_mov_b32_e32 v1, 0
	;; [unrolled: 1-line block ×4, first 2 shown]
	s_and_saveexec_b64 s[2:3], vcc
	s_cbranch_execz .LBB80_28
; %bb.27:
	v_lshlrev_b64 v[0:1], 2, v[6:7]
	v_mov_b32_e32 v2, s31
	v_add_co_u32_e32 v10, vcc, s30, v0
	v_addc_co_u32_e32 v11, vcc, v2, v1, vcc
	s_lshl_b64 s[8:9], s[20:21], 2
	v_mov_b32_e32 v0, s9
	v_add_co_u32_e32 v12, vcc, s8, v10
	v_addc_co_u32_e32 v13, vcc, v11, v0, vcc
	s_lshl_b64 s[8:9], s[20:21], 3
	v_mov_b32_e32 v0, s9
	v_add_co_u32_e32 v14, vcc, s8, v10
	v_addc_co_u32_e32 v15, vcc, v11, v0, vcc
	global_load_dword v0, v[10:11], off offset:128
	global_load_dword v1, v[12:13], off offset:128
	;; [unrolled: 1-line block ×3, first 2 shown]
	v_mad_u64_u32 v[10:11], s[8:9], s20, 12, v[10:11]
	v_mov_b32_e32 v12, v11
	v_mad_u64_u32 v[12:13], s[8:9], s21, 12, v[12:13]
	v_mov_b32_e32 v11, v12
	global_load_dword v3, v[10:11], off offset:128
	v_mad_u64_u32 v[10:11], s[8:9], v4, s28, 0
	v_mov_b32_e32 v12, v11
	v_mad_u64_u32 v[12:13], s[8:9], v4, s29, v[12:13]
	v_mov_b32_e32 v11, v12
	v_lshlrev_b64 v[10:11], 2, v[10:11]
	v_mov_b32_e32 v12, s6
	v_add_co_u32_e32 v10, vcc, s5, v10
	v_addc_co_u32_e32 v11, vcc, v12, v11, vcc
	global_load_dword v36, v[10:11], off
.LBB80_28:
	s_or_b64 exec, exec, s[2:3]
	v_cmp_gt_i32_e32 vcc, s4, v30
	v_mov_b32_e32 v10, 0
	v_mov_b32_e32 v11, 0
	;; [unrolled: 1-line block ×3, first 2 shown]
	s_and_saveexec_b64 s[2:3], vcc
	s_cbranch_execz .LBB80_30
; %bb.29:
	v_lshlrev_b64 v[6:7], 2, v[6:7]
	v_mov_b32_e32 v5, s31
	v_add_co_u32_e32 v6, vcc, s30, v6
	v_addc_co_u32_e32 v7, vcc, v5, v7, vcc
	v_add_co_u32_e32 v12, vcc, 0x80, v6
	v_addc_co_u32_e32 v13, vcc, 0, v7, vcc
	s_lshl_b64 s[8:9], s[20:21], 2
	v_mov_b32_e32 v5, s9
	v_add_co_u32_e32 v14, vcc, s8, v12
	v_addc_co_u32_e32 v15, vcc, v13, v5, vcc
	s_lshl_b64 s[8:9], s[20:21], 3
	v_mov_b32_e32 v5, s9
	v_add_co_u32_e32 v16, vcc, s8, v12
	v_addc_co_u32_e32 v17, vcc, v13, v5, vcc
	global_load_dword v5, v[6:7], off offset:192
	global_load_dword v10, v[14:15], off offset:64
	;; [unrolled: 1-line block ×3, first 2 shown]
	v_mad_u64_u32 v[6:7], s[8:9], s20, 12, v[12:13]
	v_mov_b32_e32 v12, v7
	v_mad_u64_u32 v[12:13], s[8:9], s21, 12, v[12:13]
	v_mov_b32_e32 v7, v12
	global_load_dword v12, v[6:7], off offset:64
	v_mad_u64_u32 v[6:7], s[8:9], v30, s28, 0
	v_mov_b32_e32 v14, v7
	v_mad_u64_u32 v[14:15], s[8:9], v30, s29, v[14:15]
	v_mov_b32_e32 v7, v14
	v_lshlrev_b64 v[6:7], 2, v[6:7]
	v_mov_b32_e32 v13, s6
	v_add_co_u32_e32 v6, vcc, s5, v6
	v_addc_co_u32_e32 v7, vcc, v13, v7, vcc
	global_load_dword v31, v[6:7], off
.LBB80_30:
	s_or_b64 exec, exec, s[2:3]
	v_lshlrev_b32_e32 v6, 2, v24
	ds_read_b128 v[14:17], v6 offset:3072
	s_waitcnt vmcnt(0)
	v_fmac_f32_e32 v26, v36, v0
	v_fmac_f32_e32 v29, v36, v1
	v_cmp_gt_i32_e32 vcc, s4, v22
	v_fmac_f32_e32 v28, v36, v2
	s_waitcnt lgkmcnt(0)
	v_fma_f32 v6, v5, v14, 0
	v_fma_f32 v0, v0, v14, 0
	v_fmac_f32_e32 v6, v10, v15
	v_fmac_f32_e32 v0, v1, v15
	;; [unrolled: 1-line block ×4, first 2 shown]
	v_lshl_or_b32 v1, v23, 7, v25
	v_fmac_f32_e32 v27, v36, v3
	v_fmac_f32_e32 v6, v12, v17
	;; [unrolled: 1-line block ×3, first 2 shown]
	v_add_u32_e32 v1, 0x800, v1
	s_and_b64 s[4:5], s[0:1], vcc
	s_barrier
	ds_write2_b32 v1, v0, v6 offset1:16
	s_waitcnt lgkmcnt(0)
	s_barrier
	s_and_saveexec_b64 s[2:3], s[4:5]
	s_cbranch_execz .LBB80_33
; %bb.31:
	s_lshl_b64 s[4:5], s[14:15], 7
	v_mov_b32_e32 v0, s5
	v_add_co_u32_e32 v6, vcc, s4, v8
	v_addc_co_u32_e32 v7, vcc, v9, v0, vcc
	v_mad_u64_u32 v[0:1], s[4:5], v22, s14, 0
	v_mov_b32_e32 v2, v1
	v_mad_u64_u32 v[2:3], s[4:5], v22, s15, v[2:3]
	v_mov_b32_e32 v1, v2
	v_lshlrev_b64 v[0:1], 2, v[0:1]
	v_add_co_u32_e32 v0, vcc, v6, v0
	v_addc_co_u32_e32 v1, vcc, v7, v1, vcc
	global_load_dword v3, v[0:1], off
	v_lshlrev_b32_e32 v2, 2, v22
	v_add_u32_e32 v2, 0x800, v2
	ds_read2_b32 v[6:7], v2 offset1:32
	ds_read2_b32 v[8:9], v2 offset0:64 offset1:96
	ds_read2_b32 v[14:15], v2 offset0:128 offset1:160
	s_mov_b64 s[4:5], 0
	s_waitcnt lgkmcnt(2)
	v_add_f32_e32 v6, 0, v6
	v_add_f32_e32 v13, v6, v7
	ds_read2_b32 v[6:7], v2 offset0:192 offset1:224
	s_waitcnt lgkmcnt(2)
	v_add_f32_e32 v2, v13, v8
	v_add_f32_e32 v2, v2, v9
	s_waitcnt lgkmcnt(1)
	v_add_f32_e32 v2, v2, v14
	v_add_f32_e32 v2, v2, v15
	;; [unrolled: 3-line block ×3, first 2 shown]
	v_mul_f32_e32 v6, s33, v2
.LBB80_32:                              ; =>This Inner Loop Header: Depth=1
	s_waitcnt vmcnt(0)
	v_add_f32_e32 v2, v3, v6
	global_atomic_cmpswap v2, v[0:1], v[2:3], off glc
	s_waitcnt vmcnt(0)
	v_cmp_eq_u32_e32 vcc, v2, v3
	s_or_b64 s[4:5], vcc, s[4:5]
	v_mov_b32_e32 v3, v2
	s_andn2_b64 exec, exec, s[4:5]
	s_cbranch_execnz .LBB80_32
.LBB80_33:
	s_or_b64 exec, exec, s[2:3]
	v_fmac_f32_e32 v26, v31, v5
	v_fmac_f32_e32 v29, v31, v10
	;; [unrolled: 1-line block ×4, first 2 shown]
.LBB80_34:
	v_lshl_or_b32 v0, v23, 8, v25
	ds_write2_b32 v0, v26, v29 offset1:16
	ds_write2_b32 v0, v28, v27 offset0:32 offset1:48
	s_waitcnt lgkmcnt(0)
	s_barrier
	s_and_saveexec_b64 s[2:3], s[0:1]
	s_cbranch_execz .LBB80_37
; %bb.35:
	v_mad_u64_u32 v[0:1], s[0:1], v22, s14, 0
	v_mov_b32_e32 v2, v1
	v_mad_u64_u32 v[2:3], s[0:1], v22, s15, v[2:3]
	v_mov_b32_e32 v1, v2
	v_lshlrev_b64 v[0:1], 2, v[0:1]
	v_mov_b32_e32 v2, s23
	v_add_co_u32_e32 v0, vcc, s22, v0
	v_addc_co_u32_e32 v1, vcc, v2, v1, vcc
	global_load_dword v3, v[0:1], off
	v_lshlrev_b32_e32 v5, 4, v22
	v_add_u32_e32 v6, 1, v22
	v_add_u32_e32 v7, 2, v22
	v_add_u32_e32 v8, 3, v22
	v_add_u32_e32 v9, 4, v22
	v_add_u32_e32 v10, 5, v22
	v_add_u32_e32 v11, 6, v22
	v_add_u32_e32 v12, 7, v22
	v_or_b32_e32 v4, v4, v5
	v_and_or_b32 v6, v6, 15, v5
	v_and_or_b32 v7, v7, 15, v5
	;; [unrolled: 1-line block ×7, first 2 shown]
	v_lshlrev_b32_e32 v2, 2, v4
	v_lshlrev_b32_e32 v6, 2, v6
	;; [unrolled: 1-line block ×8, first 2 shown]
	ds_read_b32 v2, v2
	ds_read_b32 v6, v6
	;; [unrolled: 1-line block ×8, first 2 shown]
	s_waitcnt lgkmcnt(7)
	v_add_f32_e32 v2, 0, v2
	s_waitcnt lgkmcnt(6)
	v_add_f32_e32 v2, v2, v6
	;; [unrolled: 2-line block ×8, first 2 shown]
	v_add_u32_e32 v6, 9, v22
	v_add_u32_e32 v7, 10, v22
	;; [unrolled: 1-line block ×6, first 2 shown]
	v_add_u32_e32 v12, -1, v22
	v_xor_b32_e32 v4, 8, v4
	v_and_or_b32 v6, v6, 15, v5
	v_and_or_b32 v7, v7, 15, v5
	;; [unrolled: 1-line block ×7, first 2 shown]
	v_lshlrev_b32_e32 v4, 2, v4
	v_lshlrev_b32_e32 v6, 2, v6
	;; [unrolled: 1-line block ×8, first 2 shown]
	ds_read_b32 v4, v4
	ds_read_b32 v6, v6
	;; [unrolled: 1-line block ×8, first 2 shown]
	s_waitcnt lgkmcnt(7)
	v_add_f32_e32 v2, v2, v4
	s_waitcnt lgkmcnt(6)
	v_add_f32_e32 v2, v2, v6
	;; [unrolled: 2-line block ×8, first 2 shown]
	v_mul_f32_e32 v4, s33, v2
	s_mov_b64 s[0:1], 0
.LBB80_36:                              ; =>This Inner Loop Header: Depth=1
	s_waitcnt vmcnt(0)
	v_add_f32_e32 v2, v3, v4
	global_atomic_cmpswap v2, v[0:1], v[2:3], off glc
	s_waitcnt vmcnt(0)
	v_cmp_eq_u32_e32 vcc, v2, v3
	s_or_b64 s[0:1], vcc, s[0:1]
	v_mov_b32_e32 v3, v2
	s_andn2_b64 exec, exec, s[0:1]
	s_cbranch_execnz .LBB80_36
.LBB80_37:
	s_endpgm
	.section	.rodata,"a",@progbits
	.p2align	6, 0x0
	.amdhsa_kernel _ZL62rocblas_symv_kernel_lower_double_buffered_non_diagonal_genericILi32ELi4ELi4E24rocblas_internal_val_ptrIfEPKfPfEvbiT2_lT3_lllS6_lllT4_lllii
		.amdhsa_group_segment_fixed_size 3200
		.amdhsa_private_segment_fixed_size 0
		.amdhsa_kernarg_size 384
		.amdhsa_user_sgpr_count 6
		.amdhsa_user_sgpr_private_segment_buffer 1
		.amdhsa_user_sgpr_dispatch_ptr 0
		.amdhsa_user_sgpr_queue_ptr 0
		.amdhsa_user_sgpr_kernarg_segment_ptr 1
		.amdhsa_user_sgpr_dispatch_id 0
		.amdhsa_user_sgpr_flat_scratch_init 0
		.amdhsa_user_sgpr_kernarg_preload_length 0
		.amdhsa_user_sgpr_kernarg_preload_offset 0
		.amdhsa_user_sgpr_private_segment_size 0
		.amdhsa_uses_dynamic_stack 0
		.amdhsa_system_sgpr_private_segment_wavefront_offset 0
		.amdhsa_system_sgpr_workgroup_id_x 1
		.amdhsa_system_sgpr_workgroup_id_y 1
		.amdhsa_system_sgpr_workgroup_id_z 1
		.amdhsa_system_sgpr_workgroup_info 0
		.amdhsa_system_vgpr_workitem_id 1
		.amdhsa_next_free_vgpr 52
		.amdhsa_next_free_sgpr 38
		.amdhsa_accum_offset 52
		.amdhsa_reserve_vcc 1
		.amdhsa_reserve_flat_scratch 0
		.amdhsa_float_round_mode_32 0
		.amdhsa_float_round_mode_16_64 0
		.amdhsa_float_denorm_mode_32 3
		.amdhsa_float_denorm_mode_16_64 3
		.amdhsa_dx10_clamp 1
		.amdhsa_ieee_mode 1
		.amdhsa_fp16_overflow 0
		.amdhsa_tg_split 0
		.amdhsa_exception_fp_ieee_invalid_op 0
		.amdhsa_exception_fp_denorm_src 0
		.amdhsa_exception_fp_ieee_div_zero 0
		.amdhsa_exception_fp_ieee_overflow 0
		.amdhsa_exception_fp_ieee_underflow 0
		.amdhsa_exception_fp_ieee_inexact 0
		.amdhsa_exception_int_div_zero 0
	.end_amdhsa_kernel
	.section	.text._ZL62rocblas_symv_kernel_lower_double_buffered_non_diagonal_genericILi32ELi4ELi4E24rocblas_internal_val_ptrIfEPKfPfEvbiT2_lT3_lllS6_lllT4_lllii,"axG",@progbits,_ZL62rocblas_symv_kernel_lower_double_buffered_non_diagonal_genericILi32ELi4ELi4E24rocblas_internal_val_ptrIfEPKfPfEvbiT2_lT3_lllS6_lllT4_lllii,comdat
.Lfunc_end80:
	.size	_ZL62rocblas_symv_kernel_lower_double_buffered_non_diagonal_genericILi32ELi4ELi4E24rocblas_internal_val_ptrIfEPKfPfEvbiT2_lT3_lllS6_lllT4_lllii, .Lfunc_end80-_ZL62rocblas_symv_kernel_lower_double_buffered_non_diagonal_genericILi32ELi4ELi4E24rocblas_internal_val_ptrIfEPKfPfEvbiT2_lT3_lllS6_lllT4_lllii
                                        ; -- End function
	.section	.AMDGPU.csdata,"",@progbits
; Kernel info:
; codeLenInByte = 3268
; NumSgprs: 42
; NumVgprs: 52
; NumAgprs: 0
; TotalNumVgprs: 52
; ScratchSize: 0
; MemoryBound: 0
; FloatMode: 240
; IeeeMode: 1
; LDSByteSize: 3200 bytes/workgroup (compile time only)
; SGPRBlocks: 5
; VGPRBlocks: 6
; NumSGPRsForWavesPerEU: 42
; NumVGPRsForWavesPerEU: 52
; AccumOffset: 52
; Occupancy: 8
; WaveLimiterHint : 0
; COMPUTE_PGM_RSRC2:SCRATCH_EN: 0
; COMPUTE_PGM_RSRC2:USER_SGPR: 6
; COMPUTE_PGM_RSRC2:TRAP_HANDLER: 0
; COMPUTE_PGM_RSRC2:TGID_X_EN: 1
; COMPUTE_PGM_RSRC2:TGID_Y_EN: 1
; COMPUTE_PGM_RSRC2:TGID_Z_EN: 1
; COMPUTE_PGM_RSRC2:TIDIG_COMP_CNT: 1
; COMPUTE_PGM_RSRC3_GFX90A:ACCUM_OFFSET: 12
; COMPUTE_PGM_RSRC3_GFX90A:TG_SPLIT: 0
	.section	.text._ZL26rocblas_hemvn_kernel_lowerILb0ELi64ELi4ELi33ELi32ELi16ElPKfS1_PfEviT6_lT7_lT5_lS4_lS5_lS3_lT8_i,"axG",@progbits,_ZL26rocblas_hemvn_kernel_lowerILb0ELi64ELi4ELi33ELi32ELi16ElPKfS1_PfEviT6_lT7_lT5_lS4_lS5_lS3_lT8_i,comdat
	.globl	_ZL26rocblas_hemvn_kernel_lowerILb0ELi64ELi4ELi33ELi32ELi16ElPKfS1_PfEviT6_lT7_lT5_lS4_lS5_lS3_lT8_i ; -- Begin function _ZL26rocblas_hemvn_kernel_lowerILb0ELi64ELi4ELi33ELi32ELi16ElPKfS1_PfEviT6_lT7_lT5_lS4_lS5_lS3_lT8_i
	.p2align	8
	.type	_ZL26rocblas_hemvn_kernel_lowerILb0ELi64ELi4ELi33ELi32ELi16ElPKfS1_PfEviT6_lT7_lT5_lS4_lS5_lS3_lT8_i,@function
_ZL26rocblas_hemvn_kernel_lowerILb0ELi64ELi4ELi33ELi32ELi16ElPKfS1_PfEviT6_lT7_lT5_lS4_lS5_lS3_lT8_i: ; @_ZL26rocblas_hemvn_kernel_lowerILb0ELi64ELi4ELi33ELi32ELi16ElPKfS1_PfEviT6_lT7_lT5_lS4_lS5_lS3_lT8_i
; %bb.0:
	s_load_dwordx2 s[2:3], s[4:5], 0x84
	s_add_u32 s0, s4, 0x78
	s_addc_u32 s1, s5, 0
	s_waitcnt lgkmcnt(0)
	s_lshr_b32 s8, s2, 16
	s_and_b32 s2, s2, 0xffff
	s_and_b32 s3, s3, 0xffff
	s_mul_i32 s2, s8, s2
	s_mul_i32 s2, s2, s3
	s_cmpk_lg_i32 s2, 0x100
	s_cbranch_scc1 .LBB81_76
; %bb.1:
	s_load_dwordx16 s[12:27], s[4:5], 0x8
	s_load_dwordx8 s[36:43], s[4:5], 0x48
	s_waitcnt lgkmcnt(0)
	s_mul_i32 s3, s7, s15
	s_mul_hi_u32 s8, s7, s14
	s_mul_i32 s2, s7, s14
	s_add_i32 s3, s8, s3
	s_lshl_b64 s[2:3], s[2:3], 2
	s_add_u32 s2, s12, s2
	s_addc_u32 s3, s13, s3
	s_mul_i32 s9, s7, s43
	s_load_dword s8, s[2:3], 0x0
	s_mul_hi_u32 s2, s7, s42
	s_add_i32 s3, s2, s9
	s_mul_i32 s2, s7, s42
	s_lshl_b64 s[2:3], s[2:3], 2
	s_add_u32 s2, s40, s2
	s_addc_u32 s3, s41, s3
	s_load_dword s9, s[2:3], 0x0
	s_waitcnt lgkmcnt(0)
	v_cmp_eq_f32_e64 s[2:3], s8, 0
	v_cmp_eq_f32_e64 s[8:9], s9, 1.0
	s_and_b64 s[8:9], s[2:3], s[8:9]
	s_and_b64 vcc, exec, s[8:9]
	s_cbranch_vccnz .LBB81_76
; %bb.2:
	s_and_b64 vcc, exec, s[2:3]
	s_cbranch_vccnz .LBB81_76
; %bb.3:
	s_load_dword s44, s[0:1], 0x0
	s_load_dwordx2 s[28:29], s[4:5], 0x68
	s_load_dword s33, s[4:5], 0x0
	s_mul_i32 s0, s7, s39
	s_mul_hi_u32 s1, s7, s38
	s_add_i32 s1, s1, s0
	s_mul_i32 s0, s7, s38
	s_lshl_b64 s[0:1], s[0:1], 2
	s_add_u32 s2, s24, s0
	s_addc_u32 s3, s25, s1
	s_lshl_b64 s[0:1], s[26:27], 2
	s_add_u32 s2, s2, s0
	s_addc_u32 s3, s3, s1
	s_waitcnt lgkmcnt(0)
	s_ashr_i32 s45, s33, 31
	s_lshr_b32 s1, s45, 26
	s_add_i32 s1, s33, s1
	v_and_b32_e32 v18, 0x3ff, v0
	s_lshl_b32 s26, s6, 6
	s_andn2_b32 s1, s1, 63
	s_add_i32 s0, s44, -1
	s_sub_i32 s1, s33, s1
	v_add_u32_e32 v4, s26, v18
	s_cmp_eq_u32 s6, s0
	v_ashrrev_i32_e32 v5, 31, v4
	v_bfe_u32 v16, v0, 10, 10
	s_cselect_b32 s24, s1, 0
	v_mul_lo_u32 v2, v5, s36
	v_mul_lo_u32 v3, v4, s37
	v_mad_u64_u32 v[0:1], s[0:1], v4, s36, 0
	v_add3_u32 v1, v1, v3, v2
	v_lshlrev_b64 v[0:1], 2, v[0:1]
	v_mov_b32_e32 v2, s3
	v_add_co_u32_e32 v6, vcc, s2, v0
	v_addc_co_u32_e32 v7, vcc, v2, v1, vcc
	v_cmp_ne_u32_e64 s[0:1], 0, v16
	v_cmp_eq_u32_e64 s[2:3], 0, v16
	s_and_saveexec_b64 s[4:5], s[2:3]
	s_cbranch_execz .LBB81_7
; %bb.4:
	s_cmp_eq_u32 s24, 0
	s_cselect_b64 s[8:9], -1, 0
	v_cmp_gt_i32_e32 vcc, s24, v18
	s_or_b64 s[10:11], s[8:9], vcc
	v_mov_b32_e32 v0, 0
	s_and_saveexec_b64 s[8:9], s[10:11]
	s_cbranch_execz .LBB81_6
; %bb.5:
	global_load_dword v0, v[6:7], off
.LBB81_6:
	s_or_b64 exec, exec, s[8:9]
	v_lshlrev_b32_e32 v1, 2, v18
	s_waitcnt vmcnt(0)
	ds_write_b32 v1, v0 offset:4544
.LBB81_7:
	s_or_b64 exec, exec, s[4:5]
	s_mul_i32 s4, s7, s23
	s_mul_hi_u32 s5, s7, s22
	s_add_i32 s5, s5, s4
	s_mul_i32 s4, s7, s22
	s_lshl_b64 s[4:5], s[4:5], 2
	s_add_u32 s8, s16, s4
	s_addc_u32 s9, s17, s5
	s_lshl_b64 s[4:5], s[18:19], 2
	s_add_u32 s8, s8, s4
	s_addc_u32 s9, s9, s5
	s_ashr_i32 s27, s26, 31
	v_lshl_add_u32 v19, v16, 6, v18
	s_lshl_b64 s[4:5], s[26:27], 2
	v_and_b32_e32 v0, 31, v18
	v_lshrrev_b32_e32 v12, 5, v19
	s_add_u32 s8, s8, s4
	v_mov_b32_e32 v1, 0
	s_addc_u32 s9, s9, s5
	v_mad_u64_u32 v[2:3], s[4:5], v12, s20, v[0:1]
	v_mov_b32_e32 v8, v3
	v_mad_u64_u32 v[8:9], s[4:5], v12, s21, v[8:9]
	s_mul_i32 s4, s26, s21
	s_mul_hi_u32 s5, s26, s20
	s_add_i32 s4, s5, s4
	s_mul_i32 s5, s27, s20
	s_add_i32 s5, s4, s5
	s_mul_i32 s4, s26, s20
	s_lshl_b64 s[30:31], s[4:5], 2
	v_mov_b32_e32 v3, v8
	s_add_u32 s4, s30, s8
	v_lshlrev_b64 v[8:9], 2, v[2:3]
	s_addc_u32 s5, s31, s9
	v_mov_b32_e32 v1, s5
	v_add_co_u32_e32 v2, vcc, s4, v8
	s_cmp_lg_u32 s24, 0
	v_addc_co_u32_e32 v3, vcc, v1, v9, vcc
	s_cselect_b64 s[34:35], -1, 0
	s_cmp_eq_u32 s24, 0
	s_cselect_b64 s[40:41], -1, 0
	s_and_b64 vcc, exec, s[34:35]
	s_cbranch_vccnz .LBB81_9
; %bb.8:
	s_lshl_b64 s[4:5], s[20:21], 5
	v_mov_b32_e32 v1, s5
	v_add_co_u32_e32 v10, vcc, s4, v2
	v_addc_co_u32_e32 v11, vcc, v3, v1, vcc
	global_load_dword v13, v[10:11], off
	v_add_co_u32_e32 v10, vcc, s4, v10
	v_addc_co_u32_e32 v11, vcc, v11, v1, vcc
	v_mov_b32_e32 v1, 0x60
	v_mad_u64_u32 v[14:15], s[4:5], s20, v1, v[2:3]
	s_mul_i32 s4, s21, 0x60
	v_add_u32_e32 v15, s4, v15
	global_load_dword v1, v[2:3], off
	global_load_dword v17, v[14:15], off
	;; [unrolled: 1-line block ×3, first 2 shown]
	v_mul_u32_u24_e32 v10, 33, v12
	v_add_lshl_u32 v10, v10, v0, 2
	s_waitcnt vmcnt(2)
	ds_write_b32 v10, v1
	ds_write_b32 v10, v13 offset:1056
	s_waitcnt vmcnt(1)
	ds_write_b32 v10, v17 offset:3168
	s_waitcnt vmcnt(0)
	ds_write_b32 v10, v20 offset:2112
	s_cbranch_execz .LBB81_10
	s_branch .LBB81_19
.LBB81_9:
.LBB81_10:
	v_lshlrev_b32_e32 v1, 2, v0
	v_sub_co_u32_e32 v10, vcc, v2, v1
	s_ashr_i32 s25, s24, 31
	v_subbrev_co_u32_e32 v11, vcc, 0, v3, vcc
	s_lshl_b64 s[8:9], s[24:25], 2
	v_mov_b32_e32 v13, s9
	v_add_co_u32_e32 v10, vcc, s8, v10
	v_addc_co_u32_e32 v11, vcc, v11, v13, vcc
	v_add_co_u32_e32 v10, vcc, -4, v10
	v_addc_co_u32_e32 v11, vcc, -1, v11, vcc
	v_cmp_gt_i32_e32 vcc, s24, v0
	v_mov_b32_e32 v14, 0
	v_cndmask_b32_e32 v11, v11, v3, vcc
	v_cndmask_b32_e32 v10, v10, v2, vcc
	v_cmp_gt_i32_e64 s[4:5], s24, v12
	v_mov_b32_e32 v15, 0
	s_and_saveexec_b64 s[10:11], s[4:5]
	s_cbranch_execz .LBB81_12
; %bb.11:
	global_load_dword v15, v[10:11], off
.LBB81_12:
	s_or_b64 exec, exec, s[10:11]
	v_mul_u32_u24_e32 v13, 33, v12
	v_add_lshl_u32 v13, v13, v0, 2
	s_waitcnt vmcnt(0)
	ds_write_b32 v13, v15
	v_add_u32_e32 v15, 8, v12
	v_cmp_gt_i32_e64 s[4:5], s24, v15
	s_and_saveexec_b64 s[10:11], s[4:5]
	s_cbranch_execz .LBB81_14
; %bb.13:
	s_lshl_b64 s[4:5], s[20:21], 5
	v_mov_b32_e32 v15, s5
	v_add_co_u32_e64 v14, s[4:5], s4, v10
	v_addc_co_u32_e64 v15, s[4:5], v11, v15, s[4:5]
	global_load_dword v14, v[14:15], off
.LBB81_14:
	s_or_b64 exec, exec, s[10:11]
	s_waitcnt vmcnt(0)
	ds_write_b32 v13, v14 offset:1056
	v_add_u32_e32 v14, 16, v12
	v_cmp_gt_i32_e64 s[4:5], s24, v14
	v_mov_b32_e32 v14, 0
	v_mov_b32_e32 v15, 0
	s_and_saveexec_b64 s[10:11], s[4:5]
	s_cbranch_execz .LBB81_16
; %bb.15:
	s_lshl_b64 s[4:5], s[20:21], 6
	v_mov_b32_e32 v15, s5
	v_add_co_u32_e64 v20, s[4:5], s4, v10
	v_addc_co_u32_e64 v21, s[4:5], v11, v15, s[4:5]
	global_load_dword v15, v[20:21], off
.LBB81_16:
	s_or_b64 exec, exec, s[10:11]
	s_waitcnt vmcnt(0)
	ds_write_b32 v13, v15 offset:2112
	v_add_u32_e32 v15, 24, v12
	v_cmp_gt_i32_e64 s[4:5], s24, v15
	s_and_saveexec_b64 s[10:11], s[4:5]
	s_cbranch_execz .LBB81_18
; %bb.17:
	v_mov_b32_e32 v14, 0x60
	v_mad_u64_u32 v[14:15], s[4:5], s20, v14, v[10:11]
	s_mul_i32 s4, s21, 0x60
	v_add_u32_e32 v15, s4, v15
	global_load_dword v14, v[14:15], off
.LBB81_18:
	s_or_b64 exec, exec, s[10:11]
	v_add_co_u32_e64 v1, s[4:5], v10, v1
	v_addc_co_u32_e64 v10, s[4:5], 0, v11, s[4:5]
	v_mov_b32_e32 v11, s9
	v_subrev_co_u32_e64 v1, s[4:5], s8, v1
	v_subb_co_u32_e64 v10, s[4:5], v10, v11, s[4:5]
	v_add_co_u32_e64 v1, s[4:5], 4, v1
	v_addc_co_u32_e64 v10, s[4:5], 0, v10, s[4:5]
	v_cndmask_b32_e32 v3, v10, v3, vcc
	v_cndmask_b32_e32 v2, v1, v2, vcc
	s_waitcnt vmcnt(0)
	ds_write_b32 v13, v14 offset:3168
.LBB81_19:
	v_lshlrev_b32_e32 v14, 2, v12
	v_mul_u32_u24_e32 v20, 33, v0
	v_cmp_lt_u32_e64 s[18:19], v14, v0
	v_add_lshl_u32 v13, v14, v20, 2
	s_waitcnt lgkmcnt(0)
	s_barrier
	s_and_saveexec_b64 s[4:5], s[18:19]
	s_cbranch_execz .LBB81_21
; %bb.20:
	v_mul_u32_u24_e32 v1, 0x84, v12
	v_add_lshl_u32 v1, v1, v0, 2
	ds_read_b32 v1, v1
	s_waitcnt lgkmcnt(0)
	ds_write_b32 v13, v1
.LBB81_21:
	s_or_b64 exec, exec, s[4:5]
	v_or_b32_e32 v1, 1, v14
	v_cmp_lt_u32_e64 s[8:9], v1, v0
	s_and_saveexec_b64 s[4:5], s[8:9]
	s_cbranch_execz .LBB81_23
; %bb.22:
	v_mul_u32_u24_e32 v1, 33, v1
	v_add_lshl_u32 v1, v1, v0, 2
	ds_read_b32 v1, v1
	s_waitcnt lgkmcnt(0)
	ds_write_b32 v13, v1 offset:4
.LBB81_23:
	s_or_b64 exec, exec, s[4:5]
	v_or_b32_e32 v1, 2, v14
	v_cmp_lt_u32_e64 s[10:11], v1, v0
	s_and_saveexec_b64 s[4:5], s[10:11]
	s_cbranch_execz .LBB81_25
; %bb.24:
	v_mul_u32_u24_e32 v1, 33, v1
	v_add_lshl_u32 v1, v1, v0, 2
	ds_read_b32 v1, v1
	s_waitcnt lgkmcnt(0)
	ds_write_b32 v13, v1 offset:8
.LBB81_25:
	s_or_b64 exec, exec, s[4:5]
	v_or_b32_e32 v1, 3, v14
	v_cmp_lt_u32_e64 s[12:13], v1, v0
	v_mad_u32_u24 v1, v1, 33, v0
	v_lshlrev_b32_e32 v15, 2, v1
	s_and_saveexec_b64 s[4:5], s[12:13]
	s_cbranch_execz .LBB81_27
; %bb.26:
	ds_read_b32 v1, v15
	s_waitcnt lgkmcnt(0)
	ds_write_b32 v13, v1 offset:12
.LBB81_27:
	s_or_b64 exec, exec, s[4:5]
	v_mul_u32_u24_e32 v1, 0x84, v12
	v_add_u32_e32 v24, 0xfffffef8, v15
	s_waitcnt lgkmcnt(0)
	s_barrier
	v_add_lshl_u32 v23, v1, v0, 2
	v_lshlrev_b32_e32 v22, 2, v14
	ds_read2_b32 v[10:11], v24 offset1:33
	ds_read_b32 v30, v23
	ds_read_b128 v[26:29], v22 offset:4544
	ds_read_b32 v33, v15
	v_add_lshl_u32 v21, v12, v20, 2
	s_waitcnt lgkmcnt(3)
	v_mov_b32_e32 v31, v10
	v_mov_b32_e32 v32, v11
	s_waitcnt lgkmcnt(1)
	v_pk_mul_f32 v[26:27], v[30:31], v[26:27]
	v_add_f32_e32 v1, 0, v26
	v_add_f32_e32 v1, v1, v27
	s_waitcnt lgkmcnt(0)
	v_pk_mul_f32 v[10:11], v[32:33], v[28:29]
	v_add_f32_e32 v1, v1, v10
	v_add_f32_e32 v1, v1, v11
	v_cmp_gt_u32_e64 s[4:5], 32, v19
	v_mov_b32_e32 v17, 0
	s_barrier
	ds_write_b32 v21, v1
	s_waitcnt lgkmcnt(0)
	s_barrier
	s_and_saveexec_b64 s[14:15], s[4:5]
	s_cbranch_execz .LBB81_29
; %bb.28:
	v_lshlrev_b32_e32 v1, 2, v20
	ds_read2_b32 v[10:11], v1 offset1:1
	ds_read2_b32 v[26:27], v1 offset0:2 offset1:3
	ds_read2_b32 v[28:29], v1 offset0:4 offset1:5
	;; [unrolled: 1-line block ×3, first 2 shown]
	s_waitcnt lgkmcnt(3)
	v_add_f32_e32 v1, v10, v11
	s_waitcnt lgkmcnt(2)
	v_add_f32_e32 v1, v1, v26
	v_add_f32_e32 v1, v1, v27
	s_waitcnt lgkmcnt(1)
	v_add_f32_e32 v1, v1, v28
	;; [unrolled: 3-line block ×3, first 2 shown]
	v_add_f32_e32 v17, v1, v31
.LBB81_29:
	s_or_b64 exec, exec, s[14:15]
	s_lshl_b64 s[22:23], s[20:21], 7
	v_mov_b32_e32 v1, s23
	v_add_co_u32_e32 v10, vcc, s22, v2
	v_addc_co_u32_e32 v11, vcc, v3, v1, vcc
	v_add_co_u32_e32 v2, vcc, 0x80, v10
	v_cndmask_b32_e64 v1, 0, 1, s[40:41]
	s_mov_b64 s[16:17], vcc
	s_lshl_b64 s[38:39], s[20:21], 5
	v_cmp_ne_u32_e64 s[14:15], 1, v1
	s_andn2_b64 vcc, exec, s[40:41]
	v_addc_co_u32_e64 v1, s[16:17], 0, v11, s[16:17]
	s_barrier
	s_cbranch_vccnz .LBB81_31
; %bb.30:
	v_mov_b32_e32 v3, s39
	v_add_co_u32_e32 v26, vcc, s38, v10
	v_addc_co_u32_e32 v27, vcc, v11, v3, vcc
	v_add_co_u32_e32 v28, vcc, s38, v26
	v_addc_co_u32_e32 v29, vcc, v27, v3, vcc
	v_mov_b32_e32 v3, 0x60
	v_mad_u64_u32 v[30:31], s[16:17], s20, v3, v[10:11]
	s_mul_i32 s16, s21, 0x60
	v_add_u32_e32 v31, s16, v31
	global_load_dword v3, v[10:11], off offset:128
	global_load_dword v25, v[26:27], off offset:128
	;; [unrolled: 1-line block ×4, first 2 shown]
	v_mul_u32_u24_e32 v10, 33, v12
	v_add_lshl_u32 v10, v10, v0, 2
	s_waitcnt vmcnt(3)
	ds_write_b32 v10, v3
	s_waitcnt vmcnt(2)
	ds_write_b32 v10, v25 offset:1056
	s_waitcnt vmcnt(1)
	ds_write_b32 v10, v32 offset:2112
	;; [unrolled: 2-line block ×3, first 2 shown]
	s_cbranch_execz .LBB81_32
	s_branch .LBB81_41
.LBB81_31:
.LBB81_32:
	v_lshlrev_b32_e32 v3, 2, v0
	v_sub_co_u32_e32 v11, vcc, v2, v3
	s_ashr_i32 s25, s24, 31
	v_subbrev_co_u32_e32 v25, vcc, 0, v1, vcc
	s_lshl_b64 s[40:41], s[24:25], 2
	v_mov_b32_e32 v27, s41
	v_add_co_u32_e32 v11, vcc, s40, v11
	v_addc_co_u32_e32 v25, vcc, v25, v27, vcc
	v_or_b32_e32 v10, 32, v0
	v_add_co_u32_e32 v27, vcc, 0xffffff7c, v11
	v_addc_co_u32_e32 v11, vcc, -1, v25, vcc
	v_cmp_gt_i32_e64 s[16:17], s24, v10
	s_sub_i32 s25, s24, 32
	v_mov_b32_e32 v26, 0
	v_cndmask_b32_e64 v11, v11, v1, s[16:17]
	v_cndmask_b32_e64 v10, v27, v2, s[16:17]
	v_cmp_gt_i32_e32 vcc, s25, v12
	v_mov_b32_e32 v27, 0
	s_and_saveexec_b64 s[42:43], vcc
	s_cbranch_execz .LBB81_34
; %bb.33:
	global_load_dword v27, v[10:11], off
.LBB81_34:
	s_or_b64 exec, exec, s[42:43]
	v_mul_u32_u24_e32 v25, 33, v12
	v_add_lshl_u32 v25, v25, v0, 2
	s_waitcnt vmcnt(0)
	ds_write_b32 v25, v27
	v_add_u32_e32 v27, 8, v12
	v_cmp_gt_i32_e32 vcc, s25, v27
	s_and_saveexec_b64 s[42:43], vcc
	s_cbranch_execz .LBB81_36
; %bb.35:
	v_mov_b32_e32 v27, s39
	v_add_co_u32_e32 v26, vcc, s38, v10
	v_addc_co_u32_e32 v27, vcc, v11, v27, vcc
	global_load_dword v26, v[26:27], off
.LBB81_36:
	s_or_b64 exec, exec, s[42:43]
	s_waitcnt vmcnt(0)
	ds_write_b32 v25, v26 offset:1056
	v_add_u32_e32 v26, 16, v12
	v_cmp_gt_i32_e32 vcc, s25, v26
	v_mov_b32_e32 v26, 0
	v_mov_b32_e32 v27, 0
	s_and_saveexec_b64 s[42:43], vcc
	s_cbranch_execz .LBB81_38
; %bb.37:
	s_lshl_b64 s[46:47], s[20:21], 6
	v_mov_b32_e32 v27, s47
	v_add_co_u32_e32 v28, vcc, s46, v10
	v_addc_co_u32_e32 v29, vcc, v11, v27, vcc
	global_load_dword v27, v[28:29], off
.LBB81_38:
	s_or_b64 exec, exec, s[42:43]
	s_waitcnt vmcnt(0)
	ds_write_b32 v25, v27 offset:2112
	v_add_u32_e32 v27, 24, v12
	v_cmp_gt_i32_e32 vcc, s25, v27
	s_and_saveexec_b64 s[42:43], vcc
	s_cbranch_execz .LBB81_40
; %bb.39:
	v_mov_b32_e32 v26, 0x60
	v_mad_u64_u32 v[26:27], s[46:47], s20, v26, v[10:11]
	s_mul_i32 s25, s21, 0x60
	v_add_u32_e32 v27, s25, v27
	global_load_dword v26, v[26:27], off
.LBB81_40:
	s_or_b64 exec, exec, s[42:43]
	v_add_co_u32_e32 v3, vcc, v10, v3
	v_addc_co_u32_e32 v10, vcc, 0, v11, vcc
	v_mov_b32_e32 v11, s41
	v_subrev_co_u32_e32 v3, vcc, s40, v3
	v_subb_co_u32_e32 v10, vcc, v10, v11, vcc
	v_add_co_u32_e32 v3, vcc, 0x84, v3
	v_addc_co_u32_e32 v10, vcc, 0, v10, vcc
	v_cndmask_b32_e64 v1, v10, v1, s[16:17]
	v_cndmask_b32_e64 v2, v3, v2, s[16:17]
	s_waitcnt vmcnt(0)
	ds_write_b32 v25, v26 offset:3168
.LBB81_41:
	v_add_u32_e32 v22, 0x11c0, v22
	s_waitcnt lgkmcnt(0)
	s_barrier
	s_and_saveexec_b64 s[16:17], s[18:19]
	s_cbranch_execnz .LBB81_50
; %bb.42:
	s_or_b64 exec, exec, s[16:17]
	s_and_saveexec_b64 s[16:17], s[8:9]
	s_cbranch_execnz .LBB81_51
.LBB81_43:
	s_or_b64 exec, exec, s[16:17]
	s_and_saveexec_b64 s[8:9], s[10:11]
	s_cbranch_execnz .LBB81_52
.LBB81_44:
	s_or_b64 exec, exec, s[8:9]
	s_and_saveexec_b64 s[8:9], s[12:13]
	s_cbranch_execz .LBB81_46
.LBB81_45:
	ds_read_b32 v3, v15
	s_waitcnt lgkmcnt(0)
	ds_write_b32 v13, v3 offset:12
.LBB81_46:
	s_or_b64 exec, exec, s[8:9]
	s_waitcnt lgkmcnt(0)
	s_barrier
	ds_read_b32 v3, v23
	ds_read_b128 v[26:29], v22 offset:128
	ds_read2_b32 v[10:11], v24 offset1:33
	ds_read_b32 v15, v15
	v_cmp_eq_u32_e64 s[10:11], 1, v12
	s_waitcnt lgkmcnt(0)
	v_fma_f32 v3, v3, v26, 0
	v_fmac_f32_e32 v3, v10, v27
	v_fmac_f32_e32 v3, v11, v28
	;; [unrolled: 1-line block ×3, first 2 shown]
	s_barrier
	ds_write_b32 v21, v3
	s_waitcnt lgkmcnt(0)
	s_barrier
	s_and_saveexec_b64 s[8:9], s[10:11]
	s_cbranch_execz .LBB81_48
; %bb.47:
	v_lshlrev_b32_e32 v3, 2, v20
	ds_read2_b32 v[10:11], v3 offset1:1
	ds_read2_b32 v[24:25], v3 offset0:2 offset1:3
	ds_read2_b32 v[26:27], v3 offset0:4 offset1:5
	;; [unrolled: 1-line block ×3, first 2 shown]
	s_waitcnt lgkmcnt(3)
	v_add_f32_e32 v3, v10, v11
	s_waitcnt lgkmcnt(2)
	v_add_f32_e32 v3, v3, v24
	v_add_f32_e32 v3, v3, v25
	s_waitcnt lgkmcnt(1)
	v_add_f32_e32 v3, v3, v26
	;; [unrolled: 3-line block ×3, first 2 shown]
	v_add_f32_e32 v17, v3, v29
.LBB81_48:
	s_or_b64 exec, exec, s[8:9]
	s_lshl_b64 s[8:9], s[38:39], 2
	v_mov_b32_e32 v3, s9
	v_subrev_co_u32_e64 v10, s[8:9], s8, v2
	s_and_b64 vcc, exec, s[14:15]
	v_subb_co_u32_e64 v11, s[8:9], v1, v3, s[8:9]
	s_barrier
	s_cbranch_vccnz .LBB81_53
; %bb.49:
	v_mov_b32_e32 v1, s39
	v_add_co_u32_e32 v2, vcc, s38, v10
	v_addc_co_u32_e32 v3, vcc, v11, v1, vcc
	v_add_co_u32_e32 v24, vcc, s38, v2
	v_addc_co_u32_e32 v25, vcc, v3, v1, vcc
	v_mov_b32_e32 v1, 0x60
	v_mad_u64_u32 v[26:27], s[8:9], s20, v1, v[10:11]
	s_mul_i32 s8, s21, 0x60
	v_add_u32_e32 v27, s8, v27
	global_load_dword v29, v[10:11], off
	global_load_dword v30, v[2:3], off
	;; [unrolled: 1-line block ×4, first 2 shown]
	v_mad_u32_u24 v15, v12, 33, v0
	v_add_u32_e32 v1, 8, v12
	v_add_u32_e32 v23, 16, v12
	;; [unrolled: 1-line block ×3, first 2 shown]
	v_lshlrev_b32_e32 v2, 2, v15
	v_add_u32_e32 v28, 0x108, v15
	v_add_u32_e32 v26, 0x210, v15
	;; [unrolled: 1-line block ×3, first 2 shown]
	s_waitcnt vmcnt(3)
	ds_write_b32 v2, v29
	s_waitcnt vmcnt(2)
	ds_write_b32 v2, v30 offset:1056
	s_waitcnt vmcnt(1)
	ds_write_b32 v2, v31 offset:2112
	;; [unrolled: 2-line block ×3, first 2 shown]
	s_cbranch_execz .LBB81_54
	s_branch .LBB81_63
.LBB81_50:
	ds_read_b32 v3, v23
	s_waitcnt lgkmcnt(0)
	ds_write_b32 v13, v3
	s_or_b64 exec, exec, s[16:17]
	s_and_saveexec_b64 s[16:17], s[8:9]
	s_cbranch_execz .LBB81_43
.LBB81_51:
	ds_read_b32 v3, v24
	s_waitcnt lgkmcnt(0)
	ds_write_b32 v13, v3 offset:4
	s_or_b64 exec, exec, s[16:17]
	s_and_saveexec_b64 s[8:9], s[10:11]
	s_cbranch_execz .LBB81_44
.LBB81_52:
	ds_read_b32 v3, v24 offset:132
	s_waitcnt lgkmcnt(0)
	ds_write_b32 v13, v3 offset:8
	s_or_b64 exec, exec, s[8:9]
	s_and_saveexec_b64 s[8:9], s[12:13]
	s_cbranch_execnz .LBB81_45
	s_branch .LBB81_46
.LBB81_53:
                                        ; implicit-def: $vgpr15
                                        ; implicit-def: $vgpr1
                                        ; implicit-def: $vgpr28
                                        ; implicit-def: $vgpr23
                                        ; implicit-def: $vgpr26
                                        ; implicit-def: $vgpr24
                                        ; implicit-def: $vgpr27
.LBB81_54:
	v_lshlrev_b32_e32 v25, 2, v0
	v_sub_co_u32_e32 v2, vcc, v10, v25
	s_ashr_i32 s25, s24, 31
	v_subbrev_co_u32_e32 v3, vcc, 0, v11, vcc
	s_lshl_b64 s[12:13], s[24:25], 2
	v_mov_b32_e32 v15, s13
	v_add_co_u32_e32 v2, vcc, s12, v2
	v_addc_co_u32_e32 v3, vcc, v3, v15, vcc
	v_or_b32_e32 v1, 32, v0
	v_add_co_u32_e32 v2, vcc, 0xffffff7c, v2
	v_addc_co_u32_e32 v3, vcc, -1, v3, vcc
	v_cmp_gt_i32_e64 s[8:9], s24, v1
	v_mov_b32_e32 v23, 0
	v_cndmask_b32_e64 v3, v3, v11, s[8:9]
	v_cndmask_b32_e64 v2, v2, v10, s[8:9]
	v_cmp_gt_i32_e32 vcc, s24, v12
	v_mov_b32_e32 v1, 0
	s_and_saveexec_b64 s[14:15], vcc
	s_cbranch_execz .LBB81_56
; %bb.55:
	global_load_dword v1, v[2:3], off
.LBB81_56:
	s_or_b64 exec, exec, s[14:15]
	v_mad_u32_u24 v15, v12, 33, v0
	v_lshlrev_b32_e32 v0, 2, v15
	s_waitcnt vmcnt(0)
	ds_write_b32 v0, v1
	v_add_u32_e32 v1, 8, v12
	v_cmp_gt_i32_e32 vcc, s24, v1
	s_and_saveexec_b64 s[14:15], vcc
	s_cbranch_execz .LBB81_58
; %bb.57:
	v_mov_b32_e32 v23, s39
	v_add_co_u32_e32 v26, vcc, s38, v2
	v_addc_co_u32_e32 v27, vcc, v3, v23, vcc
	global_load_dword v23, v[26:27], off
.LBB81_58:
	s_or_b64 exec, exec, s[14:15]
	s_waitcnt vmcnt(0)
	ds_write_b32 v0, v23 offset:1056
	v_add_u32_e32 v23, 16, v12
	v_cmp_gt_i32_e32 vcc, s24, v23
	v_mov_b32_e32 v29, 0
	v_mov_b32_e32 v24, 0
	s_and_saveexec_b64 s[14:15], vcc
	s_cbranch_execz .LBB81_60
; %bb.59:
	s_lshl_b64 s[16:17], s[20:21], 6
	v_mov_b32_e32 v24, s17
	v_add_co_u32_e32 v26, vcc, s16, v2
	v_addc_co_u32_e32 v27, vcc, v3, v24, vcc
	global_load_dword v24, v[26:27], off
.LBB81_60:
	s_or_b64 exec, exec, s[14:15]
	s_waitcnt vmcnt(0)
	ds_write_b32 v0, v24 offset:2112
	v_add_u32_e32 v24, 24, v12
	v_cmp_gt_i32_e32 vcc, s24, v24
	s_and_saveexec_b64 s[14:15], vcc
	s_cbranch_execz .LBB81_62
; %bb.61:
	v_mov_b32_e32 v12, 0x60
	v_mad_u64_u32 v[26:27], s[16:17], s20, v12, v[2:3]
	s_mul_i32 s16, s21, 0x60
	v_add_u32_e32 v27, s16, v27
	global_load_dword v29, v[26:27], off
.LBB81_62:
	s_or_b64 exec, exec, s[14:15]
	s_waitcnt vmcnt(0)
	ds_write_b32 v0, v29 offset:3168
	v_add_co_u32_e32 v0, vcc, v2, v25
	v_addc_co_u32_e32 v2, vcc, 0, v3, vcc
	v_mov_b32_e32 v3, s13
	v_subrev_co_u32_e32 v0, vcc, s12, v0
	v_subb_co_u32_e32 v2, vcc, v2, v3, vcc
	v_add_co_u32_e32 v0, vcc, 0x84, v0
	v_addc_co_u32_e32 v2, vcc, 0, v2, vcc
	v_add_u32_e32 v28, 0x108, v15
	v_add_u32_e32 v26, 0x210, v15
	;; [unrolled: 1-line block ×3, first 2 shown]
	v_cndmask_b32_e64 v11, v2, v11, s[8:9]
	v_cndmask_b32_e64 v10, v0, v10, s[8:9]
.LBB81_63:
	s_waitcnt lgkmcnt(0)
	s_barrier
	v_lshlrev_b32_e32 v0, 2, v15
	ds_read_b32 v25, v14 offset:4544
	v_lshlrev_b32_e32 v2, 2, v28
	ds_read_b32 v28, v0
	ds_read_b32 v29, v2
	v_lshlrev_b32_e32 v0, 2, v1
	v_lshlrev_b32_e32 v1, 2, v26
	v_lshlrev_b32_e32 v2, 2, v23
	v_lshlrev_b32_e32 v3, 2, v27
	v_lshlrev_b32_e32 v12, 2, v24
	ds_read_b32 v23, v0 offset:4544
	ds_read_b32 v24, v1
	ds_read_b32 v26, v2 offset:4544
	ds_read_b32 v27, v3
	ds_read_b32 v30, v12 offset:4544
	ds_read2_b32 v[14:15], v13 offset1:1
	ds_read_b128 v[0:3], v22 offset:128
	ds_read2_b32 v[12:13], v13 offset0:2 offset1:3
	s_waitcnt lgkmcnt(9)
	v_fma_f32 v22, v28, v25, 0
	s_waitcnt lgkmcnt(7)
	v_fmac_f32_e32 v22, v29, v23
	s_waitcnt lgkmcnt(5)
	v_fmac_f32_e32 v22, v24, v26
	;; [unrolled: 2-line block ×3, first 2 shown]
	s_waitcnt lgkmcnt(0)
	s_barrier
	ds_write_b32 v21, v22
	s_waitcnt lgkmcnt(0)
	s_barrier
	s_and_saveexec_b64 s[8:9], s[10:11]
	s_cbranch_execz .LBB81_65
; %bb.64:
	v_lshlrev_b32_e32 v28, 2, v20
	ds_read2_b32 v[22:23], v28 offset1:1
	ds_read2_b32 v[24:25], v28 offset0:2 offset1:3
	ds_read2_b32 v[26:27], v28 offset0:4 offset1:5
	;; [unrolled: 1-line block ×3, first 2 shown]
	s_waitcnt lgkmcnt(3)
	v_add_f32_e32 v17, v17, v22
	v_add_f32_e32 v17, v17, v23
	s_waitcnt lgkmcnt(2)
	v_add_f32_e32 v17, v17, v24
	v_add_f32_e32 v17, v17, v25
	;; [unrolled: 3-line block ×4, first 2 shown]
.LBB81_65:
	s_or_b64 exec, exec, s[8:9]
	v_fma_f32 v0, v14, v0, 0
	v_fmac_f32_e32 v0, v15, v1
	v_fmac_f32_e32 v0, v12, v2
	;; [unrolled: 1-line block ×3, first 2 shown]
	s_barrier
	ds_write_b32 v21, v0
	s_waitcnt lgkmcnt(0)
	s_barrier
	s_and_saveexec_b64 s[8:9], s[4:5]
	s_cbranch_execz .LBB81_67
; %bb.66:
	v_lshlrev_b32_e32 v14, 2, v20
	ds_read2_b32 v[0:1], v14 offset1:1
	ds_read2_b32 v[2:3], v14 offset0:2 offset1:3
	ds_read2_b32 v[12:13], v14 offset0:4 offset1:5
	;; [unrolled: 1-line block ×3, first 2 shown]
	s_waitcnt lgkmcnt(3)
	v_add_f32_e32 v0, v17, v0
	v_add_f32_e32 v0, v0, v1
	s_waitcnt lgkmcnt(2)
	v_add_f32_e32 v0, v0, v2
	v_add_f32_e32 v0, v0, v3
	;; [unrolled: 3-line block ×4, first 2 shown]
.LBB81_67:
	s_or_b64 exec, exec, s[8:9]
	s_mul_hi_u32 s4, s33, s7
	s_mul_i32 s45, s45, s7
	s_add_i32 s4, s4, s45
	s_mul_i32 s7, s33, s7
	s_mul_i32 s4, s4, s44
	s_mul_hi_u32 s5, s7, s44
	s_add_i32 s5, s5, s4
	s_mul_i32 s4, s7, s44
	s_lshl_b64 s[4:5], s[4:5], 2
	s_add_u32 s7, s28, s4
	s_mul_i32 s4, s6, s33
	s_addc_u32 s8, s29, s5
	s_ashr_i32 s5, s4, 31
	s_lshl_b64 s[4:5], s[4:5], 2
	s_add_u32 s7, s7, s4
	v_cmp_le_i32_e32 vcc, s24, v18
	s_addc_u32 s28, s8, s5
	s_and_b64 vcc, s[34:35], vcc
	s_cmp_lt_i32 s6, 1
	v_lshlrev_b32_e32 v12, 2, v18
	s_barrier
	s_cbranch_scc1 .LBB81_74
; %bb.68:
	s_mul_i32 s4, s26, s37
	s_mul_hi_u32 s5, s26, s36
	s_add_i32 s4, s5, s4
	s_mul_i32 s5, s27, s36
	s_add_i32 s5, s4, s5
	s_mul_i32 s4, s26, s36
	s_lshl_b64 s[4:5], s[4:5], 2
	v_mov_b32_e32 v0, s5
	v_subrev_co_u32_e64 v6, s[4:5], s4, v6
	v_subb_co_u32_e64 v7, s[4:5], v7, v0, s[4:5]
	v_mov_b32_e32 v0, s31
	v_subrev_co_u32_e64 v1, s[4:5], s30, v10
	v_subb_co_u32_e64 v0, s[4:5], v11, v0, s[4:5]
	v_lshlrev_b32_e32 v3, 2, v16
	v_sub_co_u32_e64 v8, s[4:5], v1, v8
	v_subb_co_u32_e64 v9, s[4:5], v0, v9, s[4:5]
	v_mad_u64_u32 v[0:1], s[4:5], v3, s20, 0
	v_mov_b32_e32 v2, v1
	v_mad_u64_u32 v[2:3], s[4:5], v3, s21, v[2:3]
	v_mov_b32_e32 v1, v2
	v_lshlrev_b64 v[0:1], 2, v[0:1]
	v_add_co_u32_e64 v0, s[4:5], v8, v0
	v_addc_co_u32_e64 v2, s[4:5], v9, v1, s[4:5]
	s_ashr_i32 s25, s24, 31
	s_lshl_b64 s[4:5], s[24:25], 2
	v_mov_b32_e32 v1, s5
	v_add_co_u32_e64 v3, s[4:5], s4, v0
	v_addc_co_u32_e64 v1, s[4:5], v2, v1, s[4:5]
	s_movk_i32 s4, 0xff7c
	v_add_co_u32_e64 v8, s[4:5], s4, v3
	v_addc_co_u32_e64 v3, s[4:5], -1, v1, s[4:5]
	v_add_co_u32_e64 v0, s[4:5], v0, v12
	v_addc_co_u32_e64 v2, s[4:5], 0, v2, s[4:5]
	s_movk_i32 s4, 0xff80
	v_add_co_u32_e64 v0, s[4:5], s4, v0
	v_addc_co_u32_e64 v2, s[4:5], -1, v2, s[4:5]
	v_cndmask_b32_e32 v3, v2, v3, vcc
	v_cndmask_b32_e32 v2, v0, v8, vcc
	v_lshrrev_b32_e32 v0, 2, v19
	v_and_b32_e32 v21, 48, v18
	v_and_b32_e32 v20, 15, v18
	;; [unrolled: 1-line block ×3, first 2 shown]
	v_lshlrev_b32_e32 v10, 2, v21
	s_movk_i32 s8, 0x10c
	v_or_b32_e32 v11, 60, v12
	v_and_b32_e32 v13, 0x1fff0, v19
	s_movk_i32 s9, 0x430
	v_mad_u32_u24 v10, v20, s8, v10
	v_mad_u32_u24 v11, v20, s8, v11
	;; [unrolled: 1-line block ×5, first 2 shown]
	s_mul_i32 s8, s21, 12
	s_mul_hi_u32 s9, s20, 12
	s_add_i32 s8, s9, s8
	s_mul_i32 s9, s21, 0x48
	s_mul_hi_u32 s16, s20, 0x48
	s_add_i32 s9, s16, s9
	;; [unrolled: 3-line block ×10, first 2 shown]
	s_mul_i32 s16, s21, 0x44
	s_mul_hi_u32 s17, s20, 0x44
	v_mov_b32_e32 v14, 0x10c0
	s_lshl_b64 s[10:11], s[20:21], 2
	s_lshl_b64 s[14:15], s[20:21], 3
	s_add_i32 s45, s17, s16
	s_lshl_b64 s[16:17], s[20:21], 6
	v_mov_b32_e32 v1, 0
	v_add_u32_e32 v8, 0x10c0, v12
	v_add_u32_e32 v9, 0x11c0, v12
	v_cmp_gt_u32_e64 s[4:5], 64, v19
	v_lshl_add_u32 v14, v16, 4, v14
	s_lshl_b64 s[12:13], s[20:21], 8
	s_mul_i32 s24, s20, 12
	s_mul_i32 s25, s20, 0x48
	;; [unrolled: 1-line block ×11, first 2 shown]
	v_or_b32_e32 v19, v21, v20
	s_mov_b32 s20, 0
	v_mov_b32_e32 v20, s11
	v_mov_b32_e32 v21, s15
	;; [unrolled: 1-line block ×15, first 2 shown]
	s_branch .LBB81_70
.LBB81_69:                              ;   in Loop: Header=BB81_70 Depth=1
	s_or_b64 exec, exec, s[18:19]
	v_fmac_f32_e32 v17, v35, v39
	v_fmac_f32_e32 v17, v36, v40
	v_fmac_f32_e32 v17, v37, v41
	v_fmac_f32_e32 v17, v38, v42
	v_fmac_f32_e32 v17, v46, v47
	v_fmac_f32_e32 v17, v44, v48
	v_fmac_f32_e32 v17, v43, v49
	v_fmac_f32_e32 v17, v45, v50
	v_fmac_f32_e32 v17, v54, v55
	v_fmac_f32_e32 v17, v52, v56
	v_fmac_f32_e32 v17, v51, v57
	v_fmac_f32_e32 v17, v53, v58
	v_fmac_f32_e32 v17, v60, v63
	v_fmac_f32_e32 v17, v59, v64
	v_fmac_f32_e32 v17, v61, v65
	v_mov_b32_e32 v0, s13
	s_add_i32 s20, s20, 64
	s_add_i32 s6, s6, -1
	v_add_co_u32_e64 v2, s[8:9], s12, v2
	v_fmac_f32_e32 v17, v62, v66
	s_cmp_eq_u32 s6, 0
	v_addc_co_u32_e64 v3, s[8:9], v3, v0, s[8:9]
	s_barrier
	s_cbranch_scc1 .LBB81_74
.LBB81_70:                              ; =>This Inner Loop Header: Depth=1
	s_and_saveexec_b64 s[18:19], s[2:3]
	s_cbranch_execz .LBB81_72
; %bb.71:                               ;   in Loop: Header=BB81_70 Depth=1
	s_mul_i32 s8, s20, s37
	s_mul_hi_u32 s9, s20, s36
	s_add_i32 s9, s9, s8
	s_mul_i32 s8, s20, s36
	s_lshl_b64 s[8:9], s[8:9], 2
	v_mov_b32_e32 v0, s9
	v_add_co_u32_e64 v36, s[8:9], s8, v6
	v_addc_co_u32_e64 v37, s[8:9], v7, v0, s[8:9]
	global_load_dword v0, v[36:37], off
	s_waitcnt vmcnt(0)
	ds_write_b32 v8, v0
.LBB81_72:                              ;   in Loop: Header=BB81_70 Depth=1
	s_or_b64 exec, exec, s[18:19]
	v_add_co_u32_e64 v38, s[8:9], s10, v2
	v_addc_co_u32_e64 v39, s[8:9], v3, v20, s[8:9]
	v_add_co_u32_e64 v40, s[8:9], s14, v2
	s_waitcnt lgkmcnt(0)
	s_barrier
	global_load_dword v35, v[2:3], off
	v_addc_co_u32_e64 v41, s[8:9], v3, v21, s[8:9]
	global_load_dword v36, v[38:39], off
	global_load_dword v37, v[40:41], off
	v_add_co_u32_e64 v38, s[8:9], s24, v2
	v_addc_co_u32_e64 v39, s[8:9], v3, v22, s[8:9]
	global_load_dword v38, v[38:39], off
	ds_read_b32 v0, v9
	ds_read_b32 v39, v14
	v_add_co_u32_e64 v48, s[8:9], s16, v2
	v_addc_co_u32_e64 v49, s[8:9], v3, v23, s[8:9]
	v_add_co_u32_e64 v50, s[8:9], s38, v2
	v_addc_co_u32_e64 v51, s[8:9], v3, v24, s[8:9]
	;; [unrolled: 2-line block ×8, first 2 shown]
	s_waitcnt vmcnt(3) lgkmcnt(1)
	v_mul_f32_e32 v40, v35, v0
	ds_write_b32 v15, v40
	s_waitcnt vmcnt(2)
	v_mul_f32_e32 v41, v36, v0
	s_waitcnt vmcnt(1)
	v_mul_f32_e32 v42, v37, v0
	ds_read_b32 v40, v14 offset:4
	ds_write_b32 v15, v41 offset:268
	ds_read_b32 v41, v14 offset:8
	ds_write_b32 v15, v42 offset:536
	s_waitcnt vmcnt(0)
	v_mul_f32_e32 v0, v38, v0
	ds_read_b32 v42, v14 offset:12
	ds_write_b32 v15, v0 offset:804
	s_waitcnt lgkmcnt(0)
	s_barrier
	ds_read2_b32 v[64:65], v13 offset1:1
	ds_read2_b32 v[66:67], v13 offset0:2 offset1:3
	s_waitcnt lgkmcnt(0)
	s_barrier
	global_load_dword v46, v[48:49], off
	global_load_dword v44, v[50:51], off
	;; [unrolled: 1-line block ×4, first 2 shown]
	ds_read_b32 v0, v9
	ds_read_b32 v47, v14 offset:64
	s_waitcnt vmcnt(3) lgkmcnt(1)
	v_mul_f32_e32 v48, v46, v0
	s_waitcnt vmcnt(2)
	v_mul_f32_e32 v49, v44, v0
	ds_write_b32 v15, v48
	s_waitcnt vmcnt(1)
	v_mul_f32_e32 v50, v43, v0
	ds_read_b32 v48, v14 offset:68
	ds_write_b32 v15, v49 offset:268
	s_waitcnt vmcnt(0)
	v_mul_f32_e32 v0, v45, v0
	ds_read_b32 v49, v14 offset:72
	ds_write_b32 v15, v50 offset:536
	ds_read_b32 v50, v14 offset:76
	ds_write_b32 v15, v0 offset:804
	s_waitcnt lgkmcnt(0)
	s_barrier
	ds_read2_b32 v[68:69], v13 offset1:1
	ds_read2_b32 v[70:71], v13 offset0:2 offset1:3
	s_waitcnt lgkmcnt(0)
	s_barrier
	global_load_dword v54, v[56:57], off
	global_load_dword v52, v[58:59], off
	;; [unrolled: 1-line block ×4, first 2 shown]
	ds_read_b32 v0, v9
	ds_read_b32 v55, v14 offset:128
	v_add_co_u32_e64 v62, s[8:9], s34, v2
	v_addc_co_u32_e64 v63, s[8:9], v3, v31, s[8:9]
	v_add_co_u32_e64 v72, s[8:9], s33, v2
	v_addc_co_u32_e64 v73, s[8:9], v3, v32, s[8:9]
	;; [unrolled: 2-line block ×4, first 2 shown]
	s_waitcnt vmcnt(3) lgkmcnt(1)
	v_mul_f32_e32 v56, v54, v0
	s_waitcnt vmcnt(2)
	v_mul_f32_e32 v57, v52, v0
	ds_write_b32 v15, v56
	s_waitcnt vmcnt(1)
	v_mul_f32_e32 v58, v51, v0
	ds_read_b32 v56, v14 offset:132
	ds_write_b32 v15, v57 offset:268
	s_waitcnt vmcnt(0)
	v_mul_f32_e32 v0, v53, v0
	ds_read_b32 v57, v14 offset:136
	ds_write_b32 v15, v58 offset:536
	ds_read_b32 v58, v14 offset:140
	ds_write_b32 v15, v0 offset:804
	s_waitcnt lgkmcnt(0)
	s_barrier
	ds_read2_b32 v[78:79], v13 offset1:1
	ds_read2_b32 v[80:81], v13 offset0:2 offset1:3
	s_waitcnt lgkmcnt(0)
	s_barrier
	global_load_dword v60, v[62:63], off
	global_load_dword v59, v[72:73], off
                                        ; kill: killed $vgpr72 killed $vgpr73
                                        ; kill: killed $vgpr62 killed $vgpr63
	global_load_dword v61, v[74:75], off
	s_nop 0
	global_load_dword v62, v[76:77], off
	v_add_f32_e32 v0, 0, v64
	v_add_f32_e32 v63, 0, v68
	;; [unrolled: 1-line block ×8, first 2 shown]
	ds_read_b32 v64, v9
	ds_read_b32 v63, v14 offset:192
	v_add_f32_e32 v65, 0, v78
	v_add_f32_e32 v65, v65, v79
	;; [unrolled: 1-line block ×4, first 2 shown]
	s_waitcnt vmcnt(3) lgkmcnt(1)
	v_mul_f32_e32 v65, v60, v64
	s_waitcnt vmcnt(2)
	v_mul_f32_e32 v66, v59, v64
	ds_write_b32 v15, v65
	s_waitcnt vmcnt(1)
	v_mul_f32_e32 v68, v61, v64
	s_waitcnt vmcnt(0)
	v_mul_f32_e32 v69, v62, v64
	ds_read_b32 v64, v14 offset:196
	ds_write_b32 v15, v66 offset:268
	ds_read_b32 v65, v14 offset:200
	ds_write_b32 v15, v68 offset:536
	;; [unrolled: 2-line block ×3, first 2 shown]
	s_waitcnt lgkmcnt(0)
	s_barrier
	ds_read2_b32 v[68:69], v13 offset1:1
	ds_read2_b32 v[70:71], v13 offset0:2 offset1:3
	s_waitcnt lgkmcnt(0)
	s_barrier
	ds_write2_b32 v18, v0, v67 offset1:16
	v_add_f32_e32 v0, 0, v68
	v_add_f32_e32 v0, v0, v69
	v_add_f32_e32 v0, v0, v70
	v_add_f32_e32 v0, v0, v71
	ds_write2_b32 v18, v72, v0 offset0:32 offset1:48
	s_waitcnt lgkmcnt(0)
	s_barrier
	s_and_saveexec_b64 s[18:19], s[4:5]
	s_cbranch_execz .LBB81_69
; %bb.73:                               ;   in Loop: Header=BB81_70 Depth=1
	ds_read2_b32 v[68:69], v10 offset1:1
	ds_read2_b32 v[70:71], v10 offset0:2 offset1:3
	ds_read2_b32 v[72:73], v10 offset0:4 offset1:5
	;; [unrolled: 1-line block ×3, first 2 shown]
	s_waitcnt lgkmcnt(3)
	v_add_f32_e32 v0, v68, v69
	s_waitcnt lgkmcnt(2)
	v_add_f32_e32 v0, v0, v70
	v_add_f32_e32 v0, v0, v71
	ds_read2_b32 v[68:69], v10 offset0:8 offset1:9
	s_waitcnt lgkmcnt(2)
	v_add_f32_e32 v0, v0, v72
	v_add_f32_e32 v0, v0, v73
	s_waitcnt lgkmcnt(1)
	v_add_f32_e32 v0, v0, v74
	v_add_f32_e32 v0, v0, v75
	ds_read2_b32 v[70:71], v10 offset0:10 offset1:11
	ds_read2_b32 v[72:73], v10 offset0:12 offset1:13
	ds_read_b32 v67, v10 offset:56
	s_waitcnt lgkmcnt(3)
	v_add_f32_e32 v0, v0, v68
	v_add_f32_e32 v0, v0, v69
	s_waitcnt lgkmcnt(2)
	v_add_f32_e32 v0, v0, v70
	ds_read_b32 v68, v11
	v_add_f32_e32 v0, v0, v71
	s_waitcnt lgkmcnt(2)
	v_add_f32_e32 v0, v0, v72
	v_add_f32_e32 v0, v0, v73
	s_waitcnt lgkmcnt(1)
	v_add_f32_e32 v0, v0, v67
	s_waitcnt lgkmcnt(0)
	v_add_f32_e32 v67, v0, v68
	v_add_u32_e32 v0, s20, v19
	v_lshlrev_b64 v[68:69], 2, v[0:1]
	v_mov_b32_e32 v0, s28
	v_add_co_u32_e64 v68, s[8:9], s7, v68
	v_addc_co_u32_e64 v69, s[8:9], v0, v69, s[8:9]
	global_store_dword v[68:69], v67, off
	s_branch .LBB81_69
.LBB81_74:
	s_movk_i32 s2, 0x10c
	s_or_b64 s[0:1], s[0:1], vcc
	v_mad_u32_u24 v0, v16, s2, v12
	s_xor_b64 s[0:1], s[0:1], -1
	ds_write_b32 v0, v17
	s_waitcnt lgkmcnt(0)
	s_barrier
	s_and_saveexec_b64 s[2:3], s[0:1]
	s_cbranch_execz .LBB81_76
; %bb.75:
	ds_read2_b32 v[0:1], v12 offset1:67
	ds_read2_b32 v[2:3], v12 offset0:134 offset1:201
	v_lshlrev_b64 v[4:5], 2, v[4:5]
	v_mov_b32_e32 v6, s28
	s_waitcnt lgkmcnt(1)
	v_add_f32_e32 v0, v0, v1
	s_waitcnt lgkmcnt(0)
	v_add_f32_e32 v0, v0, v2
	v_add_f32_e32 v2, v0, v3
	v_add_co_u32_e32 v0, vcc, s7, v4
	v_addc_co_u32_e32 v1, vcc, v6, v5, vcc
	global_store_dword v[0:1], v2, off
.LBB81_76:
	s_endpgm
	.section	.rodata,"a",@progbits
	.p2align	6, 0x0
	.amdhsa_kernel _ZL26rocblas_hemvn_kernel_lowerILb0ELi64ELi4ELi33ELi32ELi16ElPKfS1_PfEviT6_lT7_lT5_lS4_lS5_lS3_lT8_i
		.amdhsa_group_segment_fixed_size 4800
		.amdhsa_private_segment_fixed_size 0
		.amdhsa_kernarg_size 376
		.amdhsa_user_sgpr_count 6
		.amdhsa_user_sgpr_private_segment_buffer 1
		.amdhsa_user_sgpr_dispatch_ptr 0
		.amdhsa_user_sgpr_queue_ptr 0
		.amdhsa_user_sgpr_kernarg_segment_ptr 1
		.amdhsa_user_sgpr_dispatch_id 0
		.amdhsa_user_sgpr_flat_scratch_init 0
		.amdhsa_user_sgpr_kernarg_preload_length 0
		.amdhsa_user_sgpr_kernarg_preload_offset 0
		.amdhsa_user_sgpr_private_segment_size 0
		.amdhsa_uses_dynamic_stack 0
		.amdhsa_system_sgpr_private_segment_wavefront_offset 0
		.amdhsa_system_sgpr_workgroup_id_x 1
		.amdhsa_system_sgpr_workgroup_id_y 0
		.amdhsa_system_sgpr_workgroup_id_z 1
		.amdhsa_system_sgpr_workgroup_info 0
		.amdhsa_system_vgpr_workitem_id 1
		.amdhsa_next_free_vgpr 82
		.amdhsa_next_free_sgpr 48
		.amdhsa_accum_offset 84
		.amdhsa_reserve_vcc 1
		.amdhsa_reserve_flat_scratch 0
		.amdhsa_float_round_mode_32 0
		.amdhsa_float_round_mode_16_64 0
		.amdhsa_float_denorm_mode_32 3
		.amdhsa_float_denorm_mode_16_64 3
		.amdhsa_dx10_clamp 1
		.amdhsa_ieee_mode 1
		.amdhsa_fp16_overflow 0
		.amdhsa_tg_split 0
		.amdhsa_exception_fp_ieee_invalid_op 0
		.amdhsa_exception_fp_denorm_src 0
		.amdhsa_exception_fp_ieee_div_zero 0
		.amdhsa_exception_fp_ieee_overflow 0
		.amdhsa_exception_fp_ieee_underflow 0
		.amdhsa_exception_fp_ieee_inexact 0
		.amdhsa_exception_int_div_zero 0
	.end_amdhsa_kernel
	.section	.text._ZL26rocblas_hemvn_kernel_lowerILb0ELi64ELi4ELi33ELi32ELi16ElPKfS1_PfEviT6_lT7_lT5_lS4_lS5_lS3_lT8_i,"axG",@progbits,_ZL26rocblas_hemvn_kernel_lowerILb0ELi64ELi4ELi33ELi32ELi16ElPKfS1_PfEviT6_lT7_lT5_lS4_lS5_lS3_lT8_i,comdat
.Lfunc_end81:
	.size	_ZL26rocblas_hemvn_kernel_lowerILb0ELi64ELi4ELi33ELi32ELi16ElPKfS1_PfEviT6_lT7_lT5_lS4_lS5_lS3_lT8_i, .Lfunc_end81-_ZL26rocblas_hemvn_kernel_lowerILb0ELi64ELi4ELi33ELi32ELi16ElPKfS1_PfEviT6_lT7_lT5_lS4_lS5_lS3_lT8_i
                                        ; -- End function
	.section	.AMDGPU.csdata,"",@progbits
; Kernel info:
; codeLenInByte = 5992
; NumSgprs: 52
; NumVgprs: 82
; NumAgprs: 0
; TotalNumVgprs: 82
; ScratchSize: 0
; MemoryBound: 0
; FloatMode: 240
; IeeeMode: 1
; LDSByteSize: 4800 bytes/workgroup (compile time only)
; SGPRBlocks: 6
; VGPRBlocks: 10
; NumSGPRsForWavesPerEU: 52
; NumVGPRsForWavesPerEU: 82
; AccumOffset: 84
; Occupancy: 5
; WaveLimiterHint : 0
; COMPUTE_PGM_RSRC2:SCRATCH_EN: 0
; COMPUTE_PGM_RSRC2:USER_SGPR: 6
; COMPUTE_PGM_RSRC2:TRAP_HANDLER: 0
; COMPUTE_PGM_RSRC2:TGID_X_EN: 1
; COMPUTE_PGM_RSRC2:TGID_Y_EN: 0
; COMPUTE_PGM_RSRC2:TGID_Z_EN: 1
; COMPUTE_PGM_RSRC2:TIDIG_COMP_CNT: 1
; COMPUTE_PGM_RSRC3_GFX90A:ACCUM_OFFSET: 20
; COMPUTE_PGM_RSRC3_GFX90A:TG_SPLIT: 0
	.section	.text._ZL36rocblas_hemvn_kernel_lower_block_sumILi64ElPKfPffEviT1_lS3_lT2_lT0_lPT3_i,"axG",@progbits,_ZL36rocblas_hemvn_kernel_lower_block_sumILi64ElPKfPffEviT1_lS3_lT2_lT0_lPT3_i,comdat
	.globl	_ZL36rocblas_hemvn_kernel_lower_block_sumILi64ElPKfPffEviT1_lS3_lT2_lT0_lPT3_i ; -- Begin function _ZL36rocblas_hemvn_kernel_lower_block_sumILi64ElPKfPffEviT1_lS3_lT2_lT0_lPT3_i
	.p2align	8
	.type	_ZL36rocblas_hemvn_kernel_lower_block_sumILi64ElPKfPffEviT1_lS3_lT2_lT0_lPT3_i,@function
_ZL36rocblas_hemvn_kernel_lower_block_sumILi64ElPKfPffEviT1_lS3_lT2_lT0_lPT3_i: ; @_ZL36rocblas_hemvn_kernel_lower_block_sumILi64ElPKfPffEviT1_lS3_lT2_lT0_lPT3_i
; %bb.0:
	s_load_dwordx8 s[8:15], s[4:5], 0x8
	s_waitcnt lgkmcnt(0)
	s_mul_i32 s0, s7, s11
	s_mul_hi_u32 s1, s7, s10
	s_add_i32 s1, s1, s0
	s_mul_i32 s0, s7, s10
	s_lshl_b64 s[0:1], s[0:1], 2
	s_add_u32 s0, s8, s0
	s_addc_u32 s1, s9, s1
	s_load_dword s16, s[0:1], 0x0
	s_mul_i32 s0, s7, s15
	s_mul_hi_u32 s1, s7, s14
	s_add_i32 s1, s1, s0
	s_mul_i32 s0, s7, s14
	s_lshl_b64 s[0:1], s[0:1], 2
	s_add_u32 s0, s12, s0
	s_addc_u32 s1, s13, s1
	s_load_dword s19, s[0:1], 0x0
	s_waitcnt lgkmcnt(0)
	v_cmp_eq_f32_e64 s[0:1], s16, 0
	v_cmp_eq_f32_e64 s[2:3], s19, 1.0
	s_and_b64 s[0:1], s[0:1], s[2:3]
	s_and_b64 vcc, exec, s[0:1]
	s_cbranch_vccnz .LBB82_19
; %bb.1:
	s_load_dwordx2 s[8:9], s[4:5], 0x40
	s_load_dwordx4 s[0:3], s[4:5], 0x30
	s_load_dwordx2 s[12:13], s[4:5], 0x28
	s_load_dword s10, s[4:5], 0x0
	v_lshl_or_b32 v2, s6, 6, v0
	s_waitcnt lgkmcnt(0)
	s_mul_i32 s9, s7, s9
	s_mul_hi_u32 s11, s7, s8
	s_add_i32 s9, s11, s9
	s_mul_i32 s8, s7, s8
	s_lshl_b64 s[8:9], s[8:9], 2
	s_add_u32 s8, s12, s8
	s_addc_u32 s9, s13, s9
	s_lshl_b64 s[0:1], s[0:1], 2
	s_add_u32 s17, s8, s0
	s_addc_u32 s18, s9, s1
	v_cmp_neq_f32_e64 s[0:1], s16, 0
	s_and_b64 vcc, exec, s[0:1]
	v_cmp_gt_i32_e64 s[0:1], s10, v2
	s_cbranch_vccnz .LBB82_6
; %bb.2:
	s_mov_b64 s[12:13], 0
	s_mov_b64 s[8:9], 0
                                        ; implicit-def: $vgpr3
                                        ; implicit-def: $vgpr0_vgpr1
	s_and_saveexec_b64 s[14:15], s[0:1]
	s_cbranch_execz .LBB82_7
; %bb.3:
	v_ashrrev_i32_e32 v0, 31, v2
	v_cmp_eq_f32_e64 s[0:1], s19, 0
	v_mul_lo_u32 v4, v2, s3
	v_mul_lo_u32 v5, v0, s2
	v_mad_u64_u32 v[0:1], s[8:9], v2, s2, 0
	v_mov_b32_e32 v3, 0
	v_add3_u32 v1, v1, v4, v5
	s_and_b64 vcc, exec, s[0:1]
	s_cbranch_vccnz .LBB82_5
; %bb.4:
	v_lshlrev_b64 v[4:5], 2, v[0:1]
	v_mov_b32_e32 v3, s18
	v_add_co_u32_e32 v4, vcc, s17, v4
	v_addc_co_u32_e32 v5, vcc, v3, v5, vcc
	global_load_dword v3, v[4:5], off
	s_waitcnt vmcnt(0)
	v_mul_f32_e32 v3, s19, v3
.LBB82_5:
	s_mov_b64 s[8:9], exec
	s_or_b64 exec, exec, s[14:15]
	s_and_b64 vcc, exec, s[12:13]
	s_cbranch_vccnz .LBB82_8
	s_branch .LBB82_17
.LBB82_6:
	s_mov_b64 s[8:9], 0
                                        ; implicit-def: $vgpr3
                                        ; implicit-def: $vgpr0_vgpr1
	s_cbranch_execnz .LBB82_8
	s_branch .LBB82_17
.LBB82_7:
	s_or_b64 exec, exec, s[14:15]
	s_and_b64 vcc, exec, s[12:13]
	s_cbranch_vccz .LBB82_17
.LBB82_8:
	v_cmp_gt_i32_e32 vcc, s10, v2
                                        ; implicit-def: $vgpr3
                                        ; implicit-def: $vgpr0_vgpr1
	s_and_saveexec_b64 s[0:1], vcc
	s_cbranch_execz .LBB82_16
; %bb.9:
	s_load_dword s12, s[4:5], 0x58
	v_mov_b32_e32 v4, 0
	s_waitcnt lgkmcnt(0)
	s_cmp_ge_i32 s6, s12
	s_cbranch_scc1 .LBB82_12
; %bb.10:
	s_ashr_i32 s11, s10, 31
	s_mul_i32 s13, s6, s10
	s_load_dwordx2 s[4:5], s[4:5], 0x48
	v_add_u32_e32 v0, s13, v2
	s_mul_hi_u32 s13, s10, s7
	s_mul_i32 s14, s11, s7
	s_add_i32 s13, s13, s14
	s_mul_i32 s7, s10, s7
	s_mul_i32 s13, s13, s12
	s_mul_hi_u32 s14, s7, s12
	s_add_i32 s15, s14, s13
	s_mul_i32 s14, s7, s12
	s_lshl_b64 s[14:15], s[14:15], 2
	v_ashrrev_i32_e32 v1, 31, v0
	s_waitcnt lgkmcnt(0)
	s_add_u32 s4, s4, s14
	v_lshlrev_b64 v[0:1], 2, v[0:1]
	s_addc_u32 s5, s5, s15
	v_mov_b32_e32 v3, s5
	v_add_co_u32_e32 v0, vcc, s4, v0
	s_lshl_b64 s[4:5], s[10:11], 2
	v_addc_co_u32_e32 v1, vcc, v3, v1, vcc
	v_mov_b32_e32 v4, 0
	v_mov_b32_e32 v3, s5
.LBB82_11:                              ; =>This Inner Loop Header: Depth=1
	global_load_dword v5, v[0:1], off
	s_add_i32 s6, s6, 1
	v_add_co_u32_e32 v0, vcc, s4, v0
	v_addc_co_u32_e32 v1, vcc, v1, v3, vcc
	s_cmp_ge_i32 s6, s12
	s_waitcnt vmcnt(0)
	v_add_f32_e32 v4, v4, v5
	s_cbranch_scc0 .LBB82_11
.LBB82_12:
	v_cmp_eq_f32_e64 s[4:5], s19, 0
	v_ashrrev_i32_e32 v0, 31, v2
	s_and_b64 vcc, exec, s[4:5]
	v_mul_lo_u32 v5, v2, s3
	v_mul_lo_u32 v6, v0, s2
	s_cbranch_vccz .LBB82_20
; %bb.13:
	v_mad_u64_u32 v[0:1], s[4:5], v2, s2, 0
	v_mul_f32_e32 v3, s16, v4
	v_add3_u32 v1, v1, v5, v6
	s_cbranch_execnz .LBB82_15
.LBB82_14:
	v_mad_u64_u32 v[0:1], s[2:3], v2, s2, 0
	v_add3_u32 v1, v1, v5, v6
	v_lshlrev_b64 v[2:3], 2, v[0:1]
	v_mov_b32_e32 v5, s18
	v_add_co_u32_e32 v2, vcc, s17, v2
	v_addc_co_u32_e32 v3, vcc, v5, v3, vcc
	global_load_dword v2, v[2:3], off
	s_waitcnt vmcnt(0)
	v_mul_f32_e32 v3, s19, v2
	v_fmac_f32_e32 v3, s16, v4
.LBB82_15:
	s_or_b64 s[8:9], s[8:9], exec
.LBB82_16:
	s_or_b64 exec, exec, s[0:1]
.LBB82_17:
	s_and_saveexec_b64 s[0:1], s[8:9]
	s_cbranch_execz .LBB82_19
; %bb.18:
	v_lshlrev_b64 v[0:1], 2, v[0:1]
	v_mov_b32_e32 v2, s18
	v_add_co_u32_e32 v0, vcc, s17, v0
	v_addc_co_u32_e32 v1, vcc, v2, v1, vcc
	global_store_dword v[0:1], v3, off
.LBB82_19:
	s_endpgm
.LBB82_20:
                                        ; implicit-def: $vgpr3
                                        ; implicit-def: $vgpr0_vgpr1
	s_branch .LBB82_14
	.section	.rodata,"a",@progbits
	.p2align	6, 0x0
	.amdhsa_kernel _ZL36rocblas_hemvn_kernel_lower_block_sumILi64ElPKfPffEviT1_lS3_lT2_lT0_lPT3_i
		.amdhsa_group_segment_fixed_size 0
		.amdhsa_private_segment_fixed_size 0
		.amdhsa_kernarg_size 344
		.amdhsa_user_sgpr_count 6
		.amdhsa_user_sgpr_private_segment_buffer 1
		.amdhsa_user_sgpr_dispatch_ptr 0
		.amdhsa_user_sgpr_queue_ptr 0
		.amdhsa_user_sgpr_kernarg_segment_ptr 1
		.amdhsa_user_sgpr_dispatch_id 0
		.amdhsa_user_sgpr_flat_scratch_init 0
		.amdhsa_user_sgpr_kernarg_preload_length 0
		.amdhsa_user_sgpr_kernarg_preload_offset 0
		.amdhsa_user_sgpr_private_segment_size 0
		.amdhsa_uses_dynamic_stack 0
		.amdhsa_system_sgpr_private_segment_wavefront_offset 0
		.amdhsa_system_sgpr_workgroup_id_x 1
		.amdhsa_system_sgpr_workgroup_id_y 0
		.amdhsa_system_sgpr_workgroup_id_z 1
		.amdhsa_system_sgpr_workgroup_info 0
		.amdhsa_system_vgpr_workitem_id 0
		.amdhsa_next_free_vgpr 7
		.amdhsa_next_free_sgpr 20
		.amdhsa_accum_offset 8
		.amdhsa_reserve_vcc 1
		.amdhsa_reserve_flat_scratch 0
		.amdhsa_float_round_mode_32 0
		.amdhsa_float_round_mode_16_64 0
		.amdhsa_float_denorm_mode_32 3
		.amdhsa_float_denorm_mode_16_64 3
		.amdhsa_dx10_clamp 1
		.amdhsa_ieee_mode 1
		.amdhsa_fp16_overflow 0
		.amdhsa_tg_split 0
		.amdhsa_exception_fp_ieee_invalid_op 0
		.amdhsa_exception_fp_denorm_src 0
		.amdhsa_exception_fp_ieee_div_zero 0
		.amdhsa_exception_fp_ieee_overflow 0
		.amdhsa_exception_fp_ieee_underflow 0
		.amdhsa_exception_fp_ieee_inexact 0
		.amdhsa_exception_int_div_zero 0
	.end_amdhsa_kernel
	.section	.text._ZL36rocblas_hemvn_kernel_lower_block_sumILi64ElPKfPffEviT1_lS3_lT2_lT0_lPT3_i,"axG",@progbits,_ZL36rocblas_hemvn_kernel_lower_block_sumILi64ElPKfPffEviT1_lS3_lT2_lT0_lPT3_i,comdat
.Lfunc_end82:
	.size	_ZL36rocblas_hemvn_kernel_lower_block_sumILi64ElPKfPffEviT1_lS3_lT2_lT0_lPT3_i, .Lfunc_end82-_ZL36rocblas_hemvn_kernel_lower_block_sumILi64ElPKfPffEviT1_lS3_lT2_lT0_lPT3_i
                                        ; -- End function
	.section	.AMDGPU.csdata,"",@progbits
; Kernel info:
; codeLenInByte = 720
; NumSgprs: 24
; NumVgprs: 7
; NumAgprs: 0
; TotalNumVgprs: 7
; ScratchSize: 0
; MemoryBound: 0
; FloatMode: 240
; IeeeMode: 1
; LDSByteSize: 0 bytes/workgroup (compile time only)
; SGPRBlocks: 2
; VGPRBlocks: 0
; NumSGPRsForWavesPerEU: 24
; NumVGPRsForWavesPerEU: 7
; AccumOffset: 8
; Occupancy: 8
; WaveLimiterHint : 0
; COMPUTE_PGM_RSRC2:SCRATCH_EN: 0
; COMPUTE_PGM_RSRC2:USER_SGPR: 6
; COMPUTE_PGM_RSRC2:TRAP_HANDLER: 0
; COMPUTE_PGM_RSRC2:TGID_X_EN: 1
; COMPUTE_PGM_RSRC2:TGID_Y_EN: 0
; COMPUTE_PGM_RSRC2:TGID_Z_EN: 1
; COMPUTE_PGM_RSRC2:TIDIG_COMP_CNT: 0
; COMPUTE_PGM_RSRC3_GFX90A:ACCUM_OFFSET: 1
; COMPUTE_PGM_RSRC3_GFX90A:TG_SPLIT: 0
	.section	.text._ZL26rocblas_hemvn_kernel_lowerILb0ELi64ELi4ELi33ELi32ELi16EiPKfS1_PfEviT6_lT7_lT5_lS4_lS5_lS3_lT8_i,"axG",@progbits,_ZL26rocblas_hemvn_kernel_lowerILb0ELi64ELi4ELi33ELi32ELi16EiPKfS1_PfEviT6_lT7_lT5_lS4_lS5_lS3_lT8_i,comdat
	.globl	_ZL26rocblas_hemvn_kernel_lowerILb0ELi64ELi4ELi33ELi32ELi16EiPKfS1_PfEviT6_lT7_lT5_lS4_lS5_lS3_lT8_i ; -- Begin function _ZL26rocblas_hemvn_kernel_lowerILb0ELi64ELi4ELi33ELi32ELi16EiPKfS1_PfEviT6_lT7_lT5_lS4_lS5_lS3_lT8_i
	.p2align	8
	.type	_ZL26rocblas_hemvn_kernel_lowerILb0ELi64ELi4ELi33ELi32ELi16EiPKfS1_PfEviT6_lT7_lT5_lS4_lS5_lS3_lT8_i,@function
_ZL26rocblas_hemvn_kernel_lowerILb0ELi64ELi4ELi33ELi32ELi16EiPKfS1_PfEviT6_lT7_lT5_lS4_lS5_lS3_lT8_i: ; @_ZL26rocblas_hemvn_kernel_lowerILb0ELi64ELi4ELi33ELi32ELi16EiPKfS1_PfEviT6_lT7_lT5_lS4_lS5_lS3_lT8_i
; %bb.0:
	s_load_dwordx2 s[2:3], s[4:5], 0x84
	s_add_u32 s0, s4, 0x78
	s_addc_u32 s1, s5, 0
	s_waitcnt lgkmcnt(0)
	s_lshr_b32 s8, s2, 16
	s_and_b32 s2, s2, 0xffff
	s_and_b32 s3, s3, 0xffff
	s_mul_i32 s2, s8, s2
	s_mul_i32 s2, s2, s3
	s_cmpk_lg_i32 s2, 0x100
	s_cbranch_scc1 .LBB83_76
; %bb.1:
	s_load_dwordx8 s[8:15], s[4:5], 0x8
	s_load_dwordx8 s[16:23], s[4:5], 0x50
	s_waitcnt lgkmcnt(0)
	s_mul_i32 s3, s7, s11
	s_mul_hi_u32 s11, s7, s10
	s_mul_i32 s2, s7, s10
	s_add_i32 s3, s11, s3
	s_lshl_b64 s[2:3], s[2:3], 2
	s_add_u32 s2, s8, s2
	s_addc_u32 s3, s9, s3
	s_mul_i32 s10, s7, s21
	s_load_dword s8, s[2:3], 0x0
	s_mul_hi_u32 s2, s7, s20
	s_add_i32 s3, s2, s10
	s_mul_i32 s2, s7, s20
	s_lshl_b64 s[2:3], s[2:3], 2
	s_add_u32 s2, s18, s2
	s_addc_u32 s3, s19, s3
	s_load_dword s9, s[2:3], 0x0
	s_waitcnt lgkmcnt(0)
	v_cmp_eq_f32_e64 s[2:3], s8, 0
	v_cmp_eq_f32_e64 s[8:9], s9, 1.0
	s_and_b64 s[8:9], s[2:3], s[8:9]
	s_and_b64 vcc, exec, s[8:9]
	s_cbranch_vccnz .LBB83_76
; %bb.2:
	s_and_b64 vcc, exec, s[2:3]
	s_cbranch_vccnz .LBB83_76
; %bb.3:
	s_load_dword s41, s[0:1], 0x0
	s_load_dword s40, s[4:5], 0x0
	s_load_dwordx4 s[8:11], s[4:5], 0x30
	s_load_dwordx2 s[2:3], s[4:5], 0x40
	s_load_dword s33, s[4:5], 0x48
	s_mul_i32 s0, s7, s17
	s_mul_hi_u32 s1, s7, s16
	s_add_i32 s1, s1, s0
	s_mul_i32 s0, s7, s16
	s_lshl_b64 s[0:1], s[0:1], 2
	s_waitcnt lgkmcnt(0)
	s_add_u32 s10, s10, s0
	s_addc_u32 s11, s11, s1
	s_lshl_b64 s[0:1], s[2:3], 2
	s_add_u32 s0, s10, s0
	s_addc_u32 s1, s11, s1
	v_and_b32_e32 v17, 0x3ff, v0
	s_lshl_b32 s26, s6, 6
	s_ashr_i32 s42, s40, 31
	s_lshr_b32 s3, s42, 26
	v_add_u32_e32 v4, s26, v17
	v_bfe_u32 v5, v0, 10, 10
	s_add_i32 s3, s40, s3
	v_mul_lo_u32 v0, v4, s33
	s_andn2_b32 s3, s3, 63
	v_ashrrev_i32_e32 v1, 31, v0
	s_add_i32 s2, s41, -1
	s_sub_i32 s3, s40, s3
	v_lshlrev_b64 v[0:1], 2, v[0:1]
	s_cmp_eq_u32 s6, s2
	v_mov_b32_e32 v2, s1
	v_add_co_u32_e32 v6, vcc, s0, v0
	s_cselect_b32 s24, s3, 0
	v_addc_co_u32_e32 v7, vcc, v2, v1, vcc
	v_cmp_ne_u32_e64 s[0:1], 0, v5
	v_cmp_eq_u32_e64 s[2:3], 0, v5
	s_and_saveexec_b64 s[10:11], s[2:3]
	s_cbranch_execz .LBB83_7
; %bb.4:
	s_cmp_eq_u32 s24, 0
	s_cselect_b64 s[16:17], -1, 0
	v_cmp_gt_i32_e32 vcc, s24, v17
	s_or_b64 s[18:19], s[16:17], vcc
	v_mov_b32_e32 v0, 0
	s_and_saveexec_b64 s[16:17], s[18:19]
	s_cbranch_execz .LBB83_6
; %bb.5:
	global_load_dword v0, v[6:7], off
.LBB83_6:
	s_or_b64 exec, exec, s[16:17]
	v_lshlrev_b32_e32 v1, 2, v17
	s_waitcnt vmcnt(0)
	ds_write_b32 v1, v0 offset:4544
.LBB83_7:
	s_or_b64 exec, exec, s[10:11]
	s_mul_i32 s9, s7, s9
	s_mul_hi_u32 s10, s7, s8
	s_add_i32 s9, s10, s9
	s_mul_i32 s8, s7, s8
	s_lshl_b64 s[8:9], s[8:9], 2
	s_add_u32 s10, s12, s8
	s_addc_u32 s11, s13, s9
	s_lshl_b64 s[8:9], s[14:15], 2
	s_load_dword s20, s[4:5], 0x28
	s_add_u32 s8, s10, s8
	s_addc_u32 s9, s11, s9
	s_ashr_i32 s27, s26, 31
	v_lshl_add_u32 v18, v5, 6, v17
	s_lshl_b64 s[4:5], s[26:27], 2
	v_and_b32_e32 v0, 31, v17
	v_lshrrev_b32_e32 v12, 5, v18
	s_add_u32 s8, s8, s4
	s_addc_u32 s9, s9, s5
	s_waitcnt lgkmcnt(0)
	v_mad_u64_u32 v[2:3], s[4:5], v12, s20, v[0:1]
	s_mul_i32 s4, s26, s20
	s_ashr_i32 s5, s4, 31
	s_lshl_b64 s[28:29], s[4:5], 2
	v_ashrrev_i32_e32 v3, 31, v2
	s_add_u32 s4, s28, s8
	v_lshlrev_b64 v[8:9], 2, v[2:3]
	s_addc_u32 s5, s29, s9
	v_mov_b32_e32 v1, s5
	v_add_co_u32_e32 v2, vcc, s4, v8
	s_cmp_lg_u32 s24, 0
	v_addc_co_u32_e32 v3, vcc, v1, v9, vcc
	s_cselect_b64 s[30:31], -1, 0
	s_cmp_eq_u32 s24, 0
	s_cselect_b64 s[34:35], -1, 0
	s_and_b64 vcc, exec, s[30:31]
	s_cbranch_vccnz .LBB83_9
; %bb.8:
	s_lshl_b32 s4, s20, 3
	s_ashr_i32 s5, s4, 31
	s_lshl_b64 s[4:5], s[4:5], 2
	v_mov_b32_e32 v11, s5
	v_add_co_u32_e32 v10, vcc, s4, v2
	s_ashr_i32 s21, s20, 31
	v_addc_co_u32_e32 v11, vcc, v3, v11, vcc
	s_lshl_b64 s[4:5], s[20:21], 5
	global_load_dword v1, v[2:3], off
	global_load_dword v13, v[10:11], off
	v_mov_b32_e32 v14, s5
	v_add_co_u32_e32 v10, vcc, s4, v10
	v_addc_co_u32_e32 v11, vcc, v11, v14, vcc
	global_load_dword v15, v[10:11], off
	v_add_co_u32_e32 v10, vcc, s4, v10
	v_addc_co_u32_e32 v11, vcc, v11, v14, vcc
	global_load_dword v10, v[10:11], off
	v_mul_u32_u24_e32 v11, 33, v12
	v_add_lshl_u32 v11, v11, v0, 2
	s_waitcnt vmcnt(3)
	ds_write_b32 v11, v1
	s_waitcnt vmcnt(2)
	ds_write_b32 v11, v13 offset:1056
	s_waitcnt vmcnt(1)
	ds_write_b32 v11, v15 offset:2112
	;; [unrolled: 2-line block ×3, first 2 shown]
	s_cbranch_execz .LBB83_10
	s_branch .LBB83_19
.LBB83_9:
.LBB83_10:
	v_lshlrev_b32_e32 v1, 2, v0
	v_sub_co_u32_e32 v10, vcc, v2, v1
	s_ashr_i32 s25, s24, 31
	v_subbrev_co_u32_e32 v11, vcc, 0, v3, vcc
	s_lshl_b64 s[8:9], s[24:25], 2
	v_mov_b32_e32 v13, s9
	v_add_co_u32_e32 v10, vcc, s8, v10
	v_addc_co_u32_e32 v11, vcc, v11, v13, vcc
	v_add_co_u32_e32 v10, vcc, -4, v10
	v_addc_co_u32_e32 v11, vcc, -1, v11, vcc
	v_cmp_gt_i32_e32 vcc, s24, v0
	v_cndmask_b32_e32 v11, v11, v3, vcc
	v_cndmask_b32_e32 v10, v10, v2, vcc
	v_cmp_gt_i32_e64 s[4:5], s24, v12
	v_mov_b32_e32 v14, 0
	v_mov_b32_e32 v15, 0
	s_and_saveexec_b64 s[10:11], s[4:5]
	s_cbranch_execz .LBB83_12
; %bb.11:
	global_load_dword v15, v[10:11], off
.LBB83_12:
	s_or_b64 exec, exec, s[10:11]
	v_mul_u32_u24_e32 v13, 33, v12
	v_add_lshl_u32 v13, v13, v0, 2
	s_waitcnt vmcnt(0)
	ds_write_b32 v13, v15
	v_add_u32_e32 v15, 8, v12
	v_cmp_gt_i32_e64 s[4:5], s24, v15
	s_and_saveexec_b64 s[10:11], s[4:5]
	s_cbranch_execz .LBB83_14
; %bb.13:
	s_lshl_b32 s4, s20, 3
	s_ashr_i32 s5, s4, 31
	s_lshl_b64 s[4:5], s[4:5], 2
	v_mov_b32_e32 v15, s5
	v_add_co_u32_e64 v14, s[4:5], s4, v10
	v_addc_co_u32_e64 v15, s[4:5], v11, v15, s[4:5]
	global_load_dword v14, v[14:15], off
.LBB83_14:
	s_or_b64 exec, exec, s[10:11]
	s_waitcnt vmcnt(0)
	ds_write_b32 v13, v14 offset:1056
	v_add_u32_e32 v14, 16, v12
	v_cmp_gt_i32_e64 s[4:5], s24, v14
	v_mov_b32_e32 v14, 0
	v_mov_b32_e32 v15, 0
	s_and_saveexec_b64 s[10:11], s[4:5]
	s_cbranch_execz .LBB83_16
; %bb.15:
	s_lshl_b32 s4, s20, 4
	s_ashr_i32 s5, s4, 31
	s_lshl_b64 s[4:5], s[4:5], 2
	v_mov_b32_e32 v15, s5
	v_add_co_u32_e64 v20, s[4:5], s4, v10
	v_addc_co_u32_e64 v21, s[4:5], v11, v15, s[4:5]
	global_load_dword v15, v[20:21], off
.LBB83_16:
	s_or_b64 exec, exec, s[10:11]
	s_waitcnt vmcnt(0)
	ds_write_b32 v13, v15 offset:2112
	v_add_u32_e32 v15, 24, v12
	v_cmp_gt_i32_e64 s[4:5], s24, v15
	s_and_saveexec_b64 s[10:11], s[4:5]
	s_cbranch_execz .LBB83_18
; %bb.17:
	s_mul_i32 s4, s20, 24
	s_ashr_i32 s5, s4, 31
	s_lshl_b64 s[4:5], s[4:5], 2
	v_mov_b32_e32 v15, s5
	v_add_co_u32_e64 v14, s[4:5], s4, v10
	v_addc_co_u32_e64 v15, s[4:5], v11, v15, s[4:5]
	global_load_dword v14, v[14:15], off
.LBB83_18:
	s_or_b64 exec, exec, s[10:11]
	v_add_co_u32_e64 v1, s[4:5], v10, v1
	v_addc_co_u32_e64 v10, s[4:5], 0, v11, s[4:5]
	v_mov_b32_e32 v11, s9
	v_subrev_co_u32_e64 v1, s[4:5], s8, v1
	v_subb_co_u32_e64 v10, s[4:5], v10, v11, s[4:5]
	v_add_co_u32_e64 v1, s[4:5], 4, v1
	v_addc_co_u32_e64 v10, s[4:5], 0, v10, s[4:5]
	v_cndmask_b32_e32 v3, v10, v3, vcc
	v_cndmask_b32_e32 v2, v1, v2, vcc
	s_waitcnt vmcnt(0)
	ds_write_b32 v13, v14 offset:3168
.LBB83_19:
	v_lshlrev_b32_e32 v14, 2, v12
	v_mul_u32_u24_e32 v19, 33, v0
	v_cmp_lt_u32_e64 s[18:19], v14, v0
	v_add_lshl_u32 v13, v14, v19, 2
	s_waitcnt lgkmcnt(0)
	s_barrier
	s_and_saveexec_b64 s[4:5], s[18:19]
	s_cbranch_execz .LBB83_21
; %bb.20:
	v_mul_u32_u24_e32 v1, 0x84, v12
	v_add_lshl_u32 v1, v1, v0, 2
	ds_read_b32 v1, v1
	s_waitcnt lgkmcnt(0)
	ds_write_b32 v13, v1
.LBB83_21:
	s_or_b64 exec, exec, s[4:5]
	v_or_b32_e32 v1, 1, v14
	v_cmp_lt_u32_e64 s[8:9], v1, v0
	s_and_saveexec_b64 s[4:5], s[8:9]
	s_cbranch_execz .LBB83_23
; %bb.22:
	v_mul_u32_u24_e32 v1, 33, v1
	v_add_lshl_u32 v1, v1, v0, 2
	ds_read_b32 v1, v1
	s_waitcnt lgkmcnt(0)
	ds_write_b32 v13, v1 offset:4
.LBB83_23:
	s_or_b64 exec, exec, s[4:5]
	v_or_b32_e32 v1, 2, v14
	v_cmp_lt_u32_e64 s[10:11], v1, v0
	s_and_saveexec_b64 s[4:5], s[10:11]
	s_cbranch_execz .LBB83_25
; %bb.24:
	v_mul_u32_u24_e32 v1, 33, v1
	v_add_lshl_u32 v1, v1, v0, 2
	ds_read_b32 v1, v1
	s_waitcnt lgkmcnt(0)
	ds_write_b32 v13, v1 offset:8
.LBB83_25:
	s_or_b64 exec, exec, s[4:5]
	v_or_b32_e32 v1, 3, v14
	v_cmp_lt_u32_e64 s[12:13], v1, v0
	v_mad_u32_u24 v1, v1, 33, v0
	v_lshlrev_b32_e32 v15, 2, v1
	s_and_saveexec_b64 s[4:5], s[12:13]
	s_cbranch_execz .LBB83_27
; %bb.26:
	ds_read_b32 v1, v15
	s_waitcnt lgkmcnt(0)
	ds_write_b32 v13, v1 offset:12
.LBB83_27:
	s_or_b64 exec, exec, s[4:5]
	v_mul_u32_u24_e32 v1, 0x84, v12
	v_add_u32_e32 v23, 0xfffffef8, v15
	s_waitcnt lgkmcnt(0)
	s_barrier
	v_add_lshl_u32 v22, v1, v0, 2
	v_lshlrev_b32_e32 v21, 2, v14
	ds_read2_b32 v[10:11], v23 offset1:33
	ds_read_b32 v28, v22
	ds_read_b128 v[24:27], v21 offset:4544
	ds_read_b32 v31, v15
	v_add_lshl_u32 v20, v12, v19, 2
	s_waitcnt lgkmcnt(3)
	v_mov_b32_e32 v29, v10
	v_mov_b32_e32 v30, v11
	s_waitcnt lgkmcnt(1)
	v_pk_mul_f32 v[24:25], v[28:29], v[24:25]
	v_add_f32_e32 v1, 0, v24
	v_add_f32_e32 v1, v1, v25
	s_waitcnt lgkmcnt(0)
	v_pk_mul_f32 v[10:11], v[30:31], v[26:27]
	v_add_f32_e32 v1, v1, v10
	v_add_f32_e32 v1, v1, v11
	v_cmp_gt_u32_e64 s[4:5], 32, v18
	v_mov_b32_e32 v16, 0
	s_barrier
	ds_write_b32 v20, v1
	s_waitcnt lgkmcnt(0)
	s_barrier
	s_and_saveexec_b64 s[14:15], s[4:5]
	s_cbranch_execz .LBB83_29
; %bb.28:
	v_lshlrev_b32_e32 v1, 2, v19
	ds_read2_b32 v[10:11], v1 offset1:1
	ds_read2_b32 v[24:25], v1 offset0:2 offset1:3
	ds_read2_b32 v[26:27], v1 offset0:4 offset1:5
	;; [unrolled: 1-line block ×3, first 2 shown]
	s_waitcnt lgkmcnt(3)
	v_add_f32_e32 v1, v10, v11
	s_waitcnt lgkmcnt(2)
	v_add_f32_e32 v1, v1, v24
	v_add_f32_e32 v1, v1, v25
	s_waitcnt lgkmcnt(1)
	v_add_f32_e32 v1, v1, v26
	;; [unrolled: 3-line block ×3, first 2 shown]
	v_add_f32_e32 v16, v1, v29
.LBB83_29:
	s_or_b64 exec, exec, s[14:15]
	s_lshl_b32 s14, s20, 5
	s_ashr_i32 s15, s14, 31
	s_lshl_b64 s[36:37], s[14:15], 2
	v_mov_b32_e32 v1, s37
	v_add_co_u32_e32 v10, vcc, s36, v2
	v_addc_co_u32_e32 v11, vcc, v3, v1, vcc
	v_add_co_u32_e32 v2, vcc, 0x80, v10
	v_cndmask_b32_e64 v1, 0, 1, s[34:35]
	s_mov_b64 s[16:17], vcc
	v_cmp_ne_u32_e64 s[14:15], 1, v1
	s_andn2_b64 vcc, exec, s[34:35]
	v_addc_co_u32_e64 v1, s[16:17], 0, v11, s[16:17]
	s_barrier
	s_cbranch_vccnz .LBB83_31
; %bb.30:
	s_lshl_b32 s16, s20, 3
	s_ashr_i32 s17, s16, 31
	s_lshl_b64 s[16:17], s[16:17], 2
	v_mov_b32_e32 v3, s17
	v_add_co_u32_e32 v24, vcc, s16, v10
	s_ashr_i32 s21, s20, 31
	v_addc_co_u32_e32 v25, vcc, v11, v3, vcc
	s_lshl_b64 s[16:17], s[20:21], 5
	v_mov_b32_e32 v3, s17
	v_add_co_u32_e32 v26, vcc, s16, v24
	v_addc_co_u32_e32 v27, vcc, v25, v3, vcc
	v_add_co_u32_e32 v28, vcc, s16, v26
	v_addc_co_u32_e32 v29, vcc, v27, v3, vcc
	global_load_dword v3, v[10:11], off offset:128
	global_load_dword v30, v[24:25], off offset:128
	global_load_dword v31, v[26:27], off offset:128
	global_load_dword v32, v[28:29], off offset:128
	v_mul_u32_u24_e32 v10, 33, v12
	v_add_lshl_u32 v10, v10, v0, 2
	s_waitcnt vmcnt(3)
	ds_write_b32 v10, v3
	s_waitcnt vmcnt(2)
	ds_write_b32 v10, v30 offset:1056
	s_waitcnt vmcnt(1)
	ds_write_b32 v10, v31 offset:2112
	;; [unrolled: 2-line block ×3, first 2 shown]
	s_cbranch_execz .LBB83_32
	s_branch .LBB83_41
.LBB83_31:
.LBB83_32:
	v_lshlrev_b32_e32 v3, 2, v0
	v_sub_co_u32_e32 v11, vcc, v2, v3
	s_ashr_i32 s25, s24, 31
	v_subbrev_co_u32_e32 v24, vcc, 0, v1, vcc
	s_lshl_b64 s[34:35], s[24:25], 2
	v_mov_b32_e32 v25, s35
	v_add_co_u32_e32 v11, vcc, s34, v11
	v_addc_co_u32_e32 v24, vcc, v24, v25, vcc
	v_or_b32_e32 v10, 32, v0
	v_add_co_u32_e32 v25, vcc, 0xffffff7c, v11
	v_addc_co_u32_e32 v11, vcc, -1, v24, vcc
	v_cmp_gt_i32_e64 s[16:17], s24, v10
	s_sub_i32 s21, s24, 32
	v_cndmask_b32_e64 v11, v11, v1, s[16:17]
	v_cndmask_b32_e64 v10, v25, v2, s[16:17]
	v_cmp_gt_i32_e32 vcc, s21, v12
	v_mov_b32_e32 v25, 0
	v_mov_b32_e32 v26, 0
	s_and_saveexec_b64 s[38:39], vcc
	s_cbranch_execz .LBB83_34
; %bb.33:
	global_load_dword v26, v[10:11], off
.LBB83_34:
	s_or_b64 exec, exec, s[38:39]
	v_mul_u32_u24_e32 v24, 33, v12
	v_add_lshl_u32 v24, v24, v0, 2
	s_waitcnt vmcnt(0)
	ds_write_b32 v24, v26
	v_add_u32_e32 v26, 8, v12
	v_cmp_gt_i32_e32 vcc, s21, v26
	s_and_saveexec_b64 s[38:39], vcc
	s_cbranch_execz .LBB83_36
; %bb.35:
	s_lshl_b32 s44, s20, 3
	s_ashr_i32 s45, s44, 31
	s_lshl_b64 s[44:45], s[44:45], 2
	v_mov_b32_e32 v25, s45
	v_add_co_u32_e32 v26, vcc, s44, v10
	v_addc_co_u32_e32 v27, vcc, v11, v25, vcc
	global_load_dword v25, v[26:27], off
.LBB83_36:
	s_or_b64 exec, exec, s[38:39]
	s_waitcnt vmcnt(0)
	ds_write_b32 v24, v25 offset:1056
	v_add_u32_e32 v25, 16, v12
	v_cmp_gt_i32_e32 vcc, s21, v25
	v_mov_b32_e32 v25, 0
	v_mov_b32_e32 v26, 0
	s_and_saveexec_b64 s[38:39], vcc
	s_cbranch_execz .LBB83_38
; %bb.37:
	s_lshl_b32 s44, s20, 4
	s_ashr_i32 s45, s44, 31
	s_lshl_b64 s[44:45], s[44:45], 2
	v_mov_b32_e32 v27, s45
	v_add_co_u32_e32 v26, vcc, s44, v10
	v_addc_co_u32_e32 v27, vcc, v11, v27, vcc
	global_load_dword v26, v[26:27], off
.LBB83_38:
	s_or_b64 exec, exec, s[38:39]
	s_waitcnt vmcnt(0)
	ds_write_b32 v24, v26 offset:2112
	v_add_u32_e32 v26, 24, v12
	v_cmp_gt_i32_e32 vcc, s21, v26
	s_and_saveexec_b64 s[38:39], vcc
	s_cbranch_execz .LBB83_40
; %bb.39:
	s_mul_i32 s44, s20, 24
	s_ashr_i32 s45, s44, 31
	s_lshl_b64 s[44:45], s[44:45], 2
	v_mov_b32_e32 v25, s45
	v_add_co_u32_e32 v26, vcc, s44, v10
	v_addc_co_u32_e32 v27, vcc, v11, v25, vcc
	global_load_dword v25, v[26:27], off
.LBB83_40:
	s_or_b64 exec, exec, s[38:39]
	v_add_co_u32_e32 v3, vcc, v10, v3
	v_addc_co_u32_e32 v10, vcc, 0, v11, vcc
	v_mov_b32_e32 v11, s35
	v_subrev_co_u32_e32 v3, vcc, s34, v3
	v_subb_co_u32_e32 v10, vcc, v10, v11, vcc
	v_add_co_u32_e32 v3, vcc, 0x84, v3
	v_addc_co_u32_e32 v10, vcc, 0, v10, vcc
	v_cndmask_b32_e64 v1, v10, v1, s[16:17]
	v_cndmask_b32_e64 v2, v3, v2, s[16:17]
	s_waitcnt vmcnt(0)
	ds_write_b32 v24, v25 offset:3168
.LBB83_41:
	v_add_u32_e32 v21, 0x11c0, v21
	s_waitcnt lgkmcnt(0)
	s_barrier
	s_and_saveexec_b64 s[16:17], s[18:19]
	s_cbranch_execnz .LBB83_50
; %bb.42:
	s_or_b64 exec, exec, s[16:17]
	s_and_saveexec_b64 s[16:17], s[8:9]
	s_cbranch_execnz .LBB83_51
.LBB83_43:
	s_or_b64 exec, exec, s[16:17]
	s_and_saveexec_b64 s[8:9], s[10:11]
	s_cbranch_execnz .LBB83_52
.LBB83_44:
	s_or_b64 exec, exec, s[8:9]
	s_and_saveexec_b64 s[8:9], s[12:13]
	s_cbranch_execz .LBB83_46
.LBB83_45:
	ds_read_b32 v3, v15
	s_waitcnt lgkmcnt(0)
	ds_write_b32 v13, v3 offset:12
.LBB83_46:
	s_or_b64 exec, exec, s[8:9]
	s_waitcnt lgkmcnt(0)
	s_barrier
	ds_read_b32 v3, v22
	ds_read_b128 v[24:27], v21 offset:128
	ds_read2_b32 v[10:11], v23 offset1:33
	ds_read_b32 v15, v15
	v_cmp_eq_u32_e64 s[10:11], 1, v12
	s_waitcnt lgkmcnt(0)
	v_fma_f32 v3, v3, v24, 0
	v_fmac_f32_e32 v3, v10, v25
	v_fmac_f32_e32 v3, v11, v26
	;; [unrolled: 1-line block ×3, first 2 shown]
	s_barrier
	ds_write_b32 v20, v3
	s_waitcnt lgkmcnt(0)
	s_barrier
	s_and_saveexec_b64 s[8:9], s[10:11]
	s_cbranch_execz .LBB83_48
; %bb.47:
	v_lshlrev_b32_e32 v3, 2, v19
	ds_read2_b32 v[10:11], v3 offset1:1
	ds_read2_b32 v[22:23], v3 offset0:2 offset1:3
	ds_read2_b32 v[24:25], v3 offset0:4 offset1:5
	;; [unrolled: 1-line block ×3, first 2 shown]
	s_waitcnt lgkmcnt(3)
	v_add_f32_e32 v3, v10, v11
	s_waitcnt lgkmcnt(2)
	v_add_f32_e32 v3, v3, v22
	v_add_f32_e32 v3, v3, v23
	s_waitcnt lgkmcnt(1)
	v_add_f32_e32 v3, v3, v24
	;; [unrolled: 3-line block ×3, first 2 shown]
	v_add_f32_e32 v16, v3, v27
.LBB83_48:
	s_or_b64 exec, exec, s[8:9]
	v_mov_b32_e32 v3, s37
	v_subrev_co_u32_e64 v10, s[8:9], s36, v2
	s_and_b64 vcc, exec, s[14:15]
	v_subb_co_u32_e64 v11, s[8:9], v1, v3, s[8:9]
	s_barrier
	s_cbranch_vccnz .LBB83_53
; %bb.49:
	s_lshl_b32 s8, s20, 3
	s_ashr_i32 s9, s8, 31
	s_lshl_b64 s[8:9], s[8:9], 2
	v_mov_b32_e32 v1, s9
	v_add_co_u32_e32 v2, vcc, s8, v10
	s_ashr_i32 s21, s20, 31
	v_addc_co_u32_e32 v3, vcc, v11, v1, vcc
	s_lshl_b64 s[8:9], s[20:21], 5
	v_mov_b32_e32 v1, s9
	v_add_co_u32_e32 v22, vcc, s8, v2
	v_addc_co_u32_e32 v23, vcc, v3, v1, vcc
	v_add_co_u32_e32 v24, vcc, s8, v22
	v_addc_co_u32_e32 v25, vcc, v23, v1, vcc
	global_load_dword v28, v[10:11], off
	global_load_dword v29, v[2:3], off
	;; [unrolled: 1-line block ×4, first 2 shown]
	v_mad_u32_u24 v15, v12, 33, v0
	v_add_u32_e32 v1, 8, v12
	v_add_u32_e32 v22, 16, v12
	;; [unrolled: 1-line block ×3, first 2 shown]
	v_lshlrev_b32_e32 v2, 2, v15
	v_add_u32_e32 v27, 0x108, v15
	v_add_u32_e32 v25, 0x210, v15
	;; [unrolled: 1-line block ×3, first 2 shown]
	s_waitcnt vmcnt(3)
	ds_write_b32 v2, v28
	s_waitcnt vmcnt(2)
	ds_write_b32 v2, v29 offset:1056
	s_waitcnt vmcnt(1)
	ds_write_b32 v2, v30 offset:2112
	;; [unrolled: 2-line block ×3, first 2 shown]
	s_cbranch_execz .LBB83_54
	s_branch .LBB83_63
.LBB83_50:
	ds_read_b32 v3, v22
	s_waitcnt lgkmcnt(0)
	ds_write_b32 v13, v3
	s_or_b64 exec, exec, s[16:17]
	s_and_saveexec_b64 s[16:17], s[8:9]
	s_cbranch_execz .LBB83_43
.LBB83_51:
	ds_read_b32 v3, v23
	s_waitcnt lgkmcnt(0)
	ds_write_b32 v13, v3 offset:4
	s_or_b64 exec, exec, s[16:17]
	s_and_saveexec_b64 s[8:9], s[10:11]
	s_cbranch_execz .LBB83_44
.LBB83_52:
	ds_read_b32 v3, v23 offset:132
	s_waitcnt lgkmcnt(0)
	ds_write_b32 v13, v3 offset:8
	s_or_b64 exec, exec, s[8:9]
	s_and_saveexec_b64 s[8:9], s[12:13]
	s_cbranch_execnz .LBB83_45
	s_branch .LBB83_46
.LBB83_53:
                                        ; implicit-def: $vgpr15
                                        ; implicit-def: $vgpr1
                                        ; implicit-def: $vgpr27
                                        ; implicit-def: $vgpr22
                                        ; implicit-def: $vgpr25
                                        ; implicit-def: $vgpr23
                                        ; implicit-def: $vgpr26
.LBB83_54:
	v_lshlrev_b32_e32 v24, 2, v0
	v_sub_co_u32_e32 v2, vcc, v10, v24
	s_ashr_i32 s25, s24, 31
	v_subbrev_co_u32_e32 v3, vcc, 0, v11, vcc
	s_lshl_b64 s[12:13], s[24:25], 2
	v_mov_b32_e32 v15, s13
	v_add_co_u32_e32 v2, vcc, s12, v2
	v_addc_co_u32_e32 v3, vcc, v3, v15, vcc
	v_or_b32_e32 v1, 32, v0
	v_add_co_u32_e32 v2, vcc, 0xffffff7c, v2
	v_addc_co_u32_e32 v3, vcc, -1, v3, vcc
	v_cmp_gt_i32_e64 s[8:9], s24, v1
	v_cndmask_b32_e64 v3, v3, v11, s[8:9]
	v_cndmask_b32_e64 v2, v2, v10, s[8:9]
	v_cmp_gt_i32_e32 vcc, s24, v12
	v_mov_b32_e32 v22, 0
	v_mov_b32_e32 v1, 0
	s_and_saveexec_b64 s[14:15], vcc
	s_cbranch_execz .LBB83_56
; %bb.55:
	global_load_dword v1, v[2:3], off
.LBB83_56:
	s_or_b64 exec, exec, s[14:15]
	v_mad_u32_u24 v15, v12, 33, v0
	v_lshlrev_b32_e32 v0, 2, v15
	s_waitcnt vmcnt(0)
	ds_write_b32 v0, v1
	v_add_u32_e32 v1, 8, v12
	v_cmp_gt_i32_e32 vcc, s24, v1
	s_and_saveexec_b64 s[14:15], vcc
	s_cbranch_execz .LBB83_58
; %bb.57:
	s_lshl_b32 s16, s20, 3
	s_ashr_i32 s17, s16, 31
	s_lshl_b64 s[16:17], s[16:17], 2
	v_mov_b32_e32 v23, s17
	v_add_co_u32_e32 v22, vcc, s16, v2
	v_addc_co_u32_e32 v23, vcc, v3, v23, vcc
	global_load_dword v22, v[22:23], off
.LBB83_58:
	s_or_b64 exec, exec, s[14:15]
	s_waitcnt vmcnt(0)
	ds_write_b32 v0, v22 offset:1056
	v_add_u32_e32 v22, 16, v12
	v_cmp_gt_i32_e32 vcc, s24, v22
	v_mov_b32_e32 v28, 0
	v_mov_b32_e32 v23, 0
	s_and_saveexec_b64 s[14:15], vcc
	s_cbranch_execz .LBB83_60
; %bb.59:
	s_lshl_b32 s16, s20, 4
	s_ashr_i32 s17, s16, 31
	s_lshl_b64 s[16:17], s[16:17], 2
	v_mov_b32_e32 v23, s17
	v_add_co_u32_e32 v26, vcc, s16, v2
	v_addc_co_u32_e32 v27, vcc, v3, v23, vcc
	global_load_dword v23, v[26:27], off
.LBB83_60:
	s_or_b64 exec, exec, s[14:15]
	s_waitcnt vmcnt(0)
	ds_write_b32 v0, v23 offset:2112
	v_add_u32_e32 v23, 24, v12
	v_cmp_gt_i32_e32 vcc, s24, v23
	s_and_saveexec_b64 s[14:15], vcc
	s_cbranch_execz .LBB83_62
; %bb.61:
	s_mul_i32 s16, s20, 24
	s_ashr_i32 s17, s16, 31
	s_lshl_b64 s[16:17], s[16:17], 2
	v_mov_b32_e32 v12, s17
	v_add_co_u32_e32 v26, vcc, s16, v2
	v_addc_co_u32_e32 v27, vcc, v3, v12, vcc
	global_load_dword v28, v[26:27], off
.LBB83_62:
	s_or_b64 exec, exec, s[14:15]
	s_waitcnt vmcnt(0)
	ds_write_b32 v0, v28 offset:3168
	v_add_co_u32_e32 v0, vcc, v2, v24
	v_addc_co_u32_e32 v2, vcc, 0, v3, vcc
	v_mov_b32_e32 v3, s13
	v_subrev_co_u32_e32 v0, vcc, s12, v0
	v_subb_co_u32_e32 v2, vcc, v2, v3, vcc
	v_add_co_u32_e32 v0, vcc, 0x84, v0
	v_addc_co_u32_e32 v2, vcc, 0, v2, vcc
	v_add_u32_e32 v27, 0x108, v15
	v_add_u32_e32 v25, 0x210, v15
	;; [unrolled: 1-line block ×3, first 2 shown]
	v_cndmask_b32_e64 v11, v2, v11, s[8:9]
	v_cndmask_b32_e64 v10, v0, v10, s[8:9]
.LBB83_63:
	s_waitcnt lgkmcnt(0)
	s_barrier
	v_lshlrev_b32_e32 v0, 2, v15
	ds_read_b32 v24, v14 offset:4544
	v_lshlrev_b32_e32 v2, 2, v27
	ds_read_b32 v27, v0
	ds_read_b32 v28, v2
	v_lshlrev_b32_e32 v0, 2, v1
	v_lshlrev_b32_e32 v1, 2, v25
	;; [unrolled: 1-line block ×5, first 2 shown]
	ds_read_b32 v22, v0 offset:4544
	ds_read_b32 v23, v1
	ds_read_b32 v25, v2 offset:4544
	ds_read_b32 v26, v3
	ds_read_b32 v29, v12 offset:4544
	ds_read2_b32 v[14:15], v13 offset1:1
	ds_read_b128 v[0:3], v21 offset:128
	ds_read2_b32 v[12:13], v13 offset0:2 offset1:3
	s_waitcnt lgkmcnt(9)
	v_fma_f32 v21, v27, v24, 0
	s_waitcnt lgkmcnt(7)
	v_fmac_f32_e32 v21, v28, v22
	s_waitcnt lgkmcnt(5)
	v_fmac_f32_e32 v21, v23, v25
	;; [unrolled: 2-line block ×3, first 2 shown]
	s_waitcnt lgkmcnt(0)
	s_barrier
	ds_write_b32 v20, v21
	s_waitcnt lgkmcnt(0)
	s_barrier
	s_and_saveexec_b64 s[8:9], s[10:11]
	s_cbranch_execz .LBB83_65
; %bb.64:
	v_lshlrev_b32_e32 v21, 2, v19
	ds_read2_b32 v[22:23], v21 offset1:1
	ds_read2_b32 v[24:25], v21 offset0:2 offset1:3
	ds_read2_b32 v[26:27], v21 offset0:4 offset1:5
	;; [unrolled: 1-line block ×3, first 2 shown]
	s_waitcnt lgkmcnt(3)
	v_add_f32_e32 v16, v16, v22
	v_add_f32_e32 v16, v16, v23
	s_waitcnt lgkmcnt(2)
	v_add_f32_e32 v16, v16, v24
	v_add_f32_e32 v16, v16, v25
	;; [unrolled: 3-line block ×4, first 2 shown]
.LBB83_65:
	s_or_b64 exec, exec, s[8:9]
	v_fma_f32 v0, v14, v0, 0
	v_fmac_f32_e32 v0, v15, v1
	v_fmac_f32_e32 v0, v12, v2
	;; [unrolled: 1-line block ×3, first 2 shown]
	s_barrier
	ds_write_b32 v20, v0
	s_waitcnt lgkmcnt(0)
	s_barrier
	s_and_saveexec_b64 s[8:9], s[4:5]
	s_cbranch_execz .LBB83_67
; %bb.66:
	v_lshlrev_b32_e32 v14, 2, v19
	ds_read2_b32 v[0:1], v14 offset1:1
	ds_read2_b32 v[2:3], v14 offset0:2 offset1:3
	ds_read2_b32 v[12:13], v14 offset0:4 offset1:5
	;; [unrolled: 1-line block ×3, first 2 shown]
	s_waitcnt lgkmcnt(3)
	v_add_f32_e32 v0, v16, v0
	v_add_f32_e32 v0, v0, v1
	s_waitcnt lgkmcnt(2)
	v_add_f32_e32 v0, v0, v2
	v_add_f32_e32 v0, v0, v3
	;; [unrolled: 3-line block ×4, first 2 shown]
.LBB83_67:
	s_or_b64 exec, exec, s[8:9]
	s_mul_hi_u32 s4, s40, s7
	s_mul_i32 s42, s42, s7
	s_add_i32 s4, s4, s42
	s_mul_i32 s7, s40, s7
	s_mul_i32 s4, s4, s41
	s_mul_hi_u32 s5, s7, s41
	s_add_i32 s5, s5, s4
	s_mul_i32 s4, s7, s41
	s_lshl_b64 s[4:5], s[4:5], 2
	s_add_u32 s7, s22, s4
	s_mul_i32 s4, s6, s40
	s_addc_u32 s8, s23, s5
	s_ashr_i32 s5, s4, 31
	s_lshl_b64 s[4:5], s[4:5], 2
	s_add_u32 s7, s7, s4
	v_cmp_le_i32_e32 vcc, s24, v17
	s_addc_u32 s27, s8, s5
	s_and_b64 vcc, s[30:31], vcc
	s_cmp_lt_i32 s6, 1
	v_lshlrev_b32_e32 v12, 2, v17
	s_barrier
	s_cbranch_scc1 .LBB83_74
; %bb.68:
	s_mul_i32 s4, s26, s33
	s_ashr_i32 s5, s4, 31
	s_lshl_b64 s[4:5], s[4:5], 2
	v_mov_b32_e32 v0, s5
	v_subrev_co_u32_e64 v6, s[4:5], s4, v6
	v_subb_co_u32_e64 v7, s[4:5], v7, v0, s[4:5]
	v_mov_b32_e32 v0, s29
	v_subrev_co_u32_e64 v1, s[4:5], s28, v10
	v_subb_co_u32_e64 v0, s[4:5], v11, v0, s[4:5]
	v_sub_co_u32_e64 v2, s[4:5], v1, v8
	v_subb_co_u32_e64 v3, s[4:5], v0, v9, s[4:5]
	v_mul_lo_u32 v0, v5, s20
	v_lshl_add_u32 v0, v0, 2, v17
	v_ashrrev_i32_e32 v1, 31, v0
	v_lshlrev_b64 v[0:1], 2, v[0:1]
	v_add_co_u32_e64 v0, s[4:5], v2, v0
	v_addc_co_u32_e64 v2, s[4:5], v3, v1, s[4:5]
	s_movk_i32 s4, 0xff80
	v_add_co_u32_e64 v8, s[4:5], s4, v0
	v_addc_co_u32_e64 v3, s[4:5], -1, v2, s[4:5]
	v_sub_co_u32_e64 v0, s[4:5], v0, v12
	v_subbrev_co_u32_e64 v2, s[4:5], 0, v2, s[4:5]
	s_ashr_i32 s25, s24, 31
	s_lshl_b64 s[4:5], s[24:25], 2
	v_mov_b32_e32 v9, s5
	v_add_co_u32_e64 v0, s[4:5], s4, v0
	v_addc_co_u32_e64 v2, s[4:5], v2, v9, s[4:5]
	s_movk_i32 s4, 0xff7c
	v_add_co_u32_e64 v0, s[4:5], s4, v0
	v_addc_co_u32_e64 v2, s[4:5], -1, v2, s[4:5]
	v_cndmask_b32_e32 v3, v3, v2, vcc
	v_cndmask_b32_e32 v2, v8, v0, vcc
	v_lshrrev_b32_e32 v0, 2, v18
	v_and_b32_e32 v20, 48, v17
	v_and_b32_e32 v19, 15, v17
	;; [unrolled: 1-line block ×3, first 2 shown]
	v_lshlrev_b32_e32 v10, 2, v20
	s_movk_i32 s8, 0x10c
	v_or_b32_e32 v11, 60, v12
	v_and_b32_e32 v13, 0x1fff0, v18
	s_ashr_i32 s21, s20, 31
	s_movk_i32 s9, 0x430
	v_mad_u32_u24 v10, v19, s8, v10
	v_mad_u32_u24 v11, v19, s8, v11
	;; [unrolled: 1-line block ×3, first 2 shown]
	v_mov_b32_e32 v14, 0x10c0
	v_mad_u32_u24 v15, v5, s9, v12
	v_mad_u32_u24 v17, v19, s8, v0
	s_lshl_b64 s[10:11], s[20:21], 2
	s_lshl_b64 s[14:15], s[20:21], 3
	s_mul_hi_i32 s8, s20, 12
	s_mul_hi_i32 s9, s20, 0x48
	;; [unrolled: 1-line block ×10, first 2 shown]
	s_lshl_b64 s[16:17], s[20:21], 7
	s_mul_hi_i32 s44, s20, 0x44
	s_lshl_b64 s[18:19], s[20:21], 6
	v_mov_b32_e32 v1, 0
	s_lshl_b32 s24, s33, 6
	v_add_u32_e32 v8, 0x10c0, v12
	v_add_u32_e32 v9, 0x11c0, v12
	v_cmp_gt_u32_e64 s[4:5], 64, v18
	v_lshl_add_u32 v14, v5, 4, v14
	s_lshl_b64 s[12:13], s[20:21], 8
	s_mul_i32 s25, s20, 12
	s_mul_i32 s26, s20, 0x48
	;; [unrolled: 1-line block ×11, first 2 shown]
	v_or_b32_e32 v0, v20, v19
	s_mov_b32 s20, 0
	v_mov_b32_e32 v18, s11
	v_mov_b32_e32 v19, s15
	;; [unrolled: 1-line block ×15, first 2 shown]
	s_branch .LBB83_70
.LBB83_69:                              ;   in Loop: Header=BB83_70 Depth=1
	s_or_b64 exec, exec, s[22:23]
	v_fmac_f32_e32 v16, v33, v37
	v_fmac_f32_e32 v16, v34, v38
	;; [unrolled: 1-line block ×15, first 2 shown]
	v_mov_b32_e32 v33, s13
	v_add_co_u32_e64 v2, s[8:9], s12, v2
	s_add_i32 s6, s6, -1
	s_add_i32 s20, s20, s24
	v_fmac_f32_e32 v16, v59, v64
	v_addc_co_u32_e64 v3, s[8:9], v3, v33, s[8:9]
	s_cmp_eq_u32 s6, 0
	v_add_u32_e32 v0, 64, v0
	s_barrier
	s_cbranch_scc1 .LBB83_74
.LBB83_70:                              ; =>This Inner Loop Header: Depth=1
	s_and_saveexec_b64 s[22:23], s[2:3]
	s_cbranch_execz .LBB83_72
; %bb.71:                               ;   in Loop: Header=BB83_70 Depth=1
	s_ashr_i32 s21, s20, 31
	s_lshl_b64 s[8:9], s[20:21], 2
	v_mov_b32_e32 v33, s9
	v_add_co_u32_e64 v34, s[8:9], s8, v6
	v_addc_co_u32_e64 v35, s[8:9], v7, v33, s[8:9]
	global_load_dword v33, v[34:35], off
	s_waitcnt vmcnt(0)
	ds_write_b32 v8, v33
.LBB83_72:                              ;   in Loop: Header=BB83_70 Depth=1
	s_or_b64 exec, exec, s[22:23]
	v_add_co_u32_e64 v36, s[8:9], s10, v2
	v_addc_co_u32_e64 v37, s[8:9], v3, v18, s[8:9]
	v_add_co_u32_e64 v38, s[8:9], s14, v2
	v_addc_co_u32_e64 v39, s[8:9], v3, v19, s[8:9]
	s_waitcnt lgkmcnt(0)
	s_barrier
	global_load_dword v33, v[2:3], off
	global_load_dword v34, v[36:37], off
	;; [unrolled: 1-line block ×3, first 2 shown]
	v_add_co_u32_e64 v36, s[8:9], s25, v2
	v_addc_co_u32_e64 v37, s[8:9], v3, v20, s[8:9]
	global_load_dword v36, v[36:37], off
	ds_read_b32 v38, v9
	ds_read_b32 v37, v14
	v_add_co_u32_e64 v46, s[8:9], s18, v2
	v_addc_co_u32_e64 v47, s[8:9], v3, v21, s[8:9]
	v_add_co_u32_e64 v48, s[8:9], s37, v2
	v_addc_co_u32_e64 v49, s[8:9], v3, v22, s[8:9]
	;; [unrolled: 2-line block ×12, first 2 shown]
	s_waitcnt vmcnt(3) lgkmcnt(1)
	v_mul_f32_e32 v39, v33, v38
	ds_write_b32 v15, v39
	s_waitcnt vmcnt(2)
	v_mul_f32_e32 v39, v34, v38
	s_waitcnt vmcnt(1)
	v_mul_f32_e32 v40, v35, v38
	;; [unrolled: 2-line block ×3, first 2 shown]
	ds_read_b32 v38, v14 offset:4
	ds_write_b32 v15, v39 offset:268
	ds_read_b32 v39, v14 offset:8
	ds_write_b32 v15, v40 offset:536
	;; [unrolled: 2-line block ×3, first 2 shown]
	s_waitcnt lgkmcnt(0)
	s_barrier
	ds_read2_b32 v[62:63], v13 offset1:1
	ds_read2_b32 v[64:65], v13 offset0:2 offset1:3
	s_waitcnt lgkmcnt(0)
	s_barrier
	global_load_dword v44, v[46:47], off
	global_load_dword v42, v[48:49], off
	;; [unrolled: 1-line block ×4, first 2 shown]
	ds_read_b32 v46, v9
	ds_read_b32 v45, v14 offset:64
	s_waitcnt vmcnt(3) lgkmcnt(1)
	v_mul_f32_e32 v47, v44, v46
	s_waitcnt vmcnt(2)
	v_mul_f32_e32 v48, v42, v46
	ds_write_b32 v15, v47
	s_waitcnt vmcnt(1)
	v_mul_f32_e32 v49, v41, v46
	s_waitcnt vmcnt(0)
	v_mul_f32_e32 v50, v43, v46
	ds_read_b32 v46, v14 offset:68
	ds_write_b32 v15, v48 offset:268
	ds_read_b32 v47, v14 offset:72
	ds_write_b32 v15, v49 offset:536
	;; [unrolled: 2-line block ×3, first 2 shown]
	s_waitcnt lgkmcnt(0)
	s_barrier
	ds_read2_b32 v[66:67], v13 offset1:1
	ds_read2_b32 v[68:69], v13 offset0:2 offset1:3
	s_waitcnt lgkmcnt(0)
	s_barrier
	global_load_dword v52, v[54:55], off
	global_load_dword v50, v[56:57], off
	;; [unrolled: 1-line block ×4, first 2 shown]
	ds_read_b32 v54, v9
	ds_read_b32 v53, v14 offset:128
	v_add_f32_e32 v61, 0, v62
	v_add_f32_e32 v61, v61, v63
	;; [unrolled: 1-line block ×7, first 2 shown]
	s_waitcnt vmcnt(3) lgkmcnt(1)
	v_mul_f32_e32 v55, v52, v54
	s_waitcnt vmcnt(2)
	v_mul_f32_e32 v56, v50, v54
	ds_write_b32 v15, v55
	s_waitcnt vmcnt(1)
	v_mul_f32_e32 v57, v49, v54
	s_waitcnt vmcnt(0)
	v_mul_f32_e32 v58, v51, v54
	ds_read_b32 v54, v14 offset:132
	ds_write_b32 v15, v56 offset:268
	ds_read_b32 v55, v14 offset:136
	ds_write_b32 v15, v57 offset:536
	;; [unrolled: 2-line block ×3, first 2 shown]
	s_waitcnt lgkmcnt(0)
	s_barrier
	ds_read2_b32 v[78:79], v13 offset1:1
	ds_read2_b32 v[80:81], v13 offset0:2 offset1:3
	s_waitcnt lgkmcnt(0)
	s_barrier
	global_load_dword v60, v[70:71], off
	global_load_dword v58, v[72:73], off
	;; [unrolled: 1-line block ×4, first 2 shown]
	v_add_f32_e32 v70, v61, v69
	ds_read_b32 v62, v9
	ds_read_b32 v61, v14 offset:192
	v_add_f32_e32 v63, 0, v78
	v_add_f32_e32 v63, v63, v79
	;; [unrolled: 1-line block ×4, first 2 shown]
	s_waitcnt vmcnt(3) lgkmcnt(1)
	v_mul_f32_e32 v63, v60, v62
	s_waitcnt vmcnt(2)
	v_mul_f32_e32 v64, v58, v62
	ds_write_b32 v15, v63
	s_waitcnt vmcnt(1)
	v_mul_f32_e32 v66, v57, v62
	s_waitcnt vmcnt(0)
	v_mul_f32_e32 v67, v59, v62
	ds_read_b32 v62, v14 offset:196
	ds_write_b32 v15, v64 offset:268
	ds_read_b32 v63, v14 offset:200
	ds_write_b32 v15, v66 offset:536
	;; [unrolled: 2-line block ×3, first 2 shown]
	s_waitcnt lgkmcnt(0)
	s_barrier
	ds_read2_b32 v[66:67], v13 offset1:1
	ds_read2_b32 v[68:69], v13 offset0:2 offset1:3
	s_waitcnt lgkmcnt(0)
	s_barrier
	ds_write2_b32 v17, v65, v70 offset1:16
	v_add_f32_e32 v65, 0, v66
	v_add_f32_e32 v65, v65, v67
	;; [unrolled: 1-line block ×4, first 2 shown]
	ds_write2_b32 v17, v71, v65 offset0:32 offset1:48
	s_waitcnt lgkmcnt(0)
	s_barrier
	s_and_saveexec_b64 s[22:23], s[4:5]
	s_cbranch_execz .LBB83_69
; %bb.73:                               ;   in Loop: Header=BB83_70 Depth=1
	ds_read2_b32 v[66:67], v10 offset1:1
	ds_read2_b32 v[68:69], v10 offset0:2 offset1:3
	ds_read2_b32 v[70:71], v10 offset0:4 offset1:5
	;; [unrolled: 1-line block ×4, first 2 shown]
	s_waitcnt lgkmcnt(4)
	v_add_f32_e32 v65, v66, v67
	s_waitcnt lgkmcnt(3)
	v_add_f32_e32 v65, v65, v68
	v_add_f32_e32 v65, v65, v69
	s_waitcnt lgkmcnt(2)
	v_add_f32_e32 v65, v65, v70
	;; [unrolled: 3-line block ×3, first 2 shown]
	v_add_f32_e32 v65, v65, v73
	ds_read2_b32 v[66:67], v10 offset0:10 offset1:11
	ds_read2_b32 v[68:69], v10 offset0:12 offset1:13
	ds_read_b32 v70, v10 offset:56
	s_waitcnt lgkmcnt(3)
	v_add_f32_e32 v65, v65, v74
	v_add_f32_e32 v65, v65, v75
	s_waitcnt lgkmcnt(2)
	v_add_f32_e32 v65, v65, v66
	ds_read_b32 v66, v11
	v_add_f32_e32 v65, v65, v67
	s_waitcnt lgkmcnt(2)
	v_add_f32_e32 v65, v65, v68
	v_add_f32_e32 v65, v65, v69
	s_waitcnt lgkmcnt(1)
	v_add_f32_e32 v65, v65, v70
	s_waitcnt lgkmcnt(0)
	v_add_f32_e32 v65, v65, v66
	v_lshlrev_b64 v[66:67], 2, v[0:1]
	v_mov_b32_e32 v68, s27
	v_add_co_u32_e64 v66, s[8:9], s7, v66
	v_addc_co_u32_e64 v67, s[8:9], v68, v67, s[8:9]
	global_store_dword v[66:67], v65, off
	s_branch .LBB83_69
.LBB83_74:
	s_movk_i32 s2, 0x10c
	s_or_b64 s[0:1], s[0:1], vcc
	v_mad_u32_u24 v0, v5, s2, v12
	s_xor_b64 s[0:1], s[0:1], -1
	ds_write_b32 v0, v16
	s_waitcnt lgkmcnt(0)
	s_barrier
	s_and_saveexec_b64 s[2:3], s[0:1]
	s_cbranch_execz .LBB83_76
; %bb.75:
	ds_read2_b32 v[0:1], v12 offset1:67
	ds_read2_b32 v[2:3], v12 offset0:134 offset1:201
	v_ashrrev_i32_e32 v5, 31, v4
	v_lshlrev_b64 v[4:5], 2, v[4:5]
	v_mov_b32_e32 v6, s27
	s_waitcnt lgkmcnt(1)
	v_add_f32_e32 v0, v0, v1
	s_waitcnt lgkmcnt(0)
	v_add_f32_e32 v0, v0, v2
	v_add_f32_e32 v2, v0, v3
	v_add_co_u32_e32 v0, vcc, s7, v4
	v_addc_co_u32_e32 v1, vcc, v6, v5, vcc
	global_store_dword v[0:1], v2, off
.LBB83_76:
	s_endpgm
	.section	.rodata,"a",@progbits
	.p2align	6, 0x0
	.amdhsa_kernel _ZL26rocblas_hemvn_kernel_lowerILb0ELi64ELi4ELi33ELi32ELi16EiPKfS1_PfEviT6_lT7_lT5_lS4_lS5_lS3_lT8_i
		.amdhsa_group_segment_fixed_size 4800
		.amdhsa_private_segment_fixed_size 0
		.amdhsa_kernarg_size 376
		.amdhsa_user_sgpr_count 6
		.amdhsa_user_sgpr_private_segment_buffer 1
		.amdhsa_user_sgpr_dispatch_ptr 0
		.amdhsa_user_sgpr_queue_ptr 0
		.amdhsa_user_sgpr_kernarg_segment_ptr 1
		.amdhsa_user_sgpr_dispatch_id 0
		.amdhsa_user_sgpr_flat_scratch_init 0
		.amdhsa_user_sgpr_kernarg_preload_length 0
		.amdhsa_user_sgpr_kernarg_preload_offset 0
		.amdhsa_user_sgpr_private_segment_size 0
		.amdhsa_uses_dynamic_stack 0
		.amdhsa_system_sgpr_private_segment_wavefront_offset 0
		.amdhsa_system_sgpr_workgroup_id_x 1
		.amdhsa_system_sgpr_workgroup_id_y 0
		.amdhsa_system_sgpr_workgroup_id_z 1
		.amdhsa_system_sgpr_workgroup_info 0
		.amdhsa_system_vgpr_workitem_id 1
		.amdhsa_next_free_vgpr 82
		.amdhsa_next_free_sgpr 46
		.amdhsa_accum_offset 84
		.amdhsa_reserve_vcc 1
		.amdhsa_reserve_flat_scratch 0
		.amdhsa_float_round_mode_32 0
		.amdhsa_float_round_mode_16_64 0
		.amdhsa_float_denorm_mode_32 3
		.amdhsa_float_denorm_mode_16_64 3
		.amdhsa_dx10_clamp 1
		.amdhsa_ieee_mode 1
		.amdhsa_fp16_overflow 0
		.amdhsa_tg_split 0
		.amdhsa_exception_fp_ieee_invalid_op 0
		.amdhsa_exception_fp_denorm_src 0
		.amdhsa_exception_fp_ieee_div_zero 0
		.amdhsa_exception_fp_ieee_overflow 0
		.amdhsa_exception_fp_ieee_underflow 0
		.amdhsa_exception_fp_ieee_inexact 0
		.amdhsa_exception_int_div_zero 0
	.end_amdhsa_kernel
	.section	.text._ZL26rocblas_hemvn_kernel_lowerILb0ELi64ELi4ELi33ELi32ELi16EiPKfS1_PfEviT6_lT7_lT5_lS4_lS5_lS3_lT8_i,"axG",@progbits,_ZL26rocblas_hemvn_kernel_lowerILb0ELi64ELi4ELi33ELi32ELi16EiPKfS1_PfEviT6_lT7_lT5_lS4_lS5_lS3_lT8_i,comdat
.Lfunc_end83:
	.size	_ZL26rocblas_hemvn_kernel_lowerILb0ELi64ELi4ELi33ELi32ELi16EiPKfS1_PfEviT6_lT7_lT5_lS4_lS5_lS3_lT8_i, .Lfunc_end83-_ZL26rocblas_hemvn_kernel_lowerILb0ELi64ELi4ELi33ELi32ELi16EiPKfS1_PfEviT6_lT7_lT5_lS4_lS5_lS3_lT8_i
                                        ; -- End function
	.section	.AMDGPU.csdata,"",@progbits
; Kernel info:
; codeLenInByte = 5876
; NumSgprs: 50
; NumVgprs: 82
; NumAgprs: 0
; TotalNumVgprs: 82
; ScratchSize: 0
; MemoryBound: 0
; FloatMode: 240
; IeeeMode: 1
; LDSByteSize: 4800 bytes/workgroup (compile time only)
; SGPRBlocks: 6
; VGPRBlocks: 10
; NumSGPRsForWavesPerEU: 50
; NumVGPRsForWavesPerEU: 82
; AccumOffset: 84
; Occupancy: 5
; WaveLimiterHint : 1
; COMPUTE_PGM_RSRC2:SCRATCH_EN: 0
; COMPUTE_PGM_RSRC2:USER_SGPR: 6
; COMPUTE_PGM_RSRC2:TRAP_HANDLER: 0
; COMPUTE_PGM_RSRC2:TGID_X_EN: 1
; COMPUTE_PGM_RSRC2:TGID_Y_EN: 0
; COMPUTE_PGM_RSRC2:TGID_Z_EN: 1
; COMPUTE_PGM_RSRC2:TIDIG_COMP_CNT: 1
; COMPUTE_PGM_RSRC3_GFX90A:ACCUM_OFFSET: 20
; COMPUTE_PGM_RSRC3_GFX90A:TG_SPLIT: 0
	.section	.text._ZL36rocblas_hemvn_kernel_lower_block_sumILi64EiPKfPffEviT1_lS3_lT2_lT0_lPT3_i,"axG",@progbits,_ZL36rocblas_hemvn_kernel_lower_block_sumILi64EiPKfPffEviT1_lS3_lT2_lT0_lPT3_i,comdat
	.globl	_ZL36rocblas_hemvn_kernel_lower_block_sumILi64EiPKfPffEviT1_lS3_lT2_lT0_lPT3_i ; -- Begin function _ZL36rocblas_hemvn_kernel_lower_block_sumILi64EiPKfPffEviT1_lS3_lT2_lT0_lPT3_i
	.p2align	8
	.type	_ZL36rocblas_hemvn_kernel_lower_block_sumILi64EiPKfPffEviT1_lS3_lT2_lT0_lPT3_i,@function
_ZL36rocblas_hemvn_kernel_lower_block_sumILi64EiPKfPffEviT1_lS3_lT2_lT0_lPT3_i: ; @_ZL36rocblas_hemvn_kernel_lower_block_sumILi64EiPKfPffEviT1_lS3_lT2_lT0_lPT3_i
; %bb.0:
	s_load_dwordx8 s[12:19], s[4:5], 0x8
	s_waitcnt lgkmcnt(0)
	s_mul_i32 s0, s7, s15
	s_mul_hi_u32 s1, s7, s14
	s_add_i32 s1, s1, s0
	s_mul_i32 s0, s7, s14
	s_lshl_b64 s[0:1], s[0:1], 2
	s_add_u32 s0, s12, s0
	s_addc_u32 s1, s13, s1
	s_load_dword s14, s[0:1], 0x0
	s_mul_i32 s0, s7, s19
	s_mul_hi_u32 s1, s7, s18
	s_add_i32 s1, s1, s0
	s_mul_i32 s0, s7, s18
	s_lshl_b64 s[0:1], s[0:1], 2
	s_add_u32 s0, s16, s0
	s_addc_u32 s1, s17, s1
	s_load_dword s17, s[0:1], 0x0
	s_waitcnt lgkmcnt(0)
	v_cmp_eq_f32_e64 s[0:1], s14, 0
	v_cmp_eq_f32_e64 s[2:3], s17, 1.0
	s_and_b64 s[0:1], s[0:1], s[2:3]
	s_and_b64 vcc, exec, s[0:1]
	s_cbranch_vccnz .LBB84_19
; %bb.1:
	s_load_dwordx2 s[10:11], s[4:5], 0x40
	s_load_dword s18, s[4:5], 0x38
	s_load_dwordx4 s[0:3], s[4:5], 0x28
	s_load_dword s8, s[4:5], 0x0
	v_lshl_or_b32 v2, s6, 6, v0
	s_waitcnt lgkmcnt(0)
	s_mul_i32 s9, s7, s11
	s_mul_hi_u32 s11, s7, s10
	s_add_i32 s11, s11, s9
	s_mul_i32 s10, s7, s10
	s_lshl_b64 s[10:11], s[10:11], 2
	s_add_u32 s9, s0, s10
	s_addc_u32 s10, s1, s11
	s_lshl_b64 s[0:1], s[2:3], 2
	s_add_u32 s15, s9, s0
	s_addc_u32 s16, s10, s1
	v_cmp_neq_f32_e64 s[0:1], s14, 0
	s_and_b64 vcc, exec, s[0:1]
	v_cmp_gt_i32_e64 s[0:1], s8, v2
	s_cbranch_vccnz .LBB84_6
; %bb.2:
	s_mov_b64 s[10:11], 0
	s_mov_b64 s[2:3], 0
                                        ; implicit-def: $vgpr3
                                        ; implicit-def: $vgpr0_vgpr1
	s_and_saveexec_b64 s[12:13], s[0:1]
	s_cbranch_execz .LBB84_7
; %bb.3:
	v_cmp_eq_f32_e64 s[0:1], s17, 0
	v_mul_lo_u32 v0, v2, s18
	v_mov_b32_e32 v3, 0
	v_ashrrev_i32_e32 v1, 31, v0
	s_and_b64 vcc, exec, s[0:1]
	s_cbranch_vccnz .LBB84_5
; %bb.4:
	v_lshlrev_b64 v[4:5], 2, v[0:1]
	v_mov_b32_e32 v3, s16
	v_add_co_u32_e32 v4, vcc, s15, v4
	v_addc_co_u32_e32 v5, vcc, v3, v5, vcc
	global_load_dword v3, v[4:5], off
	s_waitcnt vmcnt(0)
	v_mul_f32_e32 v3, s17, v3
.LBB84_5:
	s_mov_b64 s[2:3], exec
	s_or_b64 exec, exec, s[12:13]
	s_and_b64 vcc, exec, s[10:11]
	s_cbranch_vccnz .LBB84_8
	s_branch .LBB84_17
.LBB84_6:
	s_mov_b64 s[2:3], 0
                                        ; implicit-def: $vgpr3
                                        ; implicit-def: $vgpr0_vgpr1
	s_cbranch_execnz .LBB84_8
	s_branch .LBB84_17
.LBB84_7:
	s_or_b64 exec, exec, s[12:13]
	s_and_b64 vcc, exec, s[10:11]
	s_cbranch_vccz .LBB84_17
.LBB84_8:
	v_cmp_gt_i32_e32 vcc, s8, v2
                                        ; implicit-def: $vgpr3
                                        ; implicit-def: $vgpr0_vgpr1
	s_and_saveexec_b64 s[0:1], vcc
	s_cbranch_execz .LBB84_16
; %bb.9:
	s_load_dword s10, s[4:5], 0x58
	v_mov_b32_e32 v4, 0
	s_waitcnt lgkmcnt(0)
	s_cmp_ge_i32 s6, s10
	s_cbranch_scc1 .LBB84_12
; %bb.10:
	s_ashr_i32 s9, s8, 31
	s_mul_i32 s11, s6, s8
	s_load_dwordx2 s[4:5], s[4:5], 0x48
	v_add_u32_e32 v0, s11, v2
	s_mul_hi_u32 s11, s8, s7
	s_mul_i32 s12, s9, s7
	s_add_i32 s11, s11, s12
	s_mul_i32 s7, s8, s7
	s_mul_i32 s11, s11, s10
	s_mul_hi_u32 s12, s7, s10
	s_add_i32 s13, s12, s11
	s_mul_i32 s12, s7, s10
	s_lshl_b64 s[12:13], s[12:13], 2
	v_ashrrev_i32_e32 v1, 31, v0
	s_waitcnt lgkmcnt(0)
	s_add_u32 s4, s4, s12
	v_lshlrev_b64 v[0:1], 2, v[0:1]
	s_addc_u32 s5, s5, s13
	v_mov_b32_e32 v3, s5
	v_add_co_u32_e32 v0, vcc, s4, v0
	s_lshl_b64 s[4:5], s[8:9], 2
	v_addc_co_u32_e32 v1, vcc, v3, v1, vcc
	v_mov_b32_e32 v4, 0
	v_mov_b32_e32 v3, s5
.LBB84_11:                              ; =>This Inner Loop Header: Depth=1
	global_load_dword v5, v[0:1], off
	s_add_i32 s6, s6, 1
	v_add_co_u32_e32 v0, vcc, s4, v0
	v_addc_co_u32_e32 v1, vcc, v1, v3, vcc
	s_cmp_ge_i32 s6, s10
	s_waitcnt vmcnt(0)
	v_add_f32_e32 v4, v4, v5
	s_cbranch_scc0 .LBB84_11
.LBB84_12:
	v_cmp_eq_f32_e64 s[4:5], s17, 0
	v_mul_lo_u32 v0, v2, s18
	s_and_b64 vcc, exec, s[4:5]
	v_ashrrev_i32_e32 v1, 31, v0
	s_cbranch_vccz .LBB84_20
; %bb.13:
	v_mul_f32_e32 v3, s14, v4
	s_cbranch_execnz .LBB84_15
.LBB84_14:
	v_lshlrev_b64 v[2:3], 2, v[0:1]
	v_mov_b32_e32 v5, s16
	v_add_co_u32_e32 v2, vcc, s15, v2
	v_addc_co_u32_e32 v3, vcc, v5, v3, vcc
	global_load_dword v2, v[2:3], off
	s_waitcnt vmcnt(0)
	v_mul_f32_e32 v3, s17, v2
	v_fmac_f32_e32 v3, s14, v4
.LBB84_15:
	s_or_b64 s[2:3], s[2:3], exec
.LBB84_16:
	s_or_b64 exec, exec, s[0:1]
.LBB84_17:
	s_and_saveexec_b64 s[0:1], s[2:3]
	s_cbranch_execz .LBB84_19
; %bb.18:
	v_lshlrev_b64 v[0:1], 2, v[0:1]
	v_mov_b32_e32 v2, s16
	v_add_co_u32_e32 v0, vcc, s15, v0
	v_addc_co_u32_e32 v1, vcc, v2, v1, vcc
	global_store_dword v[0:1], v3, off
.LBB84_19:
	s_endpgm
.LBB84_20:
                                        ; implicit-def: $vgpr3
	s_branch .LBB84_14
	.section	.rodata,"a",@progbits
	.p2align	6, 0x0
	.amdhsa_kernel _ZL36rocblas_hemvn_kernel_lower_block_sumILi64EiPKfPffEviT1_lS3_lT2_lT0_lPT3_i
		.amdhsa_group_segment_fixed_size 0
		.amdhsa_private_segment_fixed_size 0
		.amdhsa_kernarg_size 344
		.amdhsa_user_sgpr_count 6
		.amdhsa_user_sgpr_private_segment_buffer 1
		.amdhsa_user_sgpr_dispatch_ptr 0
		.amdhsa_user_sgpr_queue_ptr 0
		.amdhsa_user_sgpr_kernarg_segment_ptr 1
		.amdhsa_user_sgpr_dispatch_id 0
		.amdhsa_user_sgpr_flat_scratch_init 0
		.amdhsa_user_sgpr_kernarg_preload_length 0
		.amdhsa_user_sgpr_kernarg_preload_offset 0
		.amdhsa_user_sgpr_private_segment_size 0
		.amdhsa_uses_dynamic_stack 0
		.amdhsa_system_sgpr_private_segment_wavefront_offset 0
		.amdhsa_system_sgpr_workgroup_id_x 1
		.amdhsa_system_sgpr_workgroup_id_y 0
		.amdhsa_system_sgpr_workgroup_id_z 1
		.amdhsa_system_sgpr_workgroup_info 0
		.amdhsa_system_vgpr_workitem_id 0
		.amdhsa_next_free_vgpr 6
		.amdhsa_next_free_sgpr 20
		.amdhsa_accum_offset 8
		.amdhsa_reserve_vcc 1
		.amdhsa_reserve_flat_scratch 0
		.amdhsa_float_round_mode_32 0
		.amdhsa_float_round_mode_16_64 0
		.amdhsa_float_denorm_mode_32 3
		.amdhsa_float_denorm_mode_16_64 3
		.amdhsa_dx10_clamp 1
		.amdhsa_ieee_mode 1
		.amdhsa_fp16_overflow 0
		.amdhsa_tg_split 0
		.amdhsa_exception_fp_ieee_invalid_op 0
		.amdhsa_exception_fp_denorm_src 0
		.amdhsa_exception_fp_ieee_div_zero 0
		.amdhsa_exception_fp_ieee_overflow 0
		.amdhsa_exception_fp_ieee_underflow 0
		.amdhsa_exception_fp_ieee_inexact 0
		.amdhsa_exception_int_div_zero 0
	.end_amdhsa_kernel
	.section	.text._ZL36rocblas_hemvn_kernel_lower_block_sumILi64EiPKfPffEviT1_lS3_lT2_lT0_lPT3_i,"axG",@progbits,_ZL36rocblas_hemvn_kernel_lower_block_sumILi64EiPKfPffEviT1_lS3_lT2_lT0_lPT3_i,comdat
.Lfunc_end84:
	.size	_ZL36rocblas_hemvn_kernel_lower_block_sumILi64EiPKfPffEviT1_lS3_lT2_lT0_lPT3_i, .Lfunc_end84-_ZL36rocblas_hemvn_kernel_lower_block_sumILi64EiPKfPffEviT1_lS3_lT2_lT0_lPT3_i
                                        ; -- End function
	.section	.AMDGPU.csdata,"",@progbits
; Kernel info:
; codeLenInByte = 656
; NumSgprs: 24
; NumVgprs: 6
; NumAgprs: 0
; TotalNumVgprs: 6
; ScratchSize: 0
; MemoryBound: 0
; FloatMode: 240
; IeeeMode: 1
; LDSByteSize: 0 bytes/workgroup (compile time only)
; SGPRBlocks: 2
; VGPRBlocks: 0
; NumSGPRsForWavesPerEU: 24
; NumVGPRsForWavesPerEU: 6
; AccumOffset: 8
; Occupancy: 8
; WaveLimiterHint : 0
; COMPUTE_PGM_RSRC2:SCRATCH_EN: 0
; COMPUTE_PGM_RSRC2:USER_SGPR: 6
; COMPUTE_PGM_RSRC2:TRAP_HANDLER: 0
; COMPUTE_PGM_RSRC2:TGID_X_EN: 1
; COMPUTE_PGM_RSRC2:TGID_Y_EN: 0
; COMPUTE_PGM_RSRC2:TGID_Z_EN: 1
; COMPUTE_PGM_RSRC2:TIDIG_COMP_CNT: 0
; COMPUTE_PGM_RSRC3_GFX90A:ACCUM_OFFSET: 1
; COMPUTE_PGM_RSRC3_GFX90A:TG_SPLIT: 0
	.section	.text._ZL26rocblas_hemvn_kernel_lowerILb0ELi64ELi4ELi33ELi32ELi16ElfPKfPfEviT6_lT7_lT5_lS4_lS5_lS3_lT8_i,"axG",@progbits,_ZL26rocblas_hemvn_kernel_lowerILb0ELi64ELi4ELi33ELi32ELi16ElfPKfPfEviT6_lT7_lT5_lS4_lS5_lS3_lT8_i,comdat
	.globl	_ZL26rocblas_hemvn_kernel_lowerILb0ELi64ELi4ELi33ELi32ELi16ElfPKfPfEviT6_lT7_lT5_lS4_lS5_lS3_lT8_i ; -- Begin function _ZL26rocblas_hemvn_kernel_lowerILb0ELi64ELi4ELi33ELi32ELi16ElfPKfPfEviT6_lT7_lT5_lS4_lS5_lS3_lT8_i
	.p2align	8
	.type	_ZL26rocblas_hemvn_kernel_lowerILb0ELi64ELi4ELi33ELi32ELi16ElfPKfPfEviT6_lT7_lT5_lS4_lS5_lS3_lT8_i,@function
_ZL26rocblas_hemvn_kernel_lowerILb0ELi64ELi4ELi33ELi32ELi16ElfPKfPfEviT6_lT7_lT5_lS4_lS5_lS3_lT8_i: ; @_ZL26rocblas_hemvn_kernel_lowerILb0ELi64ELi4ELi33ELi32ELi16ElfPKfPfEviT6_lT7_lT5_lS4_lS5_lS3_lT8_i
; %bb.0:
	s_load_dwordx2 s[2:3], s[4:5], 0x7c
	s_add_u32 s0, s4, 0x70
	s_addc_u32 s1, s5, 0
	s_waitcnt lgkmcnt(0)
	s_lshr_b32 s8, s2, 16
	s_and_b32 s2, s2, 0xffff
	s_and_b32 s3, s3, 0xffff
	s_mul_i32 s2, s8, s2
	s_mul_i32 s2, s2, s3
	s_cmpk_lg_i32 s2, 0x100
	s_cbranch_scc1 .LBB85_76
; %bb.1:
	s_load_dwordx2 s[24:25], s[4:5], 0x0
	s_load_dword s8, s[4:5], 0x50
	s_waitcnt lgkmcnt(0)
	v_cmp_eq_f32_e64 s[2:3], s25, 0
	v_cmp_eq_f32_e64 s[8:9], s8, 1.0
	s_and_b64 s[8:9], s[2:3], s[8:9]
	s_and_b64 vcc, exec, s[8:9]
	s_cbranch_vccnz .LBB85_76
; %bb.2:
	s_and_b64 vcc, exec, s[2:3]
	s_cbranch_vccnz .LBB85_76
; %bb.3:
	s_load_dwordx16 s[36:51], s[4:5], 0x10
	s_load_dword s25, s[0:1], 0x0
	v_and_b32_e32 v18, 0x3ff, v0
	v_bfe_u32 v16, v0, 10, 10
	s_waitcnt lgkmcnt(0)
	s_mul_i32 s1, s7, s51
	s_mul_hi_u32 s2, s7, s50
	s_mul_i32 s0, s7, s50
	s_add_i32 s1, s2, s1
	s_lshl_b64 s[0:1], s[0:1], 2
	s_add_u32 s2, s44, s0
	s_addc_u32 s3, s45, s1
	s_lshl_b64 s[0:1], s[46:47], 2
	s_add_u32 s2, s2, s0
	s_addc_u32 s3, s3, s1
	s_ashr_i32 s33, s24, 31
	s_lshr_b32 s1, s33, 26
	s_add_i32 s1, s24, s1
	s_lshl_b32 s28, s6, 6
	s_andn2_b32 s1, s1, 63
	s_add_i32 s0, s25, -1
	s_sub_i32 s1, s24, s1
	v_add_u32_e32 v4, s28, v18
	s_cmp_eq_u32 s6, s0
	v_ashrrev_i32_e32 v5, 31, v4
	s_cselect_b32 s26, s1, 0
	v_mul_lo_u32 v2, v5, s48
	v_mul_lo_u32 v3, v4, s49
	v_mad_u64_u32 v[0:1], s[0:1], v4, s48, 0
	v_add3_u32 v1, v1, v3, v2
	v_lshlrev_b64 v[0:1], 2, v[0:1]
	v_mov_b32_e32 v2, s3
	v_add_co_u32_e32 v6, vcc, s2, v0
	v_addc_co_u32_e32 v7, vcc, v2, v1, vcc
	v_cmp_ne_u32_e64 s[0:1], 0, v16
	v_cmp_eq_u32_e64 s[2:3], 0, v16
	s_and_saveexec_b64 s[8:9], s[2:3]
	s_cbranch_execz .LBB85_7
; %bb.4:
	s_cmp_eq_u32 s26, 0
	s_cselect_b64 s[10:11], -1, 0
	v_cmp_gt_i32_e32 vcc, s26, v18
	s_or_b64 s[12:13], s[10:11], vcc
	v_mov_b32_e32 v0, 0
	s_and_saveexec_b64 s[10:11], s[12:13]
	s_cbranch_execz .LBB85_6
; %bb.5:
	global_load_dword v0, v[6:7], off
.LBB85_6:
	s_or_b64 exec, exec, s[10:11]
	v_lshlrev_b32_e32 v1, 2, v18
	s_waitcnt vmcnt(0)
	ds_write_b32 v1, v0 offset:4544
.LBB85_7:
	s_or_b64 exec, exec, s[8:9]
	s_mul_i32 s8, s7, s43
	s_mul_hi_u32 s9, s7, s42
	s_add_i32 s9, s9, s8
	s_mul_i32 s8, s7, s42
	s_lshl_b64 s[8:9], s[8:9], 2
	s_add_u32 s10, s36, s8
	s_addc_u32 s11, s37, s9
	s_lshl_b64 s[8:9], s[38:39], 2
	s_add_u32 s10, s10, s8
	s_addc_u32 s11, s11, s9
	s_ashr_i32 s29, s28, 31
	v_lshl_add_u32 v19, v16, 6, v18
	s_lshl_b64 s[8:9], s[28:29], 2
	v_and_b32_e32 v0, 31, v18
	v_lshrrev_b32_e32 v12, 5, v19
	s_add_u32 s10, s10, s8
	v_mov_b32_e32 v1, 0
	s_addc_u32 s11, s11, s9
	v_mad_u64_u32 v[2:3], s[8:9], v12, s40, v[0:1]
	v_mov_b32_e32 v8, v3
	v_mad_u64_u32 v[8:9], s[8:9], v12, s41, v[8:9]
	s_mul_i32 s8, s28, s41
	s_mul_hi_u32 s9, s28, s40
	s_add_i32 s8, s9, s8
	s_mul_i32 s9, s29, s40
	s_add_i32 s9, s8, s9
	s_mul_i32 s8, s28, s40
	s_lshl_b64 s[30:31], s[8:9], 2
	v_mov_b32_e32 v3, v8
	s_add_u32 s8, s30, s10
	v_lshlrev_b64 v[8:9], 2, v[2:3]
	s_addc_u32 s9, s31, s11
	v_mov_b32_e32 v1, s9
	v_add_co_u32_e32 v2, vcc, s8, v8
	s_cmp_lg_u32 s26, 0
	v_addc_co_u32_e32 v3, vcc, v1, v9, vcc
	s_cselect_b64 s[34:35], -1, 0
	s_cmp_eq_u32 s26, 0
	s_cselect_b64 s[38:39], -1, 0
	s_and_b64 vcc, exec, s[34:35]
	s_cbranch_vccnz .LBB85_9
; %bb.8:
	s_lshl_b64 s[8:9], s[40:41], 5
	v_mov_b32_e32 v1, s9
	v_add_co_u32_e32 v10, vcc, s8, v2
	v_addc_co_u32_e32 v11, vcc, v3, v1, vcc
	global_load_dword v13, v[10:11], off
	v_add_co_u32_e32 v10, vcc, s8, v10
	v_addc_co_u32_e32 v11, vcc, v11, v1, vcc
	v_mov_b32_e32 v1, 0x60
	v_mad_u64_u32 v[14:15], s[8:9], s40, v1, v[2:3]
	s_mul_i32 s8, s41, 0x60
	v_add_u32_e32 v15, s8, v15
	global_load_dword v1, v[2:3], off
	global_load_dword v17, v[14:15], off
	;; [unrolled: 1-line block ×3, first 2 shown]
	v_mul_u32_u24_e32 v10, 33, v12
	v_add_lshl_u32 v10, v10, v0, 2
	s_waitcnt vmcnt(2)
	ds_write_b32 v10, v1
	ds_write_b32 v10, v13 offset:1056
	s_waitcnt vmcnt(1)
	ds_write_b32 v10, v17 offset:3168
	s_waitcnt vmcnt(0)
	ds_write_b32 v10, v20 offset:2112
	s_cbranch_execz .LBB85_10
	s_branch .LBB85_19
.LBB85_9:
.LBB85_10:
	v_lshlrev_b32_e32 v1, 2, v0
	v_sub_co_u32_e32 v10, vcc, v2, v1
	s_ashr_i32 s27, s26, 31
	v_subbrev_co_u32_e32 v11, vcc, 0, v3, vcc
	s_lshl_b64 s[10:11], s[26:27], 2
	v_mov_b32_e32 v13, s11
	v_add_co_u32_e32 v10, vcc, s10, v10
	v_addc_co_u32_e32 v11, vcc, v11, v13, vcc
	v_add_co_u32_e32 v10, vcc, -4, v10
	v_addc_co_u32_e32 v11, vcc, -1, v11, vcc
	v_cmp_gt_i32_e32 vcc, s26, v0
	v_mov_b32_e32 v14, 0
	v_cndmask_b32_e32 v11, v11, v3, vcc
	v_cndmask_b32_e32 v10, v10, v2, vcc
	v_cmp_gt_i32_e64 s[8:9], s26, v12
	v_mov_b32_e32 v15, 0
	s_and_saveexec_b64 s[12:13], s[8:9]
	s_cbranch_execz .LBB85_12
; %bb.11:
	global_load_dword v15, v[10:11], off
.LBB85_12:
	s_or_b64 exec, exec, s[12:13]
	v_mul_u32_u24_e32 v13, 33, v12
	v_add_lshl_u32 v13, v13, v0, 2
	s_waitcnt vmcnt(0)
	ds_write_b32 v13, v15
	v_add_u32_e32 v15, 8, v12
	v_cmp_gt_i32_e64 s[8:9], s26, v15
	s_and_saveexec_b64 s[12:13], s[8:9]
	s_cbranch_execz .LBB85_14
; %bb.13:
	s_lshl_b64 s[8:9], s[40:41], 5
	v_mov_b32_e32 v15, s9
	v_add_co_u32_e64 v14, s[8:9], s8, v10
	v_addc_co_u32_e64 v15, s[8:9], v11, v15, s[8:9]
	global_load_dword v14, v[14:15], off
.LBB85_14:
	s_or_b64 exec, exec, s[12:13]
	s_waitcnt vmcnt(0)
	ds_write_b32 v13, v14 offset:1056
	v_add_u32_e32 v14, 16, v12
	v_cmp_gt_i32_e64 s[8:9], s26, v14
	v_mov_b32_e32 v14, 0
	v_mov_b32_e32 v15, 0
	s_and_saveexec_b64 s[12:13], s[8:9]
	s_cbranch_execz .LBB85_16
; %bb.15:
	s_lshl_b64 s[8:9], s[40:41], 6
	v_mov_b32_e32 v15, s9
	v_add_co_u32_e64 v20, s[8:9], s8, v10
	v_addc_co_u32_e64 v21, s[8:9], v11, v15, s[8:9]
	global_load_dword v15, v[20:21], off
.LBB85_16:
	s_or_b64 exec, exec, s[12:13]
	s_waitcnt vmcnt(0)
	ds_write_b32 v13, v15 offset:2112
	v_add_u32_e32 v15, 24, v12
	v_cmp_gt_i32_e64 s[8:9], s26, v15
	s_and_saveexec_b64 s[12:13], s[8:9]
	s_cbranch_execz .LBB85_18
; %bb.17:
	v_mov_b32_e32 v14, 0x60
	v_mad_u64_u32 v[14:15], s[8:9], s40, v14, v[10:11]
	s_mul_i32 s8, s41, 0x60
	v_add_u32_e32 v15, s8, v15
	global_load_dword v14, v[14:15], off
.LBB85_18:
	s_or_b64 exec, exec, s[12:13]
	v_add_co_u32_e64 v1, s[8:9], v10, v1
	v_addc_co_u32_e64 v10, s[8:9], 0, v11, s[8:9]
	v_mov_b32_e32 v11, s11
	v_subrev_co_u32_e64 v1, s[8:9], s10, v1
	v_subb_co_u32_e64 v10, s[8:9], v10, v11, s[8:9]
	v_add_co_u32_e64 v1, s[8:9], 4, v1
	v_addc_co_u32_e64 v10, s[8:9], 0, v10, s[8:9]
	v_cndmask_b32_e32 v3, v10, v3, vcc
	v_cndmask_b32_e32 v2, v1, v2, vcc
	s_waitcnt vmcnt(0)
	ds_write_b32 v13, v14 offset:3168
.LBB85_19:
	v_lshlrev_b32_e32 v14, 2, v12
	v_mul_u32_u24_e32 v20, 33, v0
	v_cmp_lt_u32_e64 s[8:9], v14, v0
	v_add_lshl_u32 v13, v14, v20, 2
	s_waitcnt lgkmcnt(0)
	s_barrier
	s_and_saveexec_b64 s[10:11], s[8:9]
	s_cbranch_execz .LBB85_21
; %bb.20:
	v_mul_u32_u24_e32 v1, 0x84, v12
	v_add_lshl_u32 v1, v1, v0, 2
	ds_read_b32 v1, v1
	s_waitcnt lgkmcnt(0)
	ds_write_b32 v13, v1
.LBB85_21:
	s_or_b64 exec, exec, s[10:11]
	v_or_b32_e32 v1, 1, v14
	v_cmp_lt_u32_e64 s[10:11], v1, v0
	s_and_saveexec_b64 s[12:13], s[10:11]
	s_cbranch_execz .LBB85_23
; %bb.22:
	v_mul_u32_u24_e32 v1, 33, v1
	v_add_lshl_u32 v1, v1, v0, 2
	ds_read_b32 v1, v1
	s_waitcnt lgkmcnt(0)
	ds_write_b32 v13, v1 offset:4
.LBB85_23:
	s_or_b64 exec, exec, s[12:13]
	v_or_b32_e32 v1, 2, v14
	v_cmp_lt_u32_e64 s[12:13], v1, v0
	s_and_saveexec_b64 s[14:15], s[12:13]
	s_cbranch_execz .LBB85_25
; %bb.24:
	v_mul_u32_u24_e32 v1, 33, v1
	v_add_lshl_u32 v1, v1, v0, 2
	ds_read_b32 v1, v1
	s_waitcnt lgkmcnt(0)
	ds_write_b32 v13, v1 offset:8
.LBB85_25:
	s_or_b64 exec, exec, s[14:15]
	v_or_b32_e32 v1, 3, v14
	v_cmp_lt_u32_e64 s[14:15], v1, v0
	v_mad_u32_u24 v1, v1, 33, v0
	v_lshlrev_b32_e32 v15, 2, v1
	s_and_saveexec_b64 s[16:17], s[14:15]
	s_cbranch_execz .LBB85_27
; %bb.26:
	ds_read_b32 v1, v15
	s_waitcnt lgkmcnt(0)
	ds_write_b32 v13, v1 offset:12
.LBB85_27:
	s_or_b64 exec, exec, s[16:17]
	v_mul_u32_u24_e32 v1, 0x84, v12
	v_add_u32_e32 v24, 0xfffffef8, v15
	s_waitcnt lgkmcnt(0)
	s_barrier
	v_add_lshl_u32 v23, v1, v0, 2
	v_lshlrev_b32_e32 v22, 2, v14
	ds_read2_b32 v[10:11], v24 offset1:33
	ds_read_b32 v30, v23
	ds_read_b128 v[26:29], v22 offset:4544
	ds_read_b32 v33, v15
	v_add_lshl_u32 v21, v12, v20, 2
	s_waitcnt lgkmcnt(3)
	v_mov_b32_e32 v31, v10
	v_mov_b32_e32 v32, v11
	s_waitcnt lgkmcnt(1)
	v_pk_mul_f32 v[26:27], v[30:31], v[26:27]
	v_add_f32_e32 v1, 0, v26
	v_add_f32_e32 v1, v1, v27
	s_waitcnt lgkmcnt(0)
	v_pk_mul_f32 v[10:11], v[32:33], v[28:29]
	v_add_f32_e32 v1, v1, v10
	v_add_f32_e32 v1, v1, v11
	v_cmp_gt_u32_e64 s[20:21], 32, v19
	v_mov_b32_e32 v17, 0
	s_barrier
	ds_write_b32 v21, v1
	s_waitcnt lgkmcnt(0)
	s_barrier
	s_and_saveexec_b64 s[16:17], s[20:21]
	s_cbranch_execz .LBB85_29
; %bb.28:
	v_lshlrev_b32_e32 v1, 2, v20
	ds_read2_b32 v[10:11], v1 offset1:1
	ds_read2_b32 v[26:27], v1 offset0:2 offset1:3
	ds_read2_b32 v[28:29], v1 offset0:4 offset1:5
	;; [unrolled: 1-line block ×3, first 2 shown]
	s_waitcnt lgkmcnt(3)
	v_add_f32_e32 v1, v10, v11
	s_waitcnt lgkmcnt(2)
	v_add_f32_e32 v1, v1, v26
	v_add_f32_e32 v1, v1, v27
	s_waitcnt lgkmcnt(1)
	v_add_f32_e32 v1, v1, v28
	v_add_f32_e32 v1, v1, v29
	s_waitcnt lgkmcnt(0)
	v_add_f32_e32 v1, v1, v30
	v_add_f32_e32 v17, v1, v31
.LBB85_29:
	s_or_b64 exec, exec, s[16:17]
	s_lshl_b64 s[22:23], s[40:41], 7
	v_mov_b32_e32 v1, s23
	v_add_co_u32_e32 v10, vcc, s22, v2
	v_addc_co_u32_e32 v11, vcc, v3, v1, vcc
	v_add_co_u32_e32 v2, vcc, 0x80, v10
	v_cndmask_b32_e64 v1, 0, 1, s[38:39]
	s_mov_b64 s[18:19], vcc
	s_lshl_b64 s[36:37], s[40:41], 5
	v_cmp_ne_u32_e64 s[16:17], 1, v1
	s_andn2_b64 vcc, exec, s[38:39]
	v_addc_co_u32_e64 v1, s[18:19], 0, v11, s[18:19]
	s_barrier
	s_cbranch_vccnz .LBB85_31
; %bb.30:
	v_mov_b32_e32 v3, s37
	v_add_co_u32_e32 v26, vcc, s36, v10
	v_addc_co_u32_e32 v27, vcc, v11, v3, vcc
	v_add_co_u32_e32 v28, vcc, s36, v26
	v_addc_co_u32_e32 v29, vcc, v27, v3, vcc
	v_mov_b32_e32 v3, 0x60
	v_mad_u64_u32 v[30:31], s[18:19], s40, v3, v[10:11]
	s_mul_i32 s18, s41, 0x60
	v_add_u32_e32 v31, s18, v31
	global_load_dword v3, v[10:11], off offset:128
	global_load_dword v25, v[26:27], off offset:128
	;; [unrolled: 1-line block ×4, first 2 shown]
	v_mul_u32_u24_e32 v10, 33, v12
	v_add_lshl_u32 v10, v10, v0, 2
	s_waitcnt vmcnt(3)
	ds_write_b32 v10, v3
	s_waitcnt vmcnt(2)
	ds_write_b32 v10, v25 offset:1056
	s_waitcnt vmcnt(1)
	ds_write_b32 v10, v32 offset:2112
	;; [unrolled: 2-line block ×3, first 2 shown]
	s_cbranch_execz .LBB85_32
	s_branch .LBB85_41
.LBB85_31:
.LBB85_32:
	v_lshlrev_b32_e32 v3, 2, v0
	v_sub_co_u32_e32 v11, vcc, v2, v3
	s_ashr_i32 s27, s26, 31
	v_subbrev_co_u32_e32 v25, vcc, 0, v1, vcc
	s_lshl_b64 s[38:39], s[26:27], 2
	v_mov_b32_e32 v27, s39
	v_add_co_u32_e32 v11, vcc, s38, v11
	v_addc_co_u32_e32 v25, vcc, v25, v27, vcc
	v_or_b32_e32 v10, 32, v0
	v_add_co_u32_e32 v27, vcc, 0xffffff7c, v11
	v_addc_co_u32_e32 v11, vcc, -1, v25, vcc
	v_cmp_gt_i32_e64 s[18:19], s26, v10
	s_sub_i32 s27, s26, 32
	v_mov_b32_e32 v26, 0
	v_cndmask_b32_e64 v11, v11, v1, s[18:19]
	v_cndmask_b32_e64 v10, v27, v2, s[18:19]
	v_cmp_gt_i32_e32 vcc, s27, v12
	v_mov_b32_e32 v27, 0
	s_and_saveexec_b64 s[42:43], vcc
	s_cbranch_execz .LBB85_34
; %bb.33:
	global_load_dword v27, v[10:11], off
.LBB85_34:
	s_or_b64 exec, exec, s[42:43]
	v_mul_u32_u24_e32 v25, 33, v12
	v_add_lshl_u32 v25, v25, v0, 2
	s_waitcnt vmcnt(0)
	ds_write_b32 v25, v27
	v_add_u32_e32 v27, 8, v12
	v_cmp_gt_i32_e32 vcc, s27, v27
	s_and_saveexec_b64 s[42:43], vcc
	s_cbranch_execz .LBB85_36
; %bb.35:
	v_mov_b32_e32 v27, s37
	v_add_co_u32_e32 v26, vcc, s36, v10
	v_addc_co_u32_e32 v27, vcc, v11, v27, vcc
	global_load_dword v26, v[26:27], off
.LBB85_36:
	s_or_b64 exec, exec, s[42:43]
	s_waitcnt vmcnt(0)
	ds_write_b32 v25, v26 offset:1056
	v_add_u32_e32 v26, 16, v12
	v_cmp_gt_i32_e32 vcc, s27, v26
	v_mov_b32_e32 v26, 0
	v_mov_b32_e32 v27, 0
	s_and_saveexec_b64 s[42:43], vcc
	s_cbranch_execz .LBB85_38
; %bb.37:
	s_lshl_b64 s[44:45], s[40:41], 6
	v_mov_b32_e32 v27, s45
	v_add_co_u32_e32 v28, vcc, s44, v10
	v_addc_co_u32_e32 v29, vcc, v11, v27, vcc
	global_load_dword v27, v[28:29], off
.LBB85_38:
	s_or_b64 exec, exec, s[42:43]
	s_waitcnt vmcnt(0)
	ds_write_b32 v25, v27 offset:2112
	v_add_u32_e32 v27, 24, v12
	v_cmp_gt_i32_e32 vcc, s27, v27
	s_and_saveexec_b64 s[42:43], vcc
	s_cbranch_execz .LBB85_40
; %bb.39:
	v_mov_b32_e32 v26, 0x60
	v_mad_u64_u32 v[26:27], s[44:45], s40, v26, v[10:11]
	s_mul_i32 s27, s41, 0x60
	v_add_u32_e32 v27, s27, v27
	global_load_dword v26, v[26:27], off
.LBB85_40:
	s_or_b64 exec, exec, s[42:43]
	v_add_co_u32_e32 v3, vcc, v10, v3
	v_addc_co_u32_e32 v10, vcc, 0, v11, vcc
	v_mov_b32_e32 v11, s39
	v_subrev_co_u32_e32 v3, vcc, s38, v3
	v_subb_co_u32_e32 v10, vcc, v10, v11, vcc
	v_add_co_u32_e32 v3, vcc, 0x84, v3
	v_addc_co_u32_e32 v10, vcc, 0, v10, vcc
	v_cndmask_b32_e64 v1, v10, v1, s[18:19]
	v_cndmask_b32_e64 v2, v3, v2, s[18:19]
	s_waitcnt vmcnt(0)
	ds_write_b32 v25, v26 offset:3168
.LBB85_41:
	v_add_u32_e32 v22, 0x11c0, v22
	s_waitcnt lgkmcnt(0)
	s_barrier
	s_and_saveexec_b64 s[18:19], s[8:9]
	s_cbranch_execnz .LBB85_50
; %bb.42:
	s_or_b64 exec, exec, s[18:19]
	s_and_saveexec_b64 s[8:9], s[10:11]
	s_cbranch_execnz .LBB85_51
.LBB85_43:
	s_or_b64 exec, exec, s[8:9]
	s_and_saveexec_b64 s[8:9], s[12:13]
	s_cbranch_execnz .LBB85_52
.LBB85_44:
	s_or_b64 exec, exec, s[8:9]
	s_and_saveexec_b64 s[8:9], s[14:15]
	s_cbranch_execz .LBB85_46
.LBB85_45:
	ds_read_b32 v3, v15
	s_waitcnt lgkmcnt(0)
	ds_write_b32 v13, v3 offset:12
.LBB85_46:
	s_or_b64 exec, exec, s[8:9]
	s_waitcnt lgkmcnt(0)
	s_barrier
	ds_read_b32 v3, v23
	ds_read_b128 v[26:29], v22 offset:128
	ds_read2_b32 v[10:11], v24 offset1:33
	ds_read_b32 v15, v15
	v_cmp_eq_u32_e64 s[8:9], 1, v12
	s_waitcnt lgkmcnt(0)
	v_fma_f32 v3, v3, v26, 0
	v_fmac_f32_e32 v3, v10, v27
	v_fmac_f32_e32 v3, v11, v28
	;; [unrolled: 1-line block ×3, first 2 shown]
	s_barrier
	ds_write_b32 v21, v3
	s_waitcnt lgkmcnt(0)
	s_barrier
	s_and_saveexec_b64 s[10:11], s[8:9]
	s_cbranch_execz .LBB85_48
; %bb.47:
	v_lshlrev_b32_e32 v3, 2, v20
	ds_read2_b32 v[10:11], v3 offset1:1
	ds_read2_b32 v[24:25], v3 offset0:2 offset1:3
	ds_read2_b32 v[26:27], v3 offset0:4 offset1:5
	ds_read2_b32 v[28:29], v3 offset0:6 offset1:7
	s_waitcnt lgkmcnt(3)
	v_add_f32_e32 v3, v10, v11
	s_waitcnt lgkmcnt(2)
	v_add_f32_e32 v3, v3, v24
	v_add_f32_e32 v3, v3, v25
	s_waitcnt lgkmcnt(1)
	v_add_f32_e32 v3, v3, v26
	;; [unrolled: 3-line block ×3, first 2 shown]
	v_add_f32_e32 v17, v3, v29
.LBB85_48:
	s_or_b64 exec, exec, s[10:11]
	s_lshl_b64 s[10:11], s[36:37], 2
	v_mov_b32_e32 v3, s11
	v_subrev_co_u32_e64 v10, s[10:11], s10, v2
	s_and_b64 vcc, exec, s[16:17]
	v_subb_co_u32_e64 v11, s[10:11], v1, v3, s[10:11]
	s_barrier
	s_cbranch_vccnz .LBB85_53
; %bb.49:
	v_mov_b32_e32 v1, s37
	v_add_co_u32_e32 v2, vcc, s36, v10
	v_addc_co_u32_e32 v3, vcc, v11, v1, vcc
	v_add_co_u32_e32 v24, vcc, s36, v2
	v_addc_co_u32_e32 v25, vcc, v3, v1, vcc
	v_mov_b32_e32 v1, 0x60
	v_mad_u64_u32 v[26:27], s[10:11], s40, v1, v[10:11]
	s_mul_i32 s10, s41, 0x60
	v_add_u32_e32 v27, s10, v27
	global_load_dword v29, v[10:11], off
	global_load_dword v30, v[2:3], off
	;; [unrolled: 1-line block ×4, first 2 shown]
	v_mad_u32_u24 v15, v12, 33, v0
	v_add_u32_e32 v1, 8, v12
	v_add_u32_e32 v23, 16, v12
	v_add_u32_e32 v24, 24, v12
	v_lshlrev_b32_e32 v2, 2, v15
	v_add_u32_e32 v28, 0x108, v15
	v_add_u32_e32 v26, 0x210, v15
	;; [unrolled: 1-line block ×3, first 2 shown]
	s_waitcnt vmcnt(3)
	ds_write_b32 v2, v29
	s_waitcnt vmcnt(2)
	ds_write_b32 v2, v30 offset:1056
	s_waitcnt vmcnt(1)
	ds_write_b32 v2, v31 offset:2112
	;; [unrolled: 2-line block ×3, first 2 shown]
	s_cbranch_execz .LBB85_54
	s_branch .LBB85_63
.LBB85_50:
	ds_read_b32 v3, v23
	s_waitcnt lgkmcnt(0)
	ds_write_b32 v13, v3
	s_or_b64 exec, exec, s[18:19]
	s_and_saveexec_b64 s[8:9], s[10:11]
	s_cbranch_execz .LBB85_43
.LBB85_51:
	ds_read_b32 v3, v24
	s_waitcnt lgkmcnt(0)
	ds_write_b32 v13, v3 offset:4
	s_or_b64 exec, exec, s[8:9]
	s_and_saveexec_b64 s[8:9], s[12:13]
	s_cbranch_execz .LBB85_44
.LBB85_52:
	ds_read_b32 v3, v24 offset:132
	s_waitcnt lgkmcnt(0)
	ds_write_b32 v13, v3 offset:8
	s_or_b64 exec, exec, s[8:9]
	s_and_saveexec_b64 s[8:9], s[14:15]
	s_cbranch_execnz .LBB85_45
	s_branch .LBB85_46
.LBB85_53:
                                        ; implicit-def: $vgpr15
                                        ; implicit-def: $vgpr1
                                        ; implicit-def: $vgpr28
                                        ; implicit-def: $vgpr23
                                        ; implicit-def: $vgpr26
                                        ; implicit-def: $vgpr24
                                        ; implicit-def: $vgpr27
.LBB85_54:
	v_lshlrev_b32_e32 v25, 2, v0
	v_sub_co_u32_e32 v2, vcc, v10, v25
	s_ashr_i32 s27, s26, 31
	v_subbrev_co_u32_e32 v3, vcc, 0, v11, vcc
	s_lshl_b64 s[12:13], s[26:27], 2
	v_mov_b32_e32 v15, s13
	v_add_co_u32_e32 v2, vcc, s12, v2
	v_addc_co_u32_e32 v3, vcc, v3, v15, vcc
	v_or_b32_e32 v1, 32, v0
	v_add_co_u32_e32 v2, vcc, 0xffffff7c, v2
	v_addc_co_u32_e32 v3, vcc, -1, v3, vcc
	v_cmp_gt_i32_e64 s[10:11], s26, v1
	v_mov_b32_e32 v23, 0
	v_cndmask_b32_e64 v3, v3, v11, s[10:11]
	v_cndmask_b32_e64 v2, v2, v10, s[10:11]
	v_cmp_gt_i32_e32 vcc, s26, v12
	v_mov_b32_e32 v1, 0
	s_and_saveexec_b64 s[14:15], vcc
	s_cbranch_execz .LBB85_56
; %bb.55:
	global_load_dword v1, v[2:3], off
.LBB85_56:
	s_or_b64 exec, exec, s[14:15]
	v_mad_u32_u24 v15, v12, 33, v0
	v_lshlrev_b32_e32 v0, 2, v15
	s_waitcnt vmcnt(0)
	ds_write_b32 v0, v1
	v_add_u32_e32 v1, 8, v12
	v_cmp_gt_i32_e32 vcc, s26, v1
	s_and_saveexec_b64 s[14:15], vcc
	s_cbranch_execz .LBB85_58
; %bb.57:
	v_mov_b32_e32 v23, s37
	v_add_co_u32_e32 v26, vcc, s36, v2
	v_addc_co_u32_e32 v27, vcc, v3, v23, vcc
	global_load_dword v23, v[26:27], off
.LBB85_58:
	s_or_b64 exec, exec, s[14:15]
	s_waitcnt vmcnt(0)
	ds_write_b32 v0, v23 offset:1056
	v_add_u32_e32 v23, 16, v12
	v_cmp_gt_i32_e32 vcc, s26, v23
	v_mov_b32_e32 v29, 0
	v_mov_b32_e32 v24, 0
	s_and_saveexec_b64 s[14:15], vcc
	s_cbranch_execz .LBB85_60
; %bb.59:
	s_lshl_b64 s[16:17], s[40:41], 6
	v_mov_b32_e32 v24, s17
	v_add_co_u32_e32 v26, vcc, s16, v2
	v_addc_co_u32_e32 v27, vcc, v3, v24, vcc
	global_load_dword v24, v[26:27], off
.LBB85_60:
	s_or_b64 exec, exec, s[14:15]
	s_waitcnt vmcnt(0)
	ds_write_b32 v0, v24 offset:2112
	v_add_u32_e32 v24, 24, v12
	v_cmp_gt_i32_e32 vcc, s26, v24
	s_and_saveexec_b64 s[14:15], vcc
	s_cbranch_execz .LBB85_62
; %bb.61:
	v_mov_b32_e32 v12, 0x60
	v_mad_u64_u32 v[26:27], s[16:17], s40, v12, v[2:3]
	s_mul_i32 s16, s41, 0x60
	v_add_u32_e32 v27, s16, v27
	global_load_dword v29, v[26:27], off
.LBB85_62:
	s_or_b64 exec, exec, s[14:15]
	s_waitcnt vmcnt(0)
	ds_write_b32 v0, v29 offset:3168
	v_add_co_u32_e32 v0, vcc, v2, v25
	v_addc_co_u32_e32 v2, vcc, 0, v3, vcc
	v_mov_b32_e32 v3, s13
	v_subrev_co_u32_e32 v0, vcc, s12, v0
	v_subb_co_u32_e32 v2, vcc, v2, v3, vcc
	v_add_co_u32_e32 v0, vcc, 0x84, v0
	v_addc_co_u32_e32 v2, vcc, 0, v2, vcc
	v_add_u32_e32 v28, 0x108, v15
	v_add_u32_e32 v26, 0x210, v15
	;; [unrolled: 1-line block ×3, first 2 shown]
	v_cndmask_b32_e64 v11, v2, v11, s[10:11]
	v_cndmask_b32_e64 v10, v0, v10, s[10:11]
.LBB85_63:
	s_waitcnt lgkmcnt(0)
	s_barrier
	v_lshlrev_b32_e32 v0, 2, v15
	ds_read_b32 v25, v14 offset:4544
	v_lshlrev_b32_e32 v2, 2, v28
	ds_read_b32 v28, v0
	ds_read_b32 v29, v2
	v_lshlrev_b32_e32 v0, 2, v1
	v_lshlrev_b32_e32 v1, 2, v26
	;; [unrolled: 1-line block ×5, first 2 shown]
	ds_read_b32 v23, v0 offset:4544
	ds_read_b32 v24, v1
	ds_read_b32 v26, v2 offset:4544
	ds_read_b32 v27, v3
	ds_read_b32 v30, v12 offset:4544
	ds_read2_b32 v[14:15], v13 offset1:1
	ds_read_b128 v[0:3], v22 offset:128
	ds_read2_b32 v[12:13], v13 offset0:2 offset1:3
	s_waitcnt lgkmcnt(9)
	v_fma_f32 v22, v28, v25, 0
	s_waitcnt lgkmcnt(7)
	v_fmac_f32_e32 v22, v29, v23
	s_waitcnt lgkmcnt(5)
	v_fmac_f32_e32 v22, v24, v26
	s_waitcnt lgkmcnt(3)
	v_fmac_f32_e32 v22, v27, v30
	s_waitcnt lgkmcnt(0)
	s_barrier
	ds_write_b32 v21, v22
	s_waitcnt lgkmcnt(0)
	s_barrier
	s_and_saveexec_b64 s[10:11], s[8:9]
	s_cbranch_execz .LBB85_65
; %bb.64:
	v_lshlrev_b32_e32 v28, 2, v20
	ds_read2_b32 v[22:23], v28 offset1:1
	ds_read2_b32 v[24:25], v28 offset0:2 offset1:3
	ds_read2_b32 v[26:27], v28 offset0:4 offset1:5
	;; [unrolled: 1-line block ×3, first 2 shown]
	s_waitcnt lgkmcnt(3)
	v_add_f32_e32 v17, v17, v22
	v_add_f32_e32 v17, v17, v23
	s_waitcnt lgkmcnt(2)
	v_add_f32_e32 v17, v17, v24
	v_add_f32_e32 v17, v17, v25
	;; [unrolled: 3-line block ×4, first 2 shown]
.LBB85_65:
	s_or_b64 exec, exec, s[10:11]
	v_fma_f32 v0, v14, v0, 0
	v_fmac_f32_e32 v0, v15, v1
	v_fmac_f32_e32 v0, v12, v2
	v_fmac_f32_e32 v0, v13, v3
	s_barrier
	ds_write_b32 v21, v0
	s_waitcnt lgkmcnt(0)
	s_barrier
	s_and_saveexec_b64 s[8:9], s[20:21]
	s_cbranch_execz .LBB85_67
; %bb.66:
	v_lshlrev_b32_e32 v14, 2, v20
	ds_read2_b32 v[0:1], v14 offset1:1
	ds_read2_b32 v[2:3], v14 offset0:2 offset1:3
	ds_read2_b32 v[12:13], v14 offset0:4 offset1:5
	ds_read2_b32 v[14:15], v14 offset0:6 offset1:7
	s_waitcnt lgkmcnt(3)
	v_add_f32_e32 v0, v17, v0
	v_add_f32_e32 v0, v0, v1
	s_waitcnt lgkmcnt(2)
	v_add_f32_e32 v0, v0, v2
	v_add_f32_e32 v0, v0, v3
	;; [unrolled: 3-line block ×4, first 2 shown]
.LBB85_67:
	s_or_b64 exec, exec, s[8:9]
	s_load_dwordx2 s[4:5], s[4:5], 0x60
	s_mul_hi_u32 s8, s24, s7
	s_mul_i32 s33, s33, s7
	s_add_i32 s8, s8, s33
	s_mul_i32 s7, s24, s7
	s_mul_i32 s8, s8, s25
	s_mul_hi_u32 s9, s7, s25
	s_add_i32 s9, s9, s8
	s_mul_i32 s8, s7, s25
	s_lshl_b64 s[8:9], s[8:9], 2
	s_waitcnt lgkmcnt(0)
	s_add_u32 s7, s4, s8
	s_mul_i32 s4, s6, s24
	s_addc_u32 s8, s5, s9
	s_ashr_i32 s5, s4, 31
	s_lshl_b64 s[4:5], s[4:5], 2
	s_add_u32 s7, s7, s4
	v_cmp_le_i32_e32 vcc, s26, v18
	s_addc_u32 s20, s8, s5
	s_and_b64 vcc, s[34:35], vcc
	s_cmp_lt_i32 s6, 1
	v_lshlrev_b32_e32 v12, 2, v18
	s_barrier
	s_cbranch_scc1 .LBB85_74
; %bb.68:
	s_mul_i32 s4, s28, s49
	s_mul_hi_u32 s5, s28, s48
	s_add_i32 s4, s5, s4
	s_mul_i32 s5, s29, s48
	s_add_i32 s5, s4, s5
	s_mul_i32 s4, s28, s48
	s_lshl_b64 s[4:5], s[4:5], 2
	v_mov_b32_e32 v0, s5
	v_subrev_co_u32_e64 v6, s[4:5], s4, v6
	v_subb_co_u32_e64 v7, s[4:5], v7, v0, s[4:5]
	v_mov_b32_e32 v0, s31
	v_subrev_co_u32_e64 v1, s[4:5], s30, v10
	v_subb_co_u32_e64 v0, s[4:5], v11, v0, s[4:5]
	v_lshlrev_b32_e32 v3, 2, v16
	v_sub_co_u32_e64 v8, s[4:5], v1, v8
	v_subb_co_u32_e64 v9, s[4:5], v0, v9, s[4:5]
	v_mad_u64_u32 v[0:1], s[4:5], v3, s40, 0
	v_mov_b32_e32 v2, v1
	v_mad_u64_u32 v[2:3], s[4:5], v3, s41, v[2:3]
	v_mov_b32_e32 v1, v2
	v_lshlrev_b64 v[0:1], 2, v[0:1]
	v_add_co_u32_e64 v0, s[4:5], v8, v0
	v_addc_co_u32_e64 v2, s[4:5], v9, v1, s[4:5]
	s_ashr_i32 s27, s26, 31
	s_lshl_b64 s[4:5], s[26:27], 2
	v_mov_b32_e32 v1, s5
	v_add_co_u32_e64 v3, s[4:5], s4, v0
	v_addc_co_u32_e64 v1, s[4:5], v2, v1, s[4:5]
	s_movk_i32 s4, 0xff7c
	v_add_co_u32_e64 v8, s[4:5], s4, v3
	v_addc_co_u32_e64 v3, s[4:5], -1, v1, s[4:5]
	v_add_co_u32_e64 v0, s[4:5], v0, v12
	v_addc_co_u32_e64 v2, s[4:5], 0, v2, s[4:5]
	s_movk_i32 s4, 0xff80
	v_add_co_u32_e64 v0, s[4:5], s4, v0
	v_addc_co_u32_e64 v2, s[4:5], -1, v2, s[4:5]
	v_cndmask_b32_e32 v3, v2, v3, vcc
	v_cndmask_b32_e32 v2, v0, v8, vcc
	v_lshrrev_b32_e32 v0, 2, v19
	v_and_b32_e32 v21, 48, v18
	v_and_b32_e32 v20, 15, v18
	;; [unrolled: 1-line block ×3, first 2 shown]
	v_lshlrev_b32_e32 v10, 2, v21
	s_movk_i32 s8, 0x10c
	v_or_b32_e32 v11, 60, v12
	v_and_b32_e32 v13, 0x1fff0, v19
	s_movk_i32 s9, 0x430
	v_mad_u32_u24 v10, v20, s8, v10
	v_mad_u32_u24 v11, v20, s8, v11
	;; [unrolled: 1-line block ×5, first 2 shown]
	s_mul_i32 s8, s41, 12
	s_mul_hi_u32 s9, s40, 12
	s_add_i32 s8, s9, s8
	s_mul_i32 s9, s41, 0x48
	s_mul_hi_u32 s16, s40, 0x48
	s_add_i32 s9, s16, s9
	;; [unrolled: 3-line block ×10, first 2 shown]
	s_mul_i32 s16, s41, 0x44
	s_mul_hi_u32 s17, s40, 0x44
	v_mov_b32_e32 v14, 0x10c0
	s_lshl_b64 s[10:11], s[40:41], 2
	s_lshl_b64 s[14:15], s[40:41], 3
	s_add_i32 s44, s17, s16
	s_lshl_b64 s[16:17], s[40:41], 6
	v_mov_b32_e32 v1, 0
	v_add_u32_e32 v8, 0x10c0, v12
	v_add_u32_e32 v9, 0x11c0, v12
	v_cmp_gt_u32_e64 s[4:5], 64, v19
	v_lshl_add_u32 v14, v16, 4, v14
	s_lshl_b64 s[12:13], s[40:41], 8
	s_mul_i32 s21, s40, 12
	s_mul_i32 s24, s40, 0x48
	;; [unrolled: 1-line block ×11, first 2 shown]
	v_or_b32_e32 v19, v21, v20
	s_mov_b32 s35, 0
	v_mov_b32_e32 v20, s11
	v_mov_b32_e32 v21, s15
	;; [unrolled: 1-line block ×15, first 2 shown]
	s_branch .LBB85_70
.LBB85_69:                              ;   in Loop: Header=BB85_70 Depth=1
	s_or_b64 exec, exec, s[18:19]
	v_fmac_f32_e32 v17, v35, v39
	v_fmac_f32_e32 v17, v36, v40
	;; [unrolled: 1-line block ×15, first 2 shown]
	v_mov_b32_e32 v0, s13
	s_add_i32 s35, s35, 64
	s_add_i32 s6, s6, -1
	v_add_co_u32_e64 v2, s[8:9], s12, v2
	v_fmac_f32_e32 v17, v61, v66
	s_cmp_eq_u32 s6, 0
	v_addc_co_u32_e64 v3, s[8:9], v3, v0, s[8:9]
	s_barrier
	s_cbranch_scc1 .LBB85_74
.LBB85_70:                              ; =>This Inner Loop Header: Depth=1
	s_and_saveexec_b64 s[18:19], s[2:3]
	s_cbranch_execz .LBB85_72
; %bb.71:                               ;   in Loop: Header=BB85_70 Depth=1
	s_mul_i32 s8, s35, s49
	s_mul_hi_u32 s9, s35, s48
	s_add_i32 s9, s9, s8
	s_mul_i32 s8, s35, s48
	s_lshl_b64 s[8:9], s[8:9], 2
	v_mov_b32_e32 v0, s9
	v_add_co_u32_e64 v36, s[8:9], s8, v6
	v_addc_co_u32_e64 v37, s[8:9], v7, v0, s[8:9]
	global_load_dword v0, v[36:37], off
	s_waitcnt vmcnt(0)
	ds_write_b32 v8, v0
.LBB85_72:                              ;   in Loop: Header=BB85_70 Depth=1
	s_or_b64 exec, exec, s[18:19]
	v_add_co_u32_e64 v38, s[8:9], s10, v2
	v_addc_co_u32_e64 v39, s[8:9], v3, v20, s[8:9]
	v_add_co_u32_e64 v40, s[8:9], s14, v2
	s_waitcnt lgkmcnt(0)
	s_barrier
	global_load_dword v35, v[2:3], off
	v_addc_co_u32_e64 v41, s[8:9], v3, v21, s[8:9]
	global_load_dword v36, v[38:39], off
	global_load_dword v37, v[40:41], off
	v_add_co_u32_e64 v38, s[8:9], s21, v2
	v_addc_co_u32_e64 v39, s[8:9], v3, v22, s[8:9]
	global_load_dword v38, v[38:39], off
	ds_read_b32 v0, v9
	ds_read_b32 v39, v14
	v_add_co_u32_e64 v48, s[8:9], s16, v2
	v_addc_co_u32_e64 v49, s[8:9], v3, v23, s[8:9]
	v_add_co_u32_e64 v50, s[8:9], s34, v2
	v_addc_co_u32_e64 v51, s[8:9], v3, v24, s[8:9]
	;; [unrolled: 2-line block ×12, first 2 shown]
	s_waitcnt vmcnt(3) lgkmcnt(1)
	v_mul_f32_e32 v40, v35, v0
	ds_write_b32 v15, v40
	s_waitcnt vmcnt(2)
	v_mul_f32_e32 v41, v36, v0
	s_waitcnt vmcnt(1)
	v_mul_f32_e32 v42, v37, v0
	ds_read_b32 v40, v14 offset:4
	ds_write_b32 v15, v41 offset:268
	ds_read_b32 v41, v14 offset:8
	ds_write_b32 v15, v42 offset:536
	s_waitcnt vmcnt(0)
	v_mul_f32_e32 v0, v38, v0
	ds_read_b32 v42, v14 offset:12
	ds_write_b32 v15, v0 offset:804
	s_waitcnt lgkmcnt(0)
	s_barrier
	ds_read2_b32 v[64:65], v13 offset1:1
	ds_read2_b32 v[66:67], v13 offset0:2 offset1:3
	s_waitcnt lgkmcnt(0)
	s_barrier
	global_load_dword v46, v[48:49], off
	global_load_dword v44, v[50:51], off
	;; [unrolled: 1-line block ×4, first 2 shown]
	ds_read_b32 v0, v9
	ds_read_b32 v47, v14 offset:64
	s_waitcnt vmcnt(3) lgkmcnt(1)
	v_mul_f32_e32 v48, v46, v0
	s_waitcnt vmcnt(2)
	v_mul_f32_e32 v49, v44, v0
	ds_write_b32 v15, v48
	s_waitcnt vmcnt(1)
	v_mul_f32_e32 v50, v43, v0
	ds_read_b32 v48, v14 offset:68
	ds_write_b32 v15, v49 offset:268
	s_waitcnt vmcnt(0)
	v_mul_f32_e32 v0, v45, v0
	ds_read_b32 v49, v14 offset:72
	ds_write_b32 v15, v50 offset:536
	ds_read_b32 v50, v14 offset:76
	ds_write_b32 v15, v0 offset:804
	s_waitcnt lgkmcnt(0)
	s_barrier
	ds_read2_b32 v[68:69], v13 offset1:1
	ds_read2_b32 v[70:71], v13 offset0:2 offset1:3
	s_waitcnt lgkmcnt(0)
	s_barrier
	global_load_dword v54, v[56:57], off
	global_load_dword v52, v[58:59], off
	;; [unrolled: 1-line block ×4, first 2 shown]
	ds_read_b32 v0, v9
	ds_read_b32 v55, v14 offset:128
	v_add_f32_e32 v63, 0, v68
	v_add_f32_e32 v63, v63, v69
	;; [unrolled: 1-line block ×3, first 2 shown]
	s_waitcnt vmcnt(3) lgkmcnt(1)
	v_mul_f32_e32 v56, v54, v0
	s_waitcnt vmcnt(2)
	v_mul_f32_e32 v57, v52, v0
	ds_write_b32 v15, v56
	s_waitcnt vmcnt(1)
	v_mul_f32_e32 v58, v51, v0
	ds_read_b32 v56, v14 offset:132
	ds_write_b32 v15, v57 offset:268
	s_waitcnt vmcnt(0)
	v_mul_f32_e32 v0, v53, v0
	ds_read_b32 v57, v14 offset:136
	ds_write_b32 v15, v58 offset:536
	ds_read_b32 v58, v14 offset:140
	ds_write_b32 v15, v0 offset:804
	s_waitcnt lgkmcnt(0)
	s_barrier
	ds_read2_b32 v[80:81], v13 offset1:1
	ds_read2_b32 v[82:83], v13 offset0:2 offset1:3
	s_waitcnt lgkmcnt(0)
	s_barrier
	global_load_dword v62, v[72:73], off
	global_load_dword v60, v[74:75], off
	;; [unrolled: 1-line block ×4, first 2 shown]
	v_add_f32_e32 v0, 0, v64
	v_add_f32_e32 v0, v0, v65
	;; [unrolled: 1-line block ×5, first 2 shown]
	ds_read_b32 v64, v9
	ds_read_b32 v63, v14 offset:192
	v_add_f32_e32 v65, 0, v80
	v_add_f32_e32 v65, v65, v81
	;; [unrolled: 1-line block ×4, first 2 shown]
	s_waitcnt vmcnt(3) lgkmcnt(1)
	v_mul_f32_e32 v65, v62, v64
	s_waitcnt vmcnt(2)
	v_mul_f32_e32 v66, v60, v64
	ds_write_b32 v15, v65
	s_waitcnt vmcnt(1)
	v_mul_f32_e32 v68, v59, v64
	s_waitcnt vmcnt(0)
	v_mul_f32_e32 v69, v61, v64
	ds_read_b32 v64, v14 offset:196
	ds_write_b32 v15, v66 offset:268
	ds_read_b32 v65, v14 offset:200
	ds_write_b32 v15, v68 offset:536
	;; [unrolled: 2-line block ×3, first 2 shown]
	s_waitcnt lgkmcnt(0)
	s_barrier
	ds_read2_b32 v[68:69], v13 offset1:1
	ds_read2_b32 v[70:71], v13 offset0:2 offset1:3
	s_waitcnt lgkmcnt(0)
	s_barrier
	ds_write2_b32 v18, v0, v67 offset1:16
	v_add_f32_e32 v0, 0, v68
	v_add_f32_e32 v0, v0, v69
	;; [unrolled: 1-line block ×4, first 2 shown]
	ds_write2_b32 v18, v72, v0 offset0:32 offset1:48
	s_waitcnt lgkmcnt(0)
	s_barrier
	s_and_saveexec_b64 s[18:19], s[4:5]
	s_cbranch_execz .LBB85_69
; %bb.73:                               ;   in Loop: Header=BB85_70 Depth=1
	ds_read2_b32 v[68:69], v10 offset1:1
	ds_read2_b32 v[70:71], v10 offset0:2 offset1:3
	ds_read2_b32 v[72:73], v10 offset0:4 offset1:5
	;; [unrolled: 1-line block ×3, first 2 shown]
	s_waitcnt lgkmcnt(3)
	v_add_f32_e32 v0, v68, v69
	s_waitcnt lgkmcnt(2)
	v_add_f32_e32 v0, v0, v70
	v_add_f32_e32 v0, v0, v71
	ds_read2_b32 v[68:69], v10 offset0:8 offset1:9
	s_waitcnt lgkmcnt(2)
	v_add_f32_e32 v0, v0, v72
	v_add_f32_e32 v0, v0, v73
	s_waitcnt lgkmcnt(1)
	v_add_f32_e32 v0, v0, v74
	v_add_f32_e32 v0, v0, v75
	ds_read2_b32 v[70:71], v10 offset0:10 offset1:11
	ds_read2_b32 v[72:73], v10 offset0:12 offset1:13
	ds_read_b32 v67, v10 offset:56
	s_waitcnt lgkmcnt(3)
	v_add_f32_e32 v0, v0, v68
	v_add_f32_e32 v0, v0, v69
	s_waitcnt lgkmcnt(2)
	v_add_f32_e32 v0, v0, v70
	ds_read_b32 v68, v11
	v_add_f32_e32 v0, v0, v71
	s_waitcnt lgkmcnt(2)
	v_add_f32_e32 v0, v0, v72
	v_add_f32_e32 v0, v0, v73
	s_waitcnt lgkmcnt(1)
	v_add_f32_e32 v0, v0, v67
	s_waitcnt lgkmcnt(0)
	v_add_f32_e32 v67, v0, v68
	v_add_u32_e32 v0, s35, v19
	v_lshlrev_b64 v[68:69], 2, v[0:1]
	v_mov_b32_e32 v0, s20
	v_add_co_u32_e64 v68, s[8:9], s7, v68
	v_addc_co_u32_e64 v69, s[8:9], v0, v69, s[8:9]
	global_store_dword v[68:69], v67, off
	s_branch .LBB85_69
.LBB85_74:
	s_movk_i32 s2, 0x10c
	s_or_b64 s[0:1], s[0:1], vcc
	v_mad_u32_u24 v0, v16, s2, v12
	s_xor_b64 s[0:1], s[0:1], -1
	ds_write_b32 v0, v17
	s_waitcnt lgkmcnt(0)
	s_barrier
	s_and_saveexec_b64 s[2:3], s[0:1]
	s_cbranch_execz .LBB85_76
; %bb.75:
	ds_read2_b32 v[0:1], v12 offset1:67
	ds_read2_b32 v[2:3], v12 offset0:134 offset1:201
	v_lshlrev_b64 v[4:5], 2, v[4:5]
	v_mov_b32_e32 v6, s20
	s_waitcnt lgkmcnt(1)
	v_add_f32_e32 v0, v0, v1
	s_waitcnt lgkmcnt(0)
	v_add_f32_e32 v0, v0, v2
	v_add_f32_e32 v2, v0, v3
	v_add_co_u32_e32 v0, vcc, s7, v4
	v_addc_co_u32_e32 v1, vcc, v6, v5, vcc
	global_store_dword v[0:1], v2, off
.LBB85_76:
	s_endpgm
	.section	.rodata,"a",@progbits
	.p2align	6, 0x0
	.amdhsa_kernel _ZL26rocblas_hemvn_kernel_lowerILb0ELi64ELi4ELi33ELi32ELi16ElfPKfPfEviT6_lT7_lT5_lS4_lS5_lS3_lT8_i
		.amdhsa_group_segment_fixed_size 4800
		.amdhsa_private_segment_fixed_size 0
		.amdhsa_kernarg_size 368
		.amdhsa_user_sgpr_count 6
		.amdhsa_user_sgpr_private_segment_buffer 1
		.amdhsa_user_sgpr_dispatch_ptr 0
		.amdhsa_user_sgpr_queue_ptr 0
		.amdhsa_user_sgpr_kernarg_segment_ptr 1
		.amdhsa_user_sgpr_dispatch_id 0
		.amdhsa_user_sgpr_flat_scratch_init 0
		.amdhsa_user_sgpr_kernarg_preload_length 0
		.amdhsa_user_sgpr_kernarg_preload_offset 0
		.amdhsa_user_sgpr_private_segment_size 0
		.amdhsa_uses_dynamic_stack 0
		.amdhsa_system_sgpr_private_segment_wavefront_offset 0
		.amdhsa_system_sgpr_workgroup_id_x 1
		.amdhsa_system_sgpr_workgroup_id_y 0
		.amdhsa_system_sgpr_workgroup_id_z 1
		.amdhsa_system_sgpr_workgroup_info 0
		.amdhsa_system_vgpr_workitem_id 1
		.amdhsa_next_free_vgpr 84
		.amdhsa_next_free_sgpr 52
		.amdhsa_accum_offset 84
		.amdhsa_reserve_vcc 1
		.amdhsa_reserve_flat_scratch 0
		.amdhsa_float_round_mode_32 0
		.amdhsa_float_round_mode_16_64 0
		.amdhsa_float_denorm_mode_32 3
		.amdhsa_float_denorm_mode_16_64 3
		.amdhsa_dx10_clamp 1
		.amdhsa_ieee_mode 1
		.amdhsa_fp16_overflow 0
		.amdhsa_tg_split 0
		.amdhsa_exception_fp_ieee_invalid_op 0
		.amdhsa_exception_fp_denorm_src 0
		.amdhsa_exception_fp_ieee_div_zero 0
		.amdhsa_exception_fp_ieee_overflow 0
		.amdhsa_exception_fp_ieee_underflow 0
		.amdhsa_exception_fp_ieee_inexact 0
		.amdhsa_exception_int_div_zero 0
	.end_amdhsa_kernel
	.section	.text._ZL26rocblas_hemvn_kernel_lowerILb0ELi64ELi4ELi33ELi32ELi16ElfPKfPfEviT6_lT7_lT5_lS4_lS5_lS3_lT8_i,"axG",@progbits,_ZL26rocblas_hemvn_kernel_lowerILb0ELi64ELi4ELi33ELi32ELi16ElfPKfPfEviT6_lT7_lT5_lS4_lS5_lS3_lT8_i,comdat
.Lfunc_end85:
	.size	_ZL26rocblas_hemvn_kernel_lowerILb0ELi64ELi4ELi33ELi32ELi16ElfPKfPfEviT6_lT7_lT5_lS4_lS5_lS3_lT8_i, .Lfunc_end85-_ZL26rocblas_hemvn_kernel_lowerILb0ELi64ELi4ELi33ELi32ELi16ElfPKfPfEviT6_lT7_lT5_lS4_lS5_lS3_lT8_i
                                        ; -- End function
	.section	.AMDGPU.csdata,"",@progbits
; Kernel info:
; codeLenInByte = 5916
; NumSgprs: 56
; NumVgprs: 84
; NumAgprs: 0
; TotalNumVgprs: 84
; ScratchSize: 0
; MemoryBound: 0
; FloatMode: 240
; IeeeMode: 1
; LDSByteSize: 4800 bytes/workgroup (compile time only)
; SGPRBlocks: 6
; VGPRBlocks: 10
; NumSGPRsForWavesPerEU: 56
; NumVGPRsForWavesPerEU: 84
; AccumOffset: 84
; Occupancy: 5
; WaveLimiterHint : 1
; COMPUTE_PGM_RSRC2:SCRATCH_EN: 0
; COMPUTE_PGM_RSRC2:USER_SGPR: 6
; COMPUTE_PGM_RSRC2:TRAP_HANDLER: 0
; COMPUTE_PGM_RSRC2:TGID_X_EN: 1
; COMPUTE_PGM_RSRC2:TGID_Y_EN: 0
; COMPUTE_PGM_RSRC2:TGID_Z_EN: 1
; COMPUTE_PGM_RSRC2:TIDIG_COMP_CNT: 1
; COMPUTE_PGM_RSRC3_GFX90A:ACCUM_OFFSET: 20
; COMPUTE_PGM_RSRC3_GFX90A:TG_SPLIT: 0
	.section	.text._ZL36rocblas_hemvn_kernel_lower_block_sumILi64ElfPffEviT1_lS1_lT2_lT0_lPT3_i,"axG",@progbits,_ZL36rocblas_hemvn_kernel_lower_block_sumILi64ElfPffEviT1_lS1_lT2_lT0_lPT3_i,comdat
	.globl	_ZL36rocblas_hemvn_kernel_lower_block_sumILi64ElfPffEviT1_lS1_lT2_lT0_lPT3_i ; -- Begin function _ZL36rocblas_hemvn_kernel_lower_block_sumILi64ElfPffEviT1_lS1_lT2_lT0_lPT3_i
	.p2align	8
	.type	_ZL36rocblas_hemvn_kernel_lower_block_sumILi64ElfPffEviT1_lS1_lT2_lT0_lPT3_i,@function
_ZL36rocblas_hemvn_kernel_lower_block_sumILi64ElfPffEviT1_lS1_lT2_lT0_lPT3_i: ; @_ZL36rocblas_hemvn_kernel_lower_block_sumILi64ElfPffEviT1_lS1_lT2_lT0_lPT3_i
; %bb.0:
	s_load_dwordx2 s[8:9], s[4:5], 0x0
	s_load_dword s18, s[4:5], 0x10
	s_waitcnt lgkmcnt(0)
	v_cmp_eq_f32_e64 s[0:1], s9, 0
	v_cmp_eq_f32_e64 s[2:3], s18, 1.0
	s_and_b64 s[0:1], s[0:1], s[2:3]
	s_and_b64 vcc, exec, s[0:1]
	s_cbranch_vccnz .LBB86_19
; %bb.1:
	s_load_dwordx2 s[10:11], s[4:5], 0x38
	s_load_dwordx2 s[12:13], s[4:5], 0x20
	s_load_dwordx4 s[0:3], s[4:5], 0x28
	v_lshl_or_b32 v2, s6, 6, v0
	s_waitcnt lgkmcnt(0)
	s_mul_i32 s11, s7, s11
	s_mul_hi_u32 s14, s7, s10
	s_mul_i32 s10, s7, s10
	s_add_i32 s11, s14, s11
	s_lshl_b64 s[10:11], s[10:11], 2
	s_add_u32 s10, s12, s10
	s_addc_u32 s11, s13, s11
	s_lshl_b64 s[0:1], s[0:1], 2
	s_add_u32 s16, s10, s0
	s_addc_u32 s17, s11, s1
	v_cmp_neq_f32_e64 s[0:1], s9, 0
	s_and_b64 vcc, exec, s[0:1]
	v_cmp_gt_i32_e64 s[0:1], s8, v2
	s_cbranch_vccnz .LBB86_6
; %bb.2:
	s_mov_b64 s[12:13], 0
	s_mov_b64 s[10:11], 0
                                        ; implicit-def: $vgpr3
                                        ; implicit-def: $vgpr0_vgpr1
	s_and_saveexec_b64 s[14:15], s[0:1]
	s_cbranch_execz .LBB86_7
; %bb.3:
	v_ashrrev_i32_e32 v0, 31, v2
	v_cmp_eq_f32_e64 s[0:1], s18, 0
	v_mul_lo_u32 v4, v2, s3
	v_mul_lo_u32 v5, v0, s2
	v_mad_u64_u32 v[0:1], s[10:11], v2, s2, 0
	v_mov_b32_e32 v3, 0
	v_add3_u32 v1, v1, v4, v5
	s_and_b64 vcc, exec, s[0:1]
	s_cbranch_vccnz .LBB86_5
; %bb.4:
	v_lshlrev_b64 v[4:5], 2, v[0:1]
	v_mov_b32_e32 v3, s17
	v_add_co_u32_e32 v4, vcc, s16, v4
	v_addc_co_u32_e32 v5, vcc, v3, v5, vcc
	global_load_dword v3, v[4:5], off
	s_waitcnt vmcnt(0)
	v_mul_f32_e32 v3, s18, v3
.LBB86_5:
	s_mov_b64 s[10:11], exec
	s_or_b64 exec, exec, s[14:15]
	s_and_b64 vcc, exec, s[12:13]
	s_cbranch_vccnz .LBB86_8
	s_branch .LBB86_17
.LBB86_6:
	s_mov_b64 s[10:11], 0
                                        ; implicit-def: $vgpr3
                                        ; implicit-def: $vgpr0_vgpr1
	s_cbranch_execnz .LBB86_8
	s_branch .LBB86_17
.LBB86_7:
	s_or_b64 exec, exec, s[14:15]
	s_and_b64 vcc, exec, s[12:13]
	s_cbranch_vccz .LBB86_17
.LBB86_8:
	v_cmp_gt_i32_e32 vcc, s8, v2
                                        ; implicit-def: $vgpr3
                                        ; implicit-def: $vgpr0_vgpr1
	s_and_saveexec_b64 s[0:1], vcc
	s_cbranch_execz .LBB86_16
; %bb.9:
	s_load_dword s12, s[4:5], 0x50
	v_mov_b32_e32 v4, 0
	s_waitcnt lgkmcnt(0)
	s_cmp_ge_i32 s6, s12
	s_cbranch_scc1 .LBB86_12
; %bb.10:
	s_ashr_i32 s15, s8, 31
	s_mul_i32 s13, s6, s8
	s_load_dwordx2 s[4:5], s[4:5], 0x40
	v_add_u32_e32 v0, s13, v2
	s_mul_hi_u32 s13, s8, s7
	s_mul_i32 s19, s15, s7
	s_add_i32 s13, s13, s19
	s_mul_i32 s7, s8, s7
	s_mov_b32 s14, s8
	s_mul_i32 s13, s13, s12
	s_mul_hi_u32 s8, s7, s12
	s_add_i32 s21, s8, s13
	s_mul_i32 s20, s7, s12
	s_lshl_b64 s[20:21], s[20:21], 2
	v_ashrrev_i32_e32 v1, 31, v0
	s_waitcnt lgkmcnt(0)
	s_add_u32 s4, s4, s20
	v_lshlrev_b64 v[0:1], 2, v[0:1]
	s_addc_u32 s5, s5, s21
	v_mov_b32_e32 v3, s5
	v_add_co_u32_e32 v0, vcc, s4, v0
	s_lshl_b64 s[4:5], s[14:15], 2
	v_addc_co_u32_e32 v1, vcc, v3, v1, vcc
	v_mov_b32_e32 v4, 0
	v_mov_b32_e32 v3, s5
.LBB86_11:                              ; =>This Inner Loop Header: Depth=1
	global_load_dword v5, v[0:1], off
	s_add_i32 s6, s6, 1
	v_add_co_u32_e32 v0, vcc, s4, v0
	v_addc_co_u32_e32 v1, vcc, v1, v3, vcc
	s_cmp_ge_i32 s6, s12
	s_waitcnt vmcnt(0)
	v_add_f32_e32 v4, v4, v5
	s_cbranch_scc0 .LBB86_11
.LBB86_12:
	v_cmp_eq_f32_e64 s[4:5], s18, 0
	v_ashrrev_i32_e32 v0, 31, v2
	s_and_b64 vcc, exec, s[4:5]
	v_mul_lo_u32 v5, v2, s3
	v_mul_lo_u32 v6, v0, s2
	s_cbranch_vccz .LBB86_20
; %bb.13:
	v_mad_u64_u32 v[0:1], s[4:5], v2, s2, 0
	v_mul_f32_e32 v3, s9, v4
	v_add3_u32 v1, v1, v5, v6
	s_cbranch_execnz .LBB86_15
.LBB86_14:
	v_mad_u64_u32 v[0:1], s[2:3], v2, s2, 0
	v_add3_u32 v1, v1, v5, v6
	v_lshlrev_b64 v[2:3], 2, v[0:1]
	v_mov_b32_e32 v5, s17
	v_add_co_u32_e32 v2, vcc, s16, v2
	v_addc_co_u32_e32 v3, vcc, v5, v3, vcc
	global_load_dword v2, v[2:3], off
	s_waitcnt vmcnt(0)
	v_mul_f32_e32 v3, s18, v2
	v_fmac_f32_e32 v3, s9, v4
.LBB86_15:
	s_or_b64 s[10:11], s[10:11], exec
.LBB86_16:
	s_or_b64 exec, exec, s[0:1]
.LBB86_17:
	s_and_saveexec_b64 s[0:1], s[10:11]
	s_cbranch_execz .LBB86_19
; %bb.18:
	v_lshlrev_b64 v[0:1], 2, v[0:1]
	v_mov_b32_e32 v2, s17
	v_add_co_u32_e32 v0, vcc, s16, v0
	v_addc_co_u32_e32 v1, vcc, v2, v1, vcc
	global_store_dword v[0:1], v3, off
.LBB86_19:
	s_endpgm
.LBB86_20:
                                        ; implicit-def: $vgpr3
                                        ; implicit-def: $vgpr0_vgpr1
	s_branch .LBB86_14
	.section	.rodata,"a",@progbits
	.p2align	6, 0x0
	.amdhsa_kernel _ZL36rocblas_hemvn_kernel_lower_block_sumILi64ElfPffEviT1_lS1_lT2_lT0_lPT3_i
		.amdhsa_group_segment_fixed_size 0
		.amdhsa_private_segment_fixed_size 0
		.amdhsa_kernarg_size 336
		.amdhsa_user_sgpr_count 6
		.amdhsa_user_sgpr_private_segment_buffer 1
		.amdhsa_user_sgpr_dispatch_ptr 0
		.amdhsa_user_sgpr_queue_ptr 0
		.amdhsa_user_sgpr_kernarg_segment_ptr 1
		.amdhsa_user_sgpr_dispatch_id 0
		.amdhsa_user_sgpr_flat_scratch_init 0
		.amdhsa_user_sgpr_kernarg_preload_length 0
		.amdhsa_user_sgpr_kernarg_preload_offset 0
		.amdhsa_user_sgpr_private_segment_size 0
		.amdhsa_uses_dynamic_stack 0
		.amdhsa_system_sgpr_private_segment_wavefront_offset 0
		.amdhsa_system_sgpr_workgroup_id_x 1
		.amdhsa_system_sgpr_workgroup_id_y 0
		.amdhsa_system_sgpr_workgroup_id_z 1
		.amdhsa_system_sgpr_workgroup_info 0
		.amdhsa_system_vgpr_workitem_id 0
		.amdhsa_next_free_vgpr 7
		.amdhsa_next_free_sgpr 22
		.amdhsa_accum_offset 8
		.amdhsa_reserve_vcc 1
		.amdhsa_reserve_flat_scratch 0
		.amdhsa_float_round_mode_32 0
		.amdhsa_float_round_mode_16_64 0
		.amdhsa_float_denorm_mode_32 3
		.amdhsa_float_denorm_mode_16_64 3
		.amdhsa_dx10_clamp 1
		.amdhsa_ieee_mode 1
		.amdhsa_fp16_overflow 0
		.amdhsa_tg_split 0
		.amdhsa_exception_fp_ieee_invalid_op 0
		.amdhsa_exception_fp_denorm_src 0
		.amdhsa_exception_fp_ieee_div_zero 0
		.amdhsa_exception_fp_ieee_overflow 0
		.amdhsa_exception_fp_ieee_underflow 0
		.amdhsa_exception_fp_ieee_inexact 0
		.amdhsa_exception_int_div_zero 0
	.end_amdhsa_kernel
	.section	.text._ZL36rocblas_hemvn_kernel_lower_block_sumILi64ElfPffEviT1_lS1_lT2_lT0_lPT3_i,"axG",@progbits,_ZL36rocblas_hemvn_kernel_lower_block_sumILi64ElfPffEviT1_lS1_lT2_lT0_lPT3_i,comdat
.Lfunc_end86:
	.size	_ZL36rocblas_hemvn_kernel_lower_block_sumILi64ElfPffEviT1_lS1_lT2_lT0_lPT3_i, .Lfunc_end86-_ZL36rocblas_hemvn_kernel_lower_block_sumILi64ElfPffEviT1_lS1_lT2_lT0_lPT3_i
                                        ; -- End function
	.section	.AMDGPU.csdata,"",@progbits
; Kernel info:
; codeLenInByte = 648
; NumSgprs: 26
; NumVgprs: 7
; NumAgprs: 0
; TotalNumVgprs: 7
; ScratchSize: 0
; MemoryBound: 0
; FloatMode: 240
; IeeeMode: 1
; LDSByteSize: 0 bytes/workgroup (compile time only)
; SGPRBlocks: 3
; VGPRBlocks: 0
; NumSGPRsForWavesPerEU: 26
; NumVGPRsForWavesPerEU: 7
; AccumOffset: 8
; Occupancy: 8
; WaveLimiterHint : 0
; COMPUTE_PGM_RSRC2:SCRATCH_EN: 0
; COMPUTE_PGM_RSRC2:USER_SGPR: 6
; COMPUTE_PGM_RSRC2:TRAP_HANDLER: 0
; COMPUTE_PGM_RSRC2:TGID_X_EN: 1
; COMPUTE_PGM_RSRC2:TGID_Y_EN: 0
; COMPUTE_PGM_RSRC2:TGID_Z_EN: 1
; COMPUTE_PGM_RSRC2:TIDIG_COMP_CNT: 0
; COMPUTE_PGM_RSRC3_GFX90A:ACCUM_OFFSET: 1
; COMPUTE_PGM_RSRC3_GFX90A:TG_SPLIT: 0
	.section	.text._ZL26rocblas_hemvn_kernel_lowerILb0ELi64ELi4ELi33ELi32ELi16EifPKfPfEviT6_lT7_lT5_lS4_lS5_lS3_lT8_i,"axG",@progbits,_ZL26rocblas_hemvn_kernel_lowerILb0ELi64ELi4ELi33ELi32ELi16EifPKfPfEviT6_lT7_lT5_lS4_lS5_lS3_lT8_i,comdat
	.globl	_ZL26rocblas_hemvn_kernel_lowerILb0ELi64ELi4ELi33ELi32ELi16EifPKfPfEviT6_lT7_lT5_lS4_lS5_lS3_lT8_i ; -- Begin function _ZL26rocblas_hemvn_kernel_lowerILb0ELi64ELi4ELi33ELi32ELi16EifPKfPfEviT6_lT7_lT5_lS4_lS5_lS3_lT8_i
	.p2align	8
	.type	_ZL26rocblas_hemvn_kernel_lowerILb0ELi64ELi4ELi33ELi32ELi16EifPKfPfEviT6_lT7_lT5_lS4_lS5_lS3_lT8_i,@function
_ZL26rocblas_hemvn_kernel_lowerILb0ELi64ELi4ELi33ELi32ELi16EifPKfPfEviT6_lT7_lT5_lS4_lS5_lS3_lT8_i: ; @_ZL26rocblas_hemvn_kernel_lowerILb0ELi64ELi4ELi33ELi32ELi16EifPKfPfEviT6_lT7_lT5_lS4_lS5_lS3_lT8_i
; %bb.0:
	s_load_dwordx2 s[2:3], s[4:5], 0x7c
	s_add_u32 s0, s4, 0x70
	s_addc_u32 s1, s5, 0
	s_waitcnt lgkmcnt(0)
	s_lshr_b32 s8, s2, 16
	s_and_b32 s2, s2, 0xffff
	s_and_b32 s3, s3, 0xffff
	s_mul_i32 s2, s8, s2
	s_mul_i32 s2, s2, s3
	s_cmpk_lg_i32 s2, 0x100
	s_cbranch_scc1 .LBB87_76
; %bb.1:
	s_load_dwordx2 s[24:25], s[4:5], 0x0
	s_load_dword s8, s[4:5], 0x50
	s_waitcnt lgkmcnt(0)
	v_cmp_eq_f32_e64 s[2:3], s25, 0
	v_cmp_eq_f32_e64 s[8:9], s8, 1.0
	s_and_b64 s[8:9], s[2:3], s[8:9]
	s_and_b64 vcc, exec, s[8:9]
	s_cbranch_vccnz .LBB87_76
; %bb.2:
	s_and_b64 vcc, exec, s[2:3]
	s_cbranch_vccnz .LBB87_76
; %bb.3:
	s_load_dwordx2 s[2:3], s[4:5], 0x48
	s_load_dword s25, s[4:5], 0x40
	s_load_dword s33, s[0:1], 0x0
	s_load_dwordx4 s[8:11], s[4:5], 0x28
	s_load_dwordx2 s[12:13], s[4:5], 0x38
	s_waitcnt lgkmcnt(0)
	s_mul_i32 s0, s7, s3
	s_mul_hi_u32 s1, s7, s2
	s_add_i32 s1, s1, s0
	s_mul_i32 s0, s7, s2
	s_lshl_b64 s[0:1], s[0:1], 2
	s_add_u32 s2, s10, s0
	s_addc_u32 s3, s11, s1
	s_lshl_b64 s[0:1], s[12:13], 2
	s_add_u32 s0, s2, s0
	s_addc_u32 s1, s3, s1
	v_and_b32_e32 v17, 0x3ff, v0
	s_lshl_b32 s28, s6, 6
	s_ashr_i32 s42, s24, 31
	s_lshr_b32 s3, s42, 26
	v_add_u32_e32 v4, s28, v17
	v_bfe_u32 v5, v0, 10, 10
	s_add_i32 s3, s24, s3
	v_mul_lo_u32 v0, v4, s25
	s_andn2_b32 s3, s3, 63
	v_ashrrev_i32_e32 v1, 31, v0
	s_add_i32 s2, s33, -1
	s_sub_i32 s3, s24, s3
	v_lshlrev_b64 v[0:1], 2, v[0:1]
	s_cmp_eq_u32 s6, s2
	v_mov_b32_e32 v2, s1
	v_add_co_u32_e32 v6, vcc, s0, v0
	s_cselect_b32 s26, s3, 0
	v_addc_co_u32_e32 v7, vcc, v2, v1, vcc
	v_cmp_ne_u32_e64 s[0:1], 0, v5
	v_cmp_eq_u32_e64 s[2:3], 0, v5
	s_and_saveexec_b64 s[10:11], s[2:3]
	s_cbranch_execz .LBB87_7
; %bb.4:
	s_cmp_eq_u32 s26, 0
	s_cselect_b64 s[12:13], -1, 0
	v_cmp_gt_i32_e32 vcc, s26, v17
	s_or_b64 s[14:15], s[12:13], vcc
	v_mov_b32_e32 v0, 0
	s_and_saveexec_b64 s[12:13], s[14:15]
	s_cbranch_execz .LBB87_6
; %bb.5:
	global_load_dword v0, v[6:7], off
.LBB87_6:
	s_or_b64 exec, exec, s[12:13]
	v_lshlrev_b32_e32 v1, 2, v17
	s_waitcnt vmcnt(0)
	ds_write_b32 v1, v0 offset:4544
.LBB87_7:
	s_or_b64 exec, exec, s[10:11]
	s_load_dwordx4 s[12:15], s[4:5], 0x10
	s_load_dword s22, s[4:5], 0x20
	s_mul_i32 s9, s7, s9
	s_mul_hi_u32 s10, s7, s8
	s_add_i32 s9, s10, s9
	s_mul_i32 s8, s7, s8
	s_lshl_b64 s[8:9], s[8:9], 2
	s_waitcnt lgkmcnt(0)
	s_add_u32 s10, s12, s8
	s_addc_u32 s11, s13, s9
	s_lshl_b64 s[8:9], s[14:15], 2
	s_add_u32 s10, s10, s8
	s_addc_u32 s11, s11, s9
	s_ashr_i32 s29, s28, 31
	v_lshl_add_u32 v18, v5, 6, v17
	s_lshl_b64 s[8:9], s[28:29], 2
	v_and_b32_e32 v0, 31, v17
	v_lshrrev_b32_e32 v12, 5, v18
	s_add_u32 s10, s10, s8
	s_addc_u32 s11, s11, s9
	v_mad_u64_u32 v[2:3], s[8:9], v12, s22, v[0:1]
	s_mul_i32 s8, s28, s22
	s_ashr_i32 s9, s8, 31
	s_lshl_b64 s[30:31], s[8:9], 2
	v_ashrrev_i32_e32 v3, 31, v2
	s_add_u32 s8, s30, s10
	v_lshlrev_b64 v[8:9], 2, v[2:3]
	s_addc_u32 s9, s31, s11
	v_mov_b32_e32 v1, s9
	v_add_co_u32_e32 v2, vcc, s8, v8
	s_cmp_lg_u32 s26, 0
	v_addc_co_u32_e32 v3, vcc, v1, v9, vcc
	s_cselect_b64 s[34:35], -1, 0
	s_cmp_eq_u32 s26, 0
	s_cselect_b64 s[36:37], -1, 0
	s_and_b64 vcc, exec, s[34:35]
	s_cbranch_vccnz .LBB87_9
; %bb.8:
	s_lshl_b32 s8, s22, 3
	s_ashr_i32 s9, s8, 31
	s_lshl_b64 s[8:9], s[8:9], 2
	v_mov_b32_e32 v11, s9
	v_add_co_u32_e32 v10, vcc, s8, v2
	s_ashr_i32 s23, s22, 31
	v_addc_co_u32_e32 v11, vcc, v3, v11, vcc
	s_lshl_b64 s[8:9], s[22:23], 5
	global_load_dword v1, v[2:3], off
	global_load_dword v13, v[10:11], off
	v_mov_b32_e32 v14, s9
	v_add_co_u32_e32 v10, vcc, s8, v10
	v_addc_co_u32_e32 v11, vcc, v11, v14, vcc
	global_load_dword v15, v[10:11], off
	v_add_co_u32_e32 v10, vcc, s8, v10
	v_addc_co_u32_e32 v11, vcc, v11, v14, vcc
	global_load_dword v10, v[10:11], off
	v_mul_u32_u24_e32 v11, 33, v12
	v_add_lshl_u32 v11, v11, v0, 2
	s_waitcnt vmcnt(3)
	ds_write_b32 v11, v1
	s_waitcnt vmcnt(2)
	ds_write_b32 v11, v13 offset:1056
	s_waitcnt vmcnt(1)
	ds_write_b32 v11, v15 offset:2112
	;; [unrolled: 2-line block ×3, first 2 shown]
	s_cbranch_execz .LBB87_10
	s_branch .LBB87_19
.LBB87_9:
.LBB87_10:
	v_lshlrev_b32_e32 v1, 2, v0
	v_sub_co_u32_e32 v10, vcc, v2, v1
	s_ashr_i32 s27, s26, 31
	v_subbrev_co_u32_e32 v11, vcc, 0, v3, vcc
	s_lshl_b64 s[10:11], s[26:27], 2
	v_mov_b32_e32 v13, s11
	v_add_co_u32_e32 v10, vcc, s10, v10
	v_addc_co_u32_e32 v11, vcc, v11, v13, vcc
	v_add_co_u32_e32 v10, vcc, -4, v10
	v_addc_co_u32_e32 v11, vcc, -1, v11, vcc
	v_cmp_gt_i32_e32 vcc, s26, v0
	v_cndmask_b32_e32 v11, v11, v3, vcc
	v_cndmask_b32_e32 v10, v10, v2, vcc
	v_cmp_gt_i32_e64 s[8:9], s26, v12
	v_mov_b32_e32 v14, 0
	v_mov_b32_e32 v15, 0
	s_and_saveexec_b64 s[12:13], s[8:9]
	s_cbranch_execz .LBB87_12
; %bb.11:
	global_load_dword v15, v[10:11], off
.LBB87_12:
	s_or_b64 exec, exec, s[12:13]
	v_mul_u32_u24_e32 v13, 33, v12
	v_add_lshl_u32 v13, v13, v0, 2
	s_waitcnt vmcnt(0)
	ds_write_b32 v13, v15
	v_add_u32_e32 v15, 8, v12
	v_cmp_gt_i32_e64 s[8:9], s26, v15
	s_and_saveexec_b64 s[12:13], s[8:9]
	s_cbranch_execz .LBB87_14
; %bb.13:
	s_lshl_b32 s8, s22, 3
	s_ashr_i32 s9, s8, 31
	s_lshl_b64 s[8:9], s[8:9], 2
	v_mov_b32_e32 v15, s9
	v_add_co_u32_e64 v14, s[8:9], s8, v10
	v_addc_co_u32_e64 v15, s[8:9], v11, v15, s[8:9]
	global_load_dword v14, v[14:15], off
.LBB87_14:
	s_or_b64 exec, exec, s[12:13]
	s_waitcnt vmcnt(0)
	ds_write_b32 v13, v14 offset:1056
	v_add_u32_e32 v14, 16, v12
	v_cmp_gt_i32_e64 s[8:9], s26, v14
	v_mov_b32_e32 v14, 0
	v_mov_b32_e32 v15, 0
	s_and_saveexec_b64 s[12:13], s[8:9]
	s_cbranch_execz .LBB87_16
; %bb.15:
	s_lshl_b32 s8, s22, 4
	s_ashr_i32 s9, s8, 31
	s_lshl_b64 s[8:9], s[8:9], 2
	v_mov_b32_e32 v15, s9
	v_add_co_u32_e64 v20, s[8:9], s8, v10
	v_addc_co_u32_e64 v21, s[8:9], v11, v15, s[8:9]
	global_load_dword v15, v[20:21], off
.LBB87_16:
	s_or_b64 exec, exec, s[12:13]
	s_waitcnt vmcnt(0)
	ds_write_b32 v13, v15 offset:2112
	v_add_u32_e32 v15, 24, v12
	v_cmp_gt_i32_e64 s[8:9], s26, v15
	s_and_saveexec_b64 s[12:13], s[8:9]
	s_cbranch_execz .LBB87_18
; %bb.17:
	s_mul_i32 s8, s22, 24
	s_ashr_i32 s9, s8, 31
	s_lshl_b64 s[8:9], s[8:9], 2
	v_mov_b32_e32 v15, s9
	v_add_co_u32_e64 v14, s[8:9], s8, v10
	v_addc_co_u32_e64 v15, s[8:9], v11, v15, s[8:9]
	global_load_dword v14, v[14:15], off
.LBB87_18:
	s_or_b64 exec, exec, s[12:13]
	v_add_co_u32_e64 v1, s[8:9], v10, v1
	v_addc_co_u32_e64 v10, s[8:9], 0, v11, s[8:9]
	v_mov_b32_e32 v11, s11
	v_subrev_co_u32_e64 v1, s[8:9], s10, v1
	v_subb_co_u32_e64 v10, s[8:9], v10, v11, s[8:9]
	v_add_co_u32_e64 v1, s[8:9], 4, v1
	v_addc_co_u32_e64 v10, s[8:9], 0, v10, s[8:9]
	v_cndmask_b32_e32 v3, v10, v3, vcc
	v_cndmask_b32_e32 v2, v1, v2, vcc
	s_waitcnt vmcnt(0)
	ds_write_b32 v13, v14 offset:3168
.LBB87_19:
	v_lshlrev_b32_e32 v14, 2, v12
	v_mul_u32_u24_e32 v19, 33, v0
	v_cmp_lt_u32_e64 s[8:9], v14, v0
	v_add_lshl_u32 v13, v14, v19, 2
	s_waitcnt lgkmcnt(0)
	s_barrier
	s_and_saveexec_b64 s[10:11], s[8:9]
	s_cbranch_execz .LBB87_21
; %bb.20:
	v_mul_u32_u24_e32 v1, 0x84, v12
	v_add_lshl_u32 v1, v1, v0, 2
	ds_read_b32 v1, v1
	s_waitcnt lgkmcnt(0)
	ds_write_b32 v13, v1
.LBB87_21:
	s_or_b64 exec, exec, s[10:11]
	v_or_b32_e32 v1, 1, v14
	v_cmp_lt_u32_e64 s[10:11], v1, v0
	s_and_saveexec_b64 s[12:13], s[10:11]
	s_cbranch_execz .LBB87_23
; %bb.22:
	v_mul_u32_u24_e32 v1, 33, v1
	v_add_lshl_u32 v1, v1, v0, 2
	ds_read_b32 v1, v1
	s_waitcnt lgkmcnt(0)
	ds_write_b32 v13, v1 offset:4
.LBB87_23:
	s_or_b64 exec, exec, s[12:13]
	v_or_b32_e32 v1, 2, v14
	v_cmp_lt_u32_e64 s[12:13], v1, v0
	s_and_saveexec_b64 s[14:15], s[12:13]
	s_cbranch_execz .LBB87_25
; %bb.24:
	v_mul_u32_u24_e32 v1, 33, v1
	v_add_lshl_u32 v1, v1, v0, 2
	ds_read_b32 v1, v1
	s_waitcnt lgkmcnt(0)
	ds_write_b32 v13, v1 offset:8
.LBB87_25:
	s_or_b64 exec, exec, s[14:15]
	v_or_b32_e32 v1, 3, v14
	v_cmp_lt_u32_e64 s[14:15], v1, v0
	v_mad_u32_u24 v1, v1, 33, v0
	v_lshlrev_b32_e32 v15, 2, v1
	s_and_saveexec_b64 s[16:17], s[14:15]
	s_cbranch_execz .LBB87_27
; %bb.26:
	ds_read_b32 v1, v15
	s_waitcnt lgkmcnt(0)
	ds_write_b32 v13, v1 offset:12
.LBB87_27:
	s_or_b64 exec, exec, s[16:17]
	v_mul_u32_u24_e32 v1, 0x84, v12
	v_add_u32_e32 v23, 0xfffffef8, v15
	s_waitcnt lgkmcnt(0)
	s_barrier
	v_add_lshl_u32 v22, v1, v0, 2
	v_lshlrev_b32_e32 v21, 2, v14
	ds_read2_b32 v[10:11], v23 offset1:33
	ds_read_b32 v28, v22
	ds_read_b128 v[24:27], v21 offset:4544
	ds_read_b32 v31, v15
	v_add_lshl_u32 v20, v12, v19, 2
	s_waitcnt lgkmcnt(3)
	v_mov_b32_e32 v29, v10
	v_mov_b32_e32 v30, v11
	s_waitcnt lgkmcnt(1)
	v_pk_mul_f32 v[24:25], v[28:29], v[24:25]
	v_add_f32_e32 v1, 0, v24
	v_add_f32_e32 v1, v1, v25
	s_waitcnt lgkmcnt(0)
	v_pk_mul_f32 v[10:11], v[30:31], v[26:27]
	v_add_f32_e32 v1, v1, v10
	v_add_f32_e32 v1, v1, v11
	v_cmp_gt_u32_e64 s[20:21], 32, v18
	v_mov_b32_e32 v16, 0
	s_barrier
	ds_write_b32 v20, v1
	s_waitcnt lgkmcnt(0)
	s_barrier
	s_and_saveexec_b64 s[16:17], s[20:21]
	s_cbranch_execz .LBB87_29
; %bb.28:
	v_lshlrev_b32_e32 v1, 2, v19
	ds_read2_b32 v[10:11], v1 offset1:1
	ds_read2_b32 v[24:25], v1 offset0:2 offset1:3
	ds_read2_b32 v[26:27], v1 offset0:4 offset1:5
	;; [unrolled: 1-line block ×3, first 2 shown]
	s_waitcnt lgkmcnt(3)
	v_add_f32_e32 v1, v10, v11
	s_waitcnt lgkmcnt(2)
	v_add_f32_e32 v1, v1, v24
	v_add_f32_e32 v1, v1, v25
	s_waitcnt lgkmcnt(1)
	v_add_f32_e32 v1, v1, v26
	;; [unrolled: 3-line block ×3, first 2 shown]
	v_add_f32_e32 v16, v1, v29
.LBB87_29:
	s_or_b64 exec, exec, s[16:17]
	s_lshl_b32 s16, s22, 5
	s_ashr_i32 s17, s16, 31
	s_lshl_b64 s[38:39], s[16:17], 2
	v_mov_b32_e32 v1, s39
	v_add_co_u32_e32 v10, vcc, s38, v2
	v_addc_co_u32_e32 v11, vcc, v3, v1, vcc
	v_add_co_u32_e32 v2, vcc, 0x80, v10
	v_cndmask_b32_e64 v1, 0, 1, s[36:37]
	s_mov_b64 s[18:19], vcc
	v_cmp_ne_u32_e64 s[16:17], 1, v1
	s_andn2_b64 vcc, exec, s[36:37]
	v_addc_co_u32_e64 v1, s[18:19], 0, v11, s[18:19]
	s_barrier
	s_cbranch_vccnz .LBB87_31
; %bb.30:
	s_lshl_b32 s18, s22, 3
	s_ashr_i32 s19, s18, 31
	s_lshl_b64 s[18:19], s[18:19], 2
	v_mov_b32_e32 v3, s19
	v_add_co_u32_e32 v24, vcc, s18, v10
	s_ashr_i32 s23, s22, 31
	v_addc_co_u32_e32 v25, vcc, v11, v3, vcc
	s_lshl_b64 s[18:19], s[22:23], 5
	v_mov_b32_e32 v3, s19
	v_add_co_u32_e32 v26, vcc, s18, v24
	v_addc_co_u32_e32 v27, vcc, v25, v3, vcc
	v_add_co_u32_e32 v28, vcc, s18, v26
	v_addc_co_u32_e32 v29, vcc, v27, v3, vcc
	global_load_dword v3, v[10:11], off offset:128
	global_load_dword v30, v[24:25], off offset:128
	;; [unrolled: 1-line block ×4, first 2 shown]
	v_mul_u32_u24_e32 v10, 33, v12
	v_add_lshl_u32 v10, v10, v0, 2
	s_waitcnt vmcnt(3)
	ds_write_b32 v10, v3
	s_waitcnt vmcnt(2)
	ds_write_b32 v10, v30 offset:1056
	s_waitcnt vmcnt(1)
	ds_write_b32 v10, v31 offset:2112
	;; [unrolled: 2-line block ×3, first 2 shown]
	s_cbranch_execz .LBB87_32
	s_branch .LBB87_41
.LBB87_31:
.LBB87_32:
	v_lshlrev_b32_e32 v3, 2, v0
	v_sub_co_u32_e32 v11, vcc, v2, v3
	s_ashr_i32 s27, s26, 31
	v_subbrev_co_u32_e32 v24, vcc, 0, v1, vcc
	s_lshl_b64 s[36:37], s[26:27], 2
	v_mov_b32_e32 v25, s37
	v_add_co_u32_e32 v11, vcc, s36, v11
	v_addc_co_u32_e32 v24, vcc, v24, v25, vcc
	v_or_b32_e32 v10, 32, v0
	v_add_co_u32_e32 v25, vcc, 0xffffff7c, v11
	v_addc_co_u32_e32 v11, vcc, -1, v24, vcc
	v_cmp_gt_i32_e64 s[18:19], s26, v10
	s_sub_i32 s23, s26, 32
	v_cndmask_b32_e64 v11, v11, v1, s[18:19]
	v_cndmask_b32_e64 v10, v25, v2, s[18:19]
	v_cmp_gt_i32_e32 vcc, s23, v12
	v_mov_b32_e32 v25, 0
	v_mov_b32_e32 v26, 0
	s_and_saveexec_b64 s[40:41], vcc
	s_cbranch_execz .LBB87_34
; %bb.33:
	global_load_dword v26, v[10:11], off
.LBB87_34:
	s_or_b64 exec, exec, s[40:41]
	v_mul_u32_u24_e32 v24, 33, v12
	v_add_lshl_u32 v24, v24, v0, 2
	s_waitcnt vmcnt(0)
	ds_write_b32 v24, v26
	v_add_u32_e32 v26, 8, v12
	v_cmp_gt_i32_e32 vcc, s23, v26
	s_and_saveexec_b64 s[40:41], vcc
	s_cbranch_execz .LBB87_36
; %bb.35:
	s_lshl_b32 s44, s22, 3
	s_ashr_i32 s45, s44, 31
	s_lshl_b64 s[44:45], s[44:45], 2
	v_mov_b32_e32 v25, s45
	v_add_co_u32_e32 v26, vcc, s44, v10
	v_addc_co_u32_e32 v27, vcc, v11, v25, vcc
	global_load_dword v25, v[26:27], off
.LBB87_36:
	s_or_b64 exec, exec, s[40:41]
	s_waitcnt vmcnt(0)
	ds_write_b32 v24, v25 offset:1056
	v_add_u32_e32 v25, 16, v12
	v_cmp_gt_i32_e32 vcc, s23, v25
	v_mov_b32_e32 v25, 0
	v_mov_b32_e32 v26, 0
	s_and_saveexec_b64 s[40:41], vcc
	s_cbranch_execz .LBB87_38
; %bb.37:
	s_lshl_b32 s44, s22, 4
	s_ashr_i32 s45, s44, 31
	s_lshl_b64 s[44:45], s[44:45], 2
	v_mov_b32_e32 v27, s45
	v_add_co_u32_e32 v26, vcc, s44, v10
	v_addc_co_u32_e32 v27, vcc, v11, v27, vcc
	global_load_dword v26, v[26:27], off
.LBB87_38:
	s_or_b64 exec, exec, s[40:41]
	s_waitcnt vmcnt(0)
	ds_write_b32 v24, v26 offset:2112
	v_add_u32_e32 v26, 24, v12
	v_cmp_gt_i32_e32 vcc, s23, v26
	s_and_saveexec_b64 s[40:41], vcc
	s_cbranch_execz .LBB87_40
; %bb.39:
	s_mul_i32 s44, s22, 24
	s_ashr_i32 s45, s44, 31
	s_lshl_b64 s[44:45], s[44:45], 2
	v_mov_b32_e32 v25, s45
	v_add_co_u32_e32 v26, vcc, s44, v10
	v_addc_co_u32_e32 v27, vcc, v11, v25, vcc
	global_load_dword v25, v[26:27], off
.LBB87_40:
	s_or_b64 exec, exec, s[40:41]
	v_add_co_u32_e32 v3, vcc, v10, v3
	v_addc_co_u32_e32 v10, vcc, 0, v11, vcc
	v_mov_b32_e32 v11, s37
	v_subrev_co_u32_e32 v3, vcc, s36, v3
	v_subb_co_u32_e32 v10, vcc, v10, v11, vcc
	v_add_co_u32_e32 v3, vcc, 0x84, v3
	v_addc_co_u32_e32 v10, vcc, 0, v10, vcc
	v_cndmask_b32_e64 v1, v10, v1, s[18:19]
	v_cndmask_b32_e64 v2, v3, v2, s[18:19]
	s_waitcnt vmcnt(0)
	ds_write_b32 v24, v25 offset:3168
.LBB87_41:
	v_add_u32_e32 v21, 0x11c0, v21
	s_waitcnt lgkmcnt(0)
	s_barrier
	s_and_saveexec_b64 s[18:19], s[8:9]
	s_cbranch_execnz .LBB87_50
; %bb.42:
	s_or_b64 exec, exec, s[18:19]
	s_and_saveexec_b64 s[8:9], s[10:11]
	s_cbranch_execnz .LBB87_51
.LBB87_43:
	s_or_b64 exec, exec, s[8:9]
	s_and_saveexec_b64 s[8:9], s[12:13]
	s_cbranch_execnz .LBB87_52
.LBB87_44:
	s_or_b64 exec, exec, s[8:9]
	s_and_saveexec_b64 s[8:9], s[14:15]
	s_cbranch_execz .LBB87_46
.LBB87_45:
	ds_read_b32 v3, v15
	s_waitcnt lgkmcnt(0)
	ds_write_b32 v13, v3 offset:12
.LBB87_46:
	s_or_b64 exec, exec, s[8:9]
	s_waitcnt lgkmcnt(0)
	s_barrier
	ds_read_b32 v3, v22
	ds_read_b128 v[24:27], v21 offset:128
	ds_read2_b32 v[10:11], v23 offset1:33
	ds_read_b32 v15, v15
	v_cmp_eq_u32_e64 s[8:9], 1, v12
	s_waitcnt lgkmcnt(0)
	v_fma_f32 v3, v3, v24, 0
	v_fmac_f32_e32 v3, v10, v25
	v_fmac_f32_e32 v3, v11, v26
	;; [unrolled: 1-line block ×3, first 2 shown]
	s_barrier
	ds_write_b32 v20, v3
	s_waitcnt lgkmcnt(0)
	s_barrier
	s_and_saveexec_b64 s[10:11], s[8:9]
	s_cbranch_execz .LBB87_48
; %bb.47:
	v_lshlrev_b32_e32 v3, 2, v19
	ds_read2_b32 v[10:11], v3 offset1:1
	ds_read2_b32 v[22:23], v3 offset0:2 offset1:3
	ds_read2_b32 v[24:25], v3 offset0:4 offset1:5
	ds_read2_b32 v[26:27], v3 offset0:6 offset1:7
	s_waitcnt lgkmcnt(3)
	v_add_f32_e32 v3, v10, v11
	s_waitcnt lgkmcnt(2)
	v_add_f32_e32 v3, v3, v22
	v_add_f32_e32 v3, v3, v23
	s_waitcnt lgkmcnt(1)
	v_add_f32_e32 v3, v3, v24
	;; [unrolled: 3-line block ×3, first 2 shown]
	v_add_f32_e32 v16, v3, v27
.LBB87_48:
	s_or_b64 exec, exec, s[10:11]
	v_mov_b32_e32 v3, s39
	v_subrev_co_u32_e64 v10, s[10:11], s38, v2
	s_and_b64 vcc, exec, s[16:17]
	v_subb_co_u32_e64 v11, s[10:11], v1, v3, s[10:11]
	s_barrier
	s_cbranch_vccnz .LBB87_53
; %bb.49:
	s_lshl_b32 s10, s22, 3
	s_ashr_i32 s11, s10, 31
	s_lshl_b64 s[10:11], s[10:11], 2
	v_mov_b32_e32 v1, s11
	v_add_co_u32_e32 v2, vcc, s10, v10
	s_ashr_i32 s23, s22, 31
	v_addc_co_u32_e32 v3, vcc, v11, v1, vcc
	s_lshl_b64 s[10:11], s[22:23], 5
	v_mov_b32_e32 v1, s11
	v_add_co_u32_e32 v22, vcc, s10, v2
	v_addc_co_u32_e32 v23, vcc, v3, v1, vcc
	v_add_co_u32_e32 v24, vcc, s10, v22
	v_addc_co_u32_e32 v25, vcc, v23, v1, vcc
	global_load_dword v28, v[10:11], off
	global_load_dword v29, v[2:3], off
	;; [unrolled: 1-line block ×4, first 2 shown]
	v_mad_u32_u24 v15, v12, 33, v0
	v_add_u32_e32 v1, 8, v12
	v_add_u32_e32 v22, 16, v12
	;; [unrolled: 1-line block ×3, first 2 shown]
	v_lshlrev_b32_e32 v2, 2, v15
	v_add_u32_e32 v27, 0x108, v15
	v_add_u32_e32 v25, 0x210, v15
	;; [unrolled: 1-line block ×3, first 2 shown]
	s_waitcnt vmcnt(3)
	ds_write_b32 v2, v28
	s_waitcnt vmcnt(2)
	ds_write_b32 v2, v29 offset:1056
	s_waitcnt vmcnt(1)
	ds_write_b32 v2, v30 offset:2112
	;; [unrolled: 2-line block ×3, first 2 shown]
	s_cbranch_execz .LBB87_54
	s_branch .LBB87_63
.LBB87_50:
	ds_read_b32 v3, v22
	s_waitcnt lgkmcnt(0)
	ds_write_b32 v13, v3
	s_or_b64 exec, exec, s[18:19]
	s_and_saveexec_b64 s[8:9], s[10:11]
	s_cbranch_execz .LBB87_43
.LBB87_51:
	ds_read_b32 v3, v23
	s_waitcnt lgkmcnt(0)
	ds_write_b32 v13, v3 offset:4
	s_or_b64 exec, exec, s[8:9]
	s_and_saveexec_b64 s[8:9], s[12:13]
	s_cbranch_execz .LBB87_44
.LBB87_52:
	ds_read_b32 v3, v23 offset:132
	s_waitcnt lgkmcnt(0)
	ds_write_b32 v13, v3 offset:8
	s_or_b64 exec, exec, s[8:9]
	s_and_saveexec_b64 s[8:9], s[14:15]
	s_cbranch_execnz .LBB87_45
	s_branch .LBB87_46
.LBB87_53:
                                        ; implicit-def: $vgpr15
                                        ; implicit-def: $vgpr1
                                        ; implicit-def: $vgpr27
                                        ; implicit-def: $vgpr22
                                        ; implicit-def: $vgpr25
                                        ; implicit-def: $vgpr23
                                        ; implicit-def: $vgpr26
.LBB87_54:
	v_lshlrev_b32_e32 v24, 2, v0
	v_sub_co_u32_e32 v2, vcc, v10, v24
	s_ashr_i32 s27, s26, 31
	v_subbrev_co_u32_e32 v3, vcc, 0, v11, vcc
	s_lshl_b64 s[12:13], s[26:27], 2
	v_mov_b32_e32 v15, s13
	v_add_co_u32_e32 v2, vcc, s12, v2
	v_addc_co_u32_e32 v3, vcc, v3, v15, vcc
	v_or_b32_e32 v1, 32, v0
	v_add_co_u32_e32 v2, vcc, 0xffffff7c, v2
	v_addc_co_u32_e32 v3, vcc, -1, v3, vcc
	v_cmp_gt_i32_e64 s[10:11], s26, v1
	v_cndmask_b32_e64 v3, v3, v11, s[10:11]
	v_cndmask_b32_e64 v2, v2, v10, s[10:11]
	v_cmp_gt_i32_e32 vcc, s26, v12
	v_mov_b32_e32 v22, 0
	v_mov_b32_e32 v1, 0
	s_and_saveexec_b64 s[14:15], vcc
	s_cbranch_execz .LBB87_56
; %bb.55:
	global_load_dword v1, v[2:3], off
.LBB87_56:
	s_or_b64 exec, exec, s[14:15]
	v_mad_u32_u24 v15, v12, 33, v0
	v_lshlrev_b32_e32 v0, 2, v15
	s_waitcnt vmcnt(0)
	ds_write_b32 v0, v1
	v_add_u32_e32 v1, 8, v12
	v_cmp_gt_i32_e32 vcc, s26, v1
	s_and_saveexec_b64 s[14:15], vcc
	s_cbranch_execz .LBB87_58
; %bb.57:
	s_lshl_b32 s16, s22, 3
	s_ashr_i32 s17, s16, 31
	s_lshl_b64 s[16:17], s[16:17], 2
	v_mov_b32_e32 v23, s17
	v_add_co_u32_e32 v22, vcc, s16, v2
	v_addc_co_u32_e32 v23, vcc, v3, v23, vcc
	global_load_dword v22, v[22:23], off
.LBB87_58:
	s_or_b64 exec, exec, s[14:15]
	s_waitcnt vmcnt(0)
	ds_write_b32 v0, v22 offset:1056
	v_add_u32_e32 v22, 16, v12
	v_cmp_gt_i32_e32 vcc, s26, v22
	v_mov_b32_e32 v28, 0
	v_mov_b32_e32 v23, 0
	s_and_saveexec_b64 s[14:15], vcc
	s_cbranch_execz .LBB87_60
; %bb.59:
	s_lshl_b32 s16, s22, 4
	s_ashr_i32 s17, s16, 31
	s_lshl_b64 s[16:17], s[16:17], 2
	v_mov_b32_e32 v23, s17
	v_add_co_u32_e32 v26, vcc, s16, v2
	v_addc_co_u32_e32 v27, vcc, v3, v23, vcc
	global_load_dword v23, v[26:27], off
.LBB87_60:
	s_or_b64 exec, exec, s[14:15]
	s_waitcnt vmcnt(0)
	ds_write_b32 v0, v23 offset:2112
	v_add_u32_e32 v23, 24, v12
	v_cmp_gt_i32_e32 vcc, s26, v23
	s_and_saveexec_b64 s[14:15], vcc
	s_cbranch_execz .LBB87_62
; %bb.61:
	s_mul_i32 s16, s22, 24
	s_ashr_i32 s17, s16, 31
	s_lshl_b64 s[16:17], s[16:17], 2
	v_mov_b32_e32 v12, s17
	v_add_co_u32_e32 v26, vcc, s16, v2
	v_addc_co_u32_e32 v27, vcc, v3, v12, vcc
	global_load_dword v28, v[26:27], off
.LBB87_62:
	s_or_b64 exec, exec, s[14:15]
	s_waitcnt vmcnt(0)
	ds_write_b32 v0, v28 offset:3168
	v_add_co_u32_e32 v0, vcc, v2, v24
	v_addc_co_u32_e32 v2, vcc, 0, v3, vcc
	v_mov_b32_e32 v3, s13
	v_subrev_co_u32_e32 v0, vcc, s12, v0
	v_subb_co_u32_e32 v2, vcc, v2, v3, vcc
	v_add_co_u32_e32 v0, vcc, 0x84, v0
	v_addc_co_u32_e32 v2, vcc, 0, v2, vcc
	v_add_u32_e32 v27, 0x108, v15
	v_add_u32_e32 v25, 0x210, v15
	;; [unrolled: 1-line block ×3, first 2 shown]
	v_cndmask_b32_e64 v11, v2, v11, s[10:11]
	v_cndmask_b32_e64 v10, v0, v10, s[10:11]
.LBB87_63:
	s_waitcnt lgkmcnt(0)
	s_barrier
	v_lshlrev_b32_e32 v0, 2, v15
	ds_read_b32 v24, v14 offset:4544
	v_lshlrev_b32_e32 v2, 2, v27
	ds_read_b32 v27, v0
	ds_read_b32 v28, v2
	v_lshlrev_b32_e32 v0, 2, v1
	v_lshlrev_b32_e32 v1, 2, v25
	v_lshlrev_b32_e32 v2, 2, v22
	v_lshlrev_b32_e32 v3, 2, v26
	v_lshlrev_b32_e32 v12, 2, v23
	ds_read_b32 v22, v0 offset:4544
	ds_read_b32 v23, v1
	ds_read_b32 v25, v2 offset:4544
	ds_read_b32 v26, v3
	ds_read_b32 v29, v12 offset:4544
	ds_read2_b32 v[14:15], v13 offset1:1
	ds_read_b128 v[0:3], v21 offset:128
	ds_read2_b32 v[12:13], v13 offset0:2 offset1:3
	s_waitcnt lgkmcnt(9)
	v_fma_f32 v21, v27, v24, 0
	s_waitcnt lgkmcnt(7)
	v_fmac_f32_e32 v21, v28, v22
	s_waitcnt lgkmcnt(5)
	v_fmac_f32_e32 v21, v23, v25
	s_waitcnt lgkmcnt(3)
	v_fmac_f32_e32 v21, v26, v29
	s_waitcnt lgkmcnt(0)
	s_barrier
	ds_write_b32 v20, v21
	s_waitcnt lgkmcnt(0)
	s_barrier
	s_and_saveexec_b64 s[10:11], s[8:9]
	s_cbranch_execz .LBB87_65
; %bb.64:
	v_lshlrev_b32_e32 v21, 2, v19
	ds_read2_b32 v[22:23], v21 offset1:1
	ds_read2_b32 v[24:25], v21 offset0:2 offset1:3
	ds_read2_b32 v[26:27], v21 offset0:4 offset1:5
	;; [unrolled: 1-line block ×3, first 2 shown]
	s_waitcnt lgkmcnt(3)
	v_add_f32_e32 v16, v16, v22
	v_add_f32_e32 v16, v16, v23
	s_waitcnt lgkmcnt(2)
	v_add_f32_e32 v16, v16, v24
	v_add_f32_e32 v16, v16, v25
	;; [unrolled: 3-line block ×4, first 2 shown]
.LBB87_65:
	s_or_b64 exec, exec, s[10:11]
	v_fma_f32 v0, v14, v0, 0
	v_fmac_f32_e32 v0, v15, v1
	v_fmac_f32_e32 v0, v12, v2
	v_fmac_f32_e32 v0, v13, v3
	s_barrier
	ds_write_b32 v20, v0
	s_waitcnt lgkmcnt(0)
	s_barrier
	s_and_saveexec_b64 s[8:9], s[20:21]
	s_cbranch_execz .LBB87_67
; %bb.66:
	v_lshlrev_b32_e32 v14, 2, v19
	ds_read2_b32 v[0:1], v14 offset1:1
	ds_read2_b32 v[2:3], v14 offset0:2 offset1:3
	ds_read2_b32 v[12:13], v14 offset0:4 offset1:5
	;; [unrolled: 1-line block ×3, first 2 shown]
	s_waitcnt lgkmcnt(3)
	v_add_f32_e32 v0, v16, v0
	v_add_f32_e32 v0, v0, v1
	s_waitcnt lgkmcnt(2)
	v_add_f32_e32 v0, v0, v2
	v_add_f32_e32 v0, v0, v3
	;; [unrolled: 3-line block ×4, first 2 shown]
.LBB87_67:
	s_or_b64 exec, exec, s[8:9]
	s_load_dwordx2 s[4:5], s[4:5], 0x60
	s_mul_hi_u32 s8, s24, s7
	s_mul_i32 s42, s42, s7
	s_add_i32 s8, s8, s42
	s_mul_i32 s7, s24, s7
	s_mul_i32 s8, s8, s33
	s_mul_hi_u32 s9, s7, s33
	s_add_i32 s9, s9, s8
	s_mul_i32 s8, s7, s33
	s_lshl_b64 s[8:9], s[8:9], 2
	s_waitcnt lgkmcnt(0)
	s_add_u32 s7, s4, s8
	s_mul_i32 s4, s6, s24
	s_addc_u32 s8, s5, s9
	s_ashr_i32 s5, s4, 31
	s_lshl_b64 s[4:5], s[4:5], 2
	s_add_u32 s7, s7, s4
	v_cmp_le_i32_e32 vcc, s26, v17
	s_addc_u32 s24, s8, s5
	s_and_b64 vcc, s[34:35], vcc
	s_cmp_lt_i32 s6, 1
	v_lshlrev_b32_e32 v12, 2, v17
	s_barrier
	s_cbranch_scc1 .LBB87_74
; %bb.68:
	s_mul_i32 s4, s28, s25
	s_ashr_i32 s5, s4, 31
	s_lshl_b64 s[4:5], s[4:5], 2
	v_mov_b32_e32 v0, s5
	v_subrev_co_u32_e64 v6, s[4:5], s4, v6
	v_subb_co_u32_e64 v7, s[4:5], v7, v0, s[4:5]
	v_mov_b32_e32 v0, s31
	v_subrev_co_u32_e64 v1, s[4:5], s30, v10
	v_subb_co_u32_e64 v0, s[4:5], v11, v0, s[4:5]
	v_sub_co_u32_e64 v2, s[4:5], v1, v8
	v_subb_co_u32_e64 v3, s[4:5], v0, v9, s[4:5]
	v_mul_lo_u32 v0, v5, s22
	v_lshl_add_u32 v0, v0, 2, v17
	v_ashrrev_i32_e32 v1, 31, v0
	v_lshlrev_b64 v[0:1], 2, v[0:1]
	v_add_co_u32_e64 v0, s[4:5], v2, v0
	v_addc_co_u32_e64 v2, s[4:5], v3, v1, s[4:5]
	s_movk_i32 s4, 0xff80
	v_add_co_u32_e64 v8, s[4:5], s4, v0
	v_addc_co_u32_e64 v3, s[4:5], -1, v2, s[4:5]
	v_sub_co_u32_e64 v0, s[4:5], v0, v12
	v_subbrev_co_u32_e64 v2, s[4:5], 0, v2, s[4:5]
	s_ashr_i32 s27, s26, 31
	s_lshl_b64 s[4:5], s[26:27], 2
	v_mov_b32_e32 v9, s5
	v_add_co_u32_e64 v0, s[4:5], s4, v0
	v_addc_co_u32_e64 v2, s[4:5], v2, v9, s[4:5]
	s_movk_i32 s4, 0xff7c
	v_add_co_u32_e64 v0, s[4:5], s4, v0
	v_addc_co_u32_e64 v2, s[4:5], -1, v2, s[4:5]
	v_cndmask_b32_e32 v3, v3, v2, vcc
	v_cndmask_b32_e32 v2, v8, v0, vcc
	v_lshrrev_b32_e32 v0, 2, v18
	v_and_b32_e32 v20, 48, v17
	v_and_b32_e32 v19, 15, v17
	;; [unrolled: 1-line block ×3, first 2 shown]
	v_lshlrev_b32_e32 v10, 2, v20
	s_movk_i32 s8, 0x10c
	v_or_b32_e32 v11, 60, v12
	v_and_b32_e32 v13, 0x1fff0, v18
	s_ashr_i32 s23, s22, 31
	s_movk_i32 s9, 0x430
	v_mad_u32_u24 v10, v19, s8, v10
	v_mad_u32_u24 v11, v19, s8, v11
	;; [unrolled: 1-line block ×3, first 2 shown]
	v_mov_b32_e32 v14, 0x10c0
	v_mad_u32_u24 v15, v5, s9, v12
	v_mad_u32_u24 v17, v19, s8, v0
	s_lshl_b64 s[10:11], s[22:23], 2
	s_lshl_b64 s[14:15], s[22:23], 3
	s_mul_hi_i32 s8, s22, 12
	s_mul_hi_i32 s9, s22, 0x48
	;; [unrolled: 1-line block ×10, first 2 shown]
	s_lshl_b64 s[16:17], s[22:23], 7
	s_mul_hi_i32 s45, s22, 0x44
	s_lshl_b64 s[18:19], s[22:23], 6
	v_mov_b32_e32 v1, 0
	s_lshl_b32 s25, s25, 6
	v_add_u32_e32 v8, 0x10c0, v12
	v_add_u32_e32 v9, 0x11c0, v12
	v_cmp_gt_u32_e64 s[4:5], 64, v18
	v_lshl_add_u32 v14, v5, 4, v14
	s_lshl_b64 s[12:13], s[22:23], 8
	s_mul_i32 s26, s22, 12
	s_mul_i32 s27, s22, 0x48
	s_mul_i32 s28, s22, 0x4c
	s_mul_i32 s29, s22, 0x88
	s_mul_i32 s30, s22, 0x8c
	s_mul_i32 s31, s22, 0xc8
	s_mul_i32 s33, s22, 0xcc
	s_mul_i32 s34, s22, 0xc4
	s_mul_i32 s35, s22, 0xc0
	s_mul_i32 s36, s22, 0x84
	s_mul_i32 s37, s22, 0x44
	v_or_b32_e32 v0, v20, v19
	s_mov_b32 s20, 0
	v_mov_b32_e32 v18, s11
	v_mov_b32_e32 v19, s15
	;; [unrolled: 1-line block ×15, first 2 shown]
	s_branch .LBB87_70
.LBB87_69:                              ;   in Loop: Header=BB87_70 Depth=1
	s_or_b64 exec, exec, s[22:23]
	v_fmac_f32_e32 v16, v33, v37
	v_fmac_f32_e32 v16, v34, v38
	;; [unrolled: 1-line block ×15, first 2 shown]
	v_mov_b32_e32 v33, s13
	v_add_co_u32_e64 v2, s[8:9], s12, v2
	s_add_i32 s6, s6, -1
	s_add_i32 s20, s20, s25
	v_fmac_f32_e32 v16, v59, v64
	v_addc_co_u32_e64 v3, s[8:9], v3, v33, s[8:9]
	s_cmp_eq_u32 s6, 0
	v_add_u32_e32 v0, 64, v0
	s_barrier
	s_cbranch_scc1 .LBB87_74
.LBB87_70:                              ; =>This Inner Loop Header: Depth=1
	s_and_saveexec_b64 s[22:23], s[2:3]
	s_cbranch_execz .LBB87_72
; %bb.71:                               ;   in Loop: Header=BB87_70 Depth=1
	s_ashr_i32 s21, s20, 31
	s_lshl_b64 s[8:9], s[20:21], 2
	v_mov_b32_e32 v33, s9
	v_add_co_u32_e64 v34, s[8:9], s8, v6
	v_addc_co_u32_e64 v35, s[8:9], v7, v33, s[8:9]
	global_load_dword v33, v[34:35], off
	s_waitcnt vmcnt(0)
	ds_write_b32 v8, v33
.LBB87_72:                              ;   in Loop: Header=BB87_70 Depth=1
	s_or_b64 exec, exec, s[22:23]
	v_add_co_u32_e64 v36, s[8:9], s10, v2
	v_addc_co_u32_e64 v37, s[8:9], v3, v18, s[8:9]
	v_add_co_u32_e64 v38, s[8:9], s14, v2
	v_addc_co_u32_e64 v39, s[8:9], v3, v19, s[8:9]
	s_waitcnt lgkmcnt(0)
	s_barrier
	global_load_dword v33, v[2:3], off
	global_load_dword v34, v[36:37], off
	;; [unrolled: 1-line block ×3, first 2 shown]
	v_add_co_u32_e64 v36, s[8:9], s26, v2
	v_addc_co_u32_e64 v37, s[8:9], v3, v20, s[8:9]
	global_load_dword v36, v[36:37], off
	ds_read_b32 v38, v9
	ds_read_b32 v37, v14
	v_add_co_u32_e64 v46, s[8:9], s18, v2
	v_addc_co_u32_e64 v47, s[8:9], v3, v21, s[8:9]
	v_add_co_u32_e64 v48, s[8:9], s37, v2
	v_addc_co_u32_e64 v49, s[8:9], v3, v22, s[8:9]
	;; [unrolled: 2-line block ×12, first 2 shown]
	s_waitcnt vmcnt(3) lgkmcnt(1)
	v_mul_f32_e32 v39, v33, v38
	ds_write_b32 v15, v39
	s_waitcnt vmcnt(2)
	v_mul_f32_e32 v39, v34, v38
	s_waitcnt vmcnt(1)
	v_mul_f32_e32 v40, v35, v38
	;; [unrolled: 2-line block ×3, first 2 shown]
	ds_read_b32 v38, v14 offset:4
	ds_write_b32 v15, v39 offset:268
	ds_read_b32 v39, v14 offset:8
	ds_write_b32 v15, v40 offset:536
	;; [unrolled: 2-line block ×3, first 2 shown]
	s_waitcnt lgkmcnt(0)
	s_barrier
	ds_read2_b32 v[62:63], v13 offset1:1
	ds_read2_b32 v[64:65], v13 offset0:2 offset1:3
	s_waitcnt lgkmcnt(0)
	s_barrier
	global_load_dword v44, v[46:47], off
	global_load_dword v42, v[48:49], off
	;; [unrolled: 1-line block ×4, first 2 shown]
	ds_read_b32 v46, v9
	ds_read_b32 v45, v14 offset:64
	s_waitcnt vmcnt(3) lgkmcnt(1)
	v_mul_f32_e32 v47, v44, v46
	s_waitcnt vmcnt(2)
	v_mul_f32_e32 v48, v42, v46
	ds_write_b32 v15, v47
	s_waitcnt vmcnt(1)
	v_mul_f32_e32 v49, v41, v46
	s_waitcnt vmcnt(0)
	v_mul_f32_e32 v50, v43, v46
	ds_read_b32 v46, v14 offset:68
	ds_write_b32 v15, v48 offset:268
	ds_read_b32 v47, v14 offset:72
	ds_write_b32 v15, v49 offset:536
	;; [unrolled: 2-line block ×3, first 2 shown]
	s_waitcnt lgkmcnt(0)
	s_barrier
	ds_read2_b32 v[66:67], v13 offset1:1
	ds_read2_b32 v[68:69], v13 offset0:2 offset1:3
	s_waitcnt lgkmcnt(0)
	s_barrier
	global_load_dword v52, v[54:55], off
	global_load_dword v50, v[56:57], off
	;; [unrolled: 1-line block ×4, first 2 shown]
	ds_read_b32 v54, v9
	ds_read_b32 v53, v14 offset:128
	v_add_f32_e32 v61, 0, v62
	v_add_f32_e32 v61, v61, v63
	;; [unrolled: 1-line block ×7, first 2 shown]
	s_waitcnt vmcnt(3) lgkmcnt(1)
	v_mul_f32_e32 v55, v52, v54
	s_waitcnt vmcnt(2)
	v_mul_f32_e32 v56, v50, v54
	ds_write_b32 v15, v55
	s_waitcnt vmcnt(1)
	v_mul_f32_e32 v57, v49, v54
	s_waitcnt vmcnt(0)
	v_mul_f32_e32 v58, v51, v54
	ds_read_b32 v54, v14 offset:132
	ds_write_b32 v15, v56 offset:268
	ds_read_b32 v55, v14 offset:136
	ds_write_b32 v15, v57 offset:536
	;; [unrolled: 2-line block ×3, first 2 shown]
	s_waitcnt lgkmcnt(0)
	s_barrier
	ds_read2_b32 v[78:79], v13 offset1:1
	ds_read2_b32 v[80:81], v13 offset0:2 offset1:3
	s_waitcnt lgkmcnt(0)
	s_barrier
	global_load_dword v60, v[70:71], off
	global_load_dword v58, v[72:73], off
	;; [unrolled: 1-line block ×4, first 2 shown]
	v_add_f32_e32 v70, v61, v69
	ds_read_b32 v62, v9
	ds_read_b32 v61, v14 offset:192
	v_add_f32_e32 v63, 0, v78
	v_add_f32_e32 v63, v63, v79
	;; [unrolled: 1-line block ×4, first 2 shown]
	s_waitcnt vmcnt(3) lgkmcnt(1)
	v_mul_f32_e32 v63, v60, v62
	s_waitcnt vmcnt(2)
	v_mul_f32_e32 v64, v58, v62
	ds_write_b32 v15, v63
	s_waitcnt vmcnt(1)
	v_mul_f32_e32 v66, v57, v62
	s_waitcnt vmcnt(0)
	v_mul_f32_e32 v67, v59, v62
	ds_read_b32 v62, v14 offset:196
	ds_write_b32 v15, v64 offset:268
	ds_read_b32 v63, v14 offset:200
	ds_write_b32 v15, v66 offset:536
	ds_read_b32 v64, v14 offset:204
	ds_write_b32 v15, v67 offset:804
	s_waitcnt lgkmcnt(0)
	s_barrier
	ds_read2_b32 v[66:67], v13 offset1:1
	ds_read2_b32 v[68:69], v13 offset0:2 offset1:3
	s_waitcnt lgkmcnt(0)
	s_barrier
	ds_write2_b32 v17, v65, v70 offset1:16
	v_add_f32_e32 v65, 0, v66
	v_add_f32_e32 v65, v65, v67
	;; [unrolled: 1-line block ×4, first 2 shown]
	ds_write2_b32 v17, v71, v65 offset0:32 offset1:48
	s_waitcnt lgkmcnt(0)
	s_barrier
	s_and_saveexec_b64 s[22:23], s[4:5]
	s_cbranch_execz .LBB87_69
; %bb.73:                               ;   in Loop: Header=BB87_70 Depth=1
	ds_read2_b32 v[66:67], v10 offset1:1
	ds_read2_b32 v[68:69], v10 offset0:2 offset1:3
	ds_read2_b32 v[70:71], v10 offset0:4 offset1:5
	;; [unrolled: 1-line block ×4, first 2 shown]
	s_waitcnt lgkmcnt(4)
	v_add_f32_e32 v65, v66, v67
	s_waitcnt lgkmcnt(3)
	v_add_f32_e32 v65, v65, v68
	v_add_f32_e32 v65, v65, v69
	s_waitcnt lgkmcnt(2)
	v_add_f32_e32 v65, v65, v70
	;; [unrolled: 3-line block ×3, first 2 shown]
	v_add_f32_e32 v65, v65, v73
	ds_read2_b32 v[66:67], v10 offset0:10 offset1:11
	ds_read2_b32 v[68:69], v10 offset0:12 offset1:13
	ds_read_b32 v70, v10 offset:56
	s_waitcnt lgkmcnt(3)
	v_add_f32_e32 v65, v65, v74
	v_add_f32_e32 v65, v65, v75
	s_waitcnt lgkmcnt(2)
	v_add_f32_e32 v65, v65, v66
	ds_read_b32 v66, v11
	v_add_f32_e32 v65, v65, v67
	s_waitcnt lgkmcnt(2)
	v_add_f32_e32 v65, v65, v68
	v_add_f32_e32 v65, v65, v69
	s_waitcnt lgkmcnt(1)
	v_add_f32_e32 v65, v65, v70
	s_waitcnt lgkmcnt(0)
	v_add_f32_e32 v65, v65, v66
	v_lshlrev_b64 v[66:67], 2, v[0:1]
	v_mov_b32_e32 v68, s24
	v_add_co_u32_e64 v66, s[8:9], s7, v66
	v_addc_co_u32_e64 v67, s[8:9], v68, v67, s[8:9]
	global_store_dword v[66:67], v65, off
	s_branch .LBB87_69
.LBB87_74:
	s_movk_i32 s2, 0x10c
	s_or_b64 s[0:1], s[0:1], vcc
	v_mad_u32_u24 v0, v5, s2, v12
	s_xor_b64 s[0:1], s[0:1], -1
	ds_write_b32 v0, v16
	s_waitcnt lgkmcnt(0)
	s_barrier
	s_and_saveexec_b64 s[2:3], s[0:1]
	s_cbranch_execz .LBB87_76
; %bb.75:
	ds_read2_b32 v[0:1], v12 offset1:67
	ds_read2_b32 v[2:3], v12 offset0:134 offset1:201
	v_ashrrev_i32_e32 v5, 31, v4
	v_lshlrev_b64 v[4:5], 2, v[4:5]
	v_mov_b32_e32 v6, s24
	s_waitcnt lgkmcnt(1)
	v_add_f32_e32 v0, v0, v1
	s_waitcnt lgkmcnt(0)
	v_add_f32_e32 v0, v0, v2
	v_add_f32_e32 v2, v0, v3
	v_add_co_u32_e32 v0, vcc, s7, v4
	v_addc_co_u32_e32 v1, vcc, v6, v5, vcc
	global_store_dword v[0:1], v2, off
.LBB87_76:
	s_endpgm
	.section	.rodata,"a",@progbits
	.p2align	6, 0x0
	.amdhsa_kernel _ZL26rocblas_hemvn_kernel_lowerILb0ELi64ELi4ELi33ELi32ELi16EifPKfPfEviT6_lT7_lT5_lS4_lS5_lS3_lT8_i
		.amdhsa_group_segment_fixed_size 4800
		.amdhsa_private_segment_fixed_size 0
		.amdhsa_kernarg_size 368
		.amdhsa_user_sgpr_count 6
		.amdhsa_user_sgpr_private_segment_buffer 1
		.amdhsa_user_sgpr_dispatch_ptr 0
		.amdhsa_user_sgpr_queue_ptr 0
		.amdhsa_user_sgpr_kernarg_segment_ptr 1
		.amdhsa_user_sgpr_dispatch_id 0
		.amdhsa_user_sgpr_flat_scratch_init 0
		.amdhsa_user_sgpr_kernarg_preload_length 0
		.amdhsa_user_sgpr_kernarg_preload_offset 0
		.amdhsa_user_sgpr_private_segment_size 0
		.amdhsa_uses_dynamic_stack 0
		.amdhsa_system_sgpr_private_segment_wavefront_offset 0
		.amdhsa_system_sgpr_workgroup_id_x 1
		.amdhsa_system_sgpr_workgroup_id_y 0
		.amdhsa_system_sgpr_workgroup_id_z 1
		.amdhsa_system_sgpr_workgroup_info 0
		.amdhsa_system_vgpr_workitem_id 1
		.amdhsa_next_free_vgpr 82
		.amdhsa_next_free_sgpr 46
		.amdhsa_accum_offset 84
		.amdhsa_reserve_vcc 1
		.amdhsa_reserve_flat_scratch 0
		.amdhsa_float_round_mode_32 0
		.amdhsa_float_round_mode_16_64 0
		.amdhsa_float_denorm_mode_32 3
		.amdhsa_float_denorm_mode_16_64 3
		.amdhsa_dx10_clamp 1
		.amdhsa_ieee_mode 1
		.amdhsa_fp16_overflow 0
		.amdhsa_tg_split 0
		.amdhsa_exception_fp_ieee_invalid_op 0
		.amdhsa_exception_fp_denorm_src 0
		.amdhsa_exception_fp_ieee_div_zero 0
		.amdhsa_exception_fp_ieee_overflow 0
		.amdhsa_exception_fp_ieee_underflow 0
		.amdhsa_exception_fp_ieee_inexact 0
		.amdhsa_exception_int_div_zero 0
	.end_amdhsa_kernel
	.section	.text._ZL26rocblas_hemvn_kernel_lowerILb0ELi64ELi4ELi33ELi32ELi16EifPKfPfEviT6_lT7_lT5_lS4_lS5_lS3_lT8_i,"axG",@progbits,_ZL26rocblas_hemvn_kernel_lowerILb0ELi64ELi4ELi33ELi32ELi16EifPKfPfEviT6_lT7_lT5_lS4_lS5_lS3_lT8_i,comdat
.Lfunc_end87:
	.size	_ZL26rocblas_hemvn_kernel_lowerILb0ELi64ELi4ELi33ELi32ELi16EifPKfPfEviT6_lT7_lT5_lS4_lS5_lS3_lT8_i, .Lfunc_end87-_ZL26rocblas_hemvn_kernel_lowerILb0ELi64ELi4ELi33ELi32ELi16EifPKfPfEviT6_lT7_lT5_lS4_lS5_lS3_lT8_i
                                        ; -- End function
	.section	.AMDGPU.csdata,"",@progbits
; Kernel info:
; codeLenInByte = 5820
; NumSgprs: 50
; NumVgprs: 82
; NumAgprs: 0
; TotalNumVgprs: 82
; ScratchSize: 0
; MemoryBound: 0
; FloatMode: 240
; IeeeMode: 1
; LDSByteSize: 4800 bytes/workgroup (compile time only)
; SGPRBlocks: 6
; VGPRBlocks: 10
; NumSGPRsForWavesPerEU: 50
; NumVGPRsForWavesPerEU: 82
; AccumOffset: 84
; Occupancy: 5
; WaveLimiterHint : 1
; COMPUTE_PGM_RSRC2:SCRATCH_EN: 0
; COMPUTE_PGM_RSRC2:USER_SGPR: 6
; COMPUTE_PGM_RSRC2:TRAP_HANDLER: 0
; COMPUTE_PGM_RSRC2:TGID_X_EN: 1
; COMPUTE_PGM_RSRC2:TGID_Y_EN: 0
; COMPUTE_PGM_RSRC2:TGID_Z_EN: 1
; COMPUTE_PGM_RSRC2:TIDIG_COMP_CNT: 1
; COMPUTE_PGM_RSRC3_GFX90A:ACCUM_OFFSET: 20
; COMPUTE_PGM_RSRC3_GFX90A:TG_SPLIT: 0
	.section	.text._ZL36rocblas_hemvn_kernel_lower_block_sumILi64EifPffEviT1_lS1_lT2_lT0_lPT3_i,"axG",@progbits,_ZL36rocblas_hemvn_kernel_lower_block_sumILi64EifPffEviT1_lS1_lT2_lT0_lPT3_i,comdat
	.globl	_ZL36rocblas_hemvn_kernel_lower_block_sumILi64EifPffEviT1_lS1_lT2_lT0_lPT3_i ; -- Begin function _ZL36rocblas_hemvn_kernel_lower_block_sumILi64EifPffEviT1_lS1_lT2_lT0_lPT3_i
	.p2align	8
	.type	_ZL36rocblas_hemvn_kernel_lower_block_sumILi64EifPffEviT1_lS1_lT2_lT0_lPT3_i,@function
_ZL36rocblas_hemvn_kernel_lower_block_sumILi64EifPffEviT1_lS1_lT2_lT0_lPT3_i: ; @_ZL36rocblas_hemvn_kernel_lower_block_sumILi64EifPffEviT1_lS1_lT2_lT0_lPT3_i
; %bb.0:
	s_load_dwordx2 s[2:3], s[4:5], 0x0
	s_load_dword s16, s[4:5], 0x10
	s_waitcnt lgkmcnt(0)
	v_cmp_eq_f32_e64 s[0:1], s3, 0
	v_cmp_eq_f32_e64 s[8:9], s16, 1.0
	s_and_b64 s[0:1], s[0:1], s[8:9]
	s_and_b64 vcc, exec, s[0:1]
	s_cbranch_vccnz .LBB88_19
; %bb.1:
	s_load_dwordx2 s[0:1], s[4:5], 0x38
	s_load_dwordx4 s[8:11], s[4:5], 0x20
	s_load_dword s17, s[4:5], 0x30
	v_lshl_or_b32 v2, s6, 6, v0
	s_waitcnt lgkmcnt(0)
	s_mul_i32 s1, s7, s1
	s_mul_hi_u32 s12, s7, s0
	s_mul_i32 s0, s7, s0
	s_add_i32 s1, s12, s1
	s_lshl_b64 s[0:1], s[0:1], 2
	s_add_u32 s8, s8, s0
	s_addc_u32 s9, s9, s1
	s_lshl_b64 s[0:1], s[10:11], 2
	s_add_u32 s14, s8, s0
	s_addc_u32 s15, s9, s1
	v_cmp_neq_f32_e64 s[0:1], s3, 0
	s_and_b64 vcc, exec, s[0:1]
	v_cmp_gt_i32_e64 s[0:1], s2, v2
	s_cbranch_vccnz .LBB88_6
; %bb.2:
	s_mov_b64 s[10:11], 0
	s_mov_b64 s[8:9], 0
                                        ; implicit-def: $vgpr3
                                        ; implicit-def: $vgpr0_vgpr1
	s_and_saveexec_b64 s[12:13], s[0:1]
	s_cbranch_execz .LBB88_7
; %bb.3:
	v_cmp_eq_f32_e64 s[0:1], s16, 0
	v_mul_lo_u32 v0, v2, s17
	v_mov_b32_e32 v3, 0
	v_ashrrev_i32_e32 v1, 31, v0
	s_and_b64 vcc, exec, s[0:1]
	s_cbranch_vccnz .LBB88_5
; %bb.4:
	v_lshlrev_b64 v[4:5], 2, v[0:1]
	v_mov_b32_e32 v3, s15
	v_add_co_u32_e32 v4, vcc, s14, v4
	v_addc_co_u32_e32 v5, vcc, v3, v5, vcc
	global_load_dword v3, v[4:5], off
	s_waitcnt vmcnt(0)
	v_mul_f32_e32 v3, s16, v3
.LBB88_5:
	s_mov_b64 s[8:9], exec
	s_or_b64 exec, exec, s[12:13]
	s_and_b64 vcc, exec, s[10:11]
	s_cbranch_vccnz .LBB88_8
	s_branch .LBB88_17
.LBB88_6:
	s_mov_b64 s[8:9], 0
                                        ; implicit-def: $vgpr3
                                        ; implicit-def: $vgpr0_vgpr1
	s_cbranch_execnz .LBB88_8
	s_branch .LBB88_17
.LBB88_7:
	s_or_b64 exec, exec, s[12:13]
	s_and_b64 vcc, exec, s[10:11]
	s_cbranch_vccz .LBB88_17
.LBB88_8:
	v_cmp_gt_i32_e32 vcc, s2, v2
                                        ; implicit-def: $vgpr3
                                        ; implicit-def: $vgpr0_vgpr1
	s_and_saveexec_b64 s[0:1], vcc
	s_cbranch_execz .LBB88_16
; %bb.9:
	s_load_dword s10, s[4:5], 0x50
	v_mov_b32_e32 v4, 0
	s_waitcnt lgkmcnt(0)
	s_cmp_ge_i32 s6, s10
	s_cbranch_scc1 .LBB88_12
; %bb.10:
	s_ashr_i32 s13, s2, 31
	s_mul_i32 s11, s6, s2
	s_load_dwordx2 s[4:5], s[4:5], 0x40
	v_add_u32_e32 v0, s11, v2
	s_mul_hi_u32 s11, s2, s7
	s_mul_i32 s18, s13, s7
	s_mov_b32 s12, s2
	s_add_i32 s11, s11, s18
	s_mul_i32 s2, s2, s7
	s_mul_i32 s11, s11, s10
	s_mul_hi_u32 s7, s2, s10
	s_add_i32 s19, s7, s11
	s_mul_i32 s18, s2, s10
	s_lshl_b64 s[18:19], s[18:19], 2
	v_ashrrev_i32_e32 v1, 31, v0
	s_waitcnt lgkmcnt(0)
	s_add_u32 s2, s4, s18
	v_lshlrev_b64 v[0:1], 2, v[0:1]
	s_addc_u32 s4, s5, s19
	v_mov_b32_e32 v3, s4
	v_add_co_u32_e32 v0, vcc, s2, v0
	s_lshl_b64 s[4:5], s[12:13], 2
	v_addc_co_u32_e32 v1, vcc, v3, v1, vcc
	v_mov_b32_e32 v4, 0
	v_mov_b32_e32 v3, s5
.LBB88_11:                              ; =>This Inner Loop Header: Depth=1
	global_load_dword v5, v[0:1], off
	s_add_i32 s6, s6, 1
	v_add_co_u32_e32 v0, vcc, s4, v0
	v_addc_co_u32_e32 v1, vcc, v1, v3, vcc
	s_cmp_ge_i32 s6, s10
	s_waitcnt vmcnt(0)
	v_add_f32_e32 v4, v4, v5
	s_cbranch_scc0 .LBB88_11
.LBB88_12:
	v_cmp_eq_f32_e64 s[4:5], s16, 0
	v_mul_lo_u32 v0, v2, s17
	s_and_b64 vcc, exec, s[4:5]
	v_ashrrev_i32_e32 v1, 31, v0
	s_cbranch_vccz .LBB88_20
; %bb.13:
	v_mul_f32_e32 v3, s3, v4
	s_cbranch_execnz .LBB88_15
.LBB88_14:
	v_lshlrev_b64 v[2:3], 2, v[0:1]
	v_mov_b32_e32 v5, s15
	v_add_co_u32_e32 v2, vcc, s14, v2
	v_addc_co_u32_e32 v3, vcc, v5, v3, vcc
	global_load_dword v2, v[2:3], off
	s_waitcnt vmcnt(0)
	v_mul_f32_e32 v3, s16, v2
	v_fmac_f32_e32 v3, s3, v4
.LBB88_15:
	s_or_b64 s[8:9], s[8:9], exec
.LBB88_16:
	s_or_b64 exec, exec, s[0:1]
.LBB88_17:
	s_and_saveexec_b64 s[0:1], s[8:9]
	s_cbranch_execz .LBB88_19
; %bb.18:
	v_lshlrev_b64 v[0:1], 2, v[0:1]
	v_mov_b32_e32 v2, s15
	v_add_co_u32_e32 v0, vcc, s14, v0
	v_addc_co_u32_e32 v1, vcc, v2, v1, vcc
	global_store_dword v[0:1], v3, off
.LBB88_19:
	s_endpgm
.LBB88_20:
                                        ; implicit-def: $vgpr3
	s_branch .LBB88_14
	.section	.rodata,"a",@progbits
	.p2align	6, 0x0
	.amdhsa_kernel _ZL36rocblas_hemvn_kernel_lower_block_sumILi64EifPffEviT1_lS1_lT2_lT0_lPT3_i
		.amdhsa_group_segment_fixed_size 0
		.amdhsa_private_segment_fixed_size 0
		.amdhsa_kernarg_size 336
		.amdhsa_user_sgpr_count 6
		.amdhsa_user_sgpr_private_segment_buffer 1
		.amdhsa_user_sgpr_dispatch_ptr 0
		.amdhsa_user_sgpr_queue_ptr 0
		.amdhsa_user_sgpr_kernarg_segment_ptr 1
		.amdhsa_user_sgpr_dispatch_id 0
		.amdhsa_user_sgpr_flat_scratch_init 0
		.amdhsa_user_sgpr_kernarg_preload_length 0
		.amdhsa_user_sgpr_kernarg_preload_offset 0
		.amdhsa_user_sgpr_private_segment_size 0
		.amdhsa_uses_dynamic_stack 0
		.amdhsa_system_sgpr_private_segment_wavefront_offset 0
		.amdhsa_system_sgpr_workgroup_id_x 1
		.amdhsa_system_sgpr_workgroup_id_y 0
		.amdhsa_system_sgpr_workgroup_id_z 1
		.amdhsa_system_sgpr_workgroup_info 0
		.amdhsa_system_vgpr_workitem_id 0
		.amdhsa_next_free_vgpr 6
		.amdhsa_next_free_sgpr 20
		.amdhsa_accum_offset 8
		.amdhsa_reserve_vcc 1
		.amdhsa_reserve_flat_scratch 0
		.amdhsa_float_round_mode_32 0
		.amdhsa_float_round_mode_16_64 0
		.amdhsa_float_denorm_mode_32 3
		.amdhsa_float_denorm_mode_16_64 3
		.amdhsa_dx10_clamp 1
		.amdhsa_ieee_mode 1
		.amdhsa_fp16_overflow 0
		.amdhsa_tg_split 0
		.amdhsa_exception_fp_ieee_invalid_op 0
		.amdhsa_exception_fp_denorm_src 0
		.amdhsa_exception_fp_ieee_div_zero 0
		.amdhsa_exception_fp_ieee_overflow 0
		.amdhsa_exception_fp_ieee_underflow 0
		.amdhsa_exception_fp_ieee_inexact 0
		.amdhsa_exception_int_div_zero 0
	.end_amdhsa_kernel
	.section	.text._ZL36rocblas_hemvn_kernel_lower_block_sumILi64EifPffEviT1_lS1_lT2_lT0_lPT3_i,"axG",@progbits,_ZL36rocblas_hemvn_kernel_lower_block_sumILi64EifPffEviT1_lS1_lT2_lT0_lPT3_i,comdat
.Lfunc_end88:
	.size	_ZL36rocblas_hemvn_kernel_lower_block_sumILi64EifPffEviT1_lS1_lT2_lT0_lPT3_i, .Lfunc_end88-_ZL36rocblas_hemvn_kernel_lower_block_sumILi64EifPffEviT1_lS1_lT2_lT0_lPT3_i
                                        ; -- End function
	.section	.AMDGPU.csdata,"",@progbits
; Kernel info:
; codeLenInByte = 584
; NumSgprs: 24
; NumVgprs: 6
; NumAgprs: 0
; TotalNumVgprs: 6
; ScratchSize: 0
; MemoryBound: 0
; FloatMode: 240
; IeeeMode: 1
; LDSByteSize: 0 bytes/workgroup (compile time only)
; SGPRBlocks: 2
; VGPRBlocks: 0
; NumSGPRsForWavesPerEU: 24
; NumVGPRsForWavesPerEU: 6
; AccumOffset: 8
; Occupancy: 8
; WaveLimiterHint : 0
; COMPUTE_PGM_RSRC2:SCRATCH_EN: 0
; COMPUTE_PGM_RSRC2:USER_SGPR: 6
; COMPUTE_PGM_RSRC2:TRAP_HANDLER: 0
; COMPUTE_PGM_RSRC2:TGID_X_EN: 1
; COMPUTE_PGM_RSRC2:TGID_Y_EN: 0
; COMPUTE_PGM_RSRC2:TGID_Z_EN: 1
; COMPUTE_PGM_RSRC2:TIDIG_COMP_CNT: 0
; COMPUTE_PGM_RSRC3_GFX90A:ACCUM_OFFSET: 1
; COMPUTE_PGM_RSRC3_GFX90A:TG_SPLIT: 0
	.section	.text._ZL50rocblas_symv_kernel_upper_double_buffered_diagonalILi32ELi4E24rocblas_internal_val_ptrIdEPKdPdEvbiT1_lT2_lllS6_lllS5_lT3_llli,"axG",@progbits,_ZL50rocblas_symv_kernel_upper_double_buffered_diagonalILi32ELi4E24rocblas_internal_val_ptrIdEPKdPdEvbiT1_lT2_lllS6_lllS5_lT3_llli,comdat
	.globl	_ZL50rocblas_symv_kernel_upper_double_buffered_diagonalILi32ELi4E24rocblas_internal_val_ptrIdEPKdPdEvbiT1_lT2_lllS6_lllS5_lT3_llli ; -- Begin function _ZL50rocblas_symv_kernel_upper_double_buffered_diagonalILi32ELi4E24rocblas_internal_val_ptrIdEPKdPdEvbiT1_lT2_lllS6_lllS5_lT3_llli
	.p2align	8
	.type	_ZL50rocblas_symv_kernel_upper_double_buffered_diagonalILi32ELi4E24rocblas_internal_val_ptrIdEPKdPdEvbiT1_lT2_lllS6_lllS5_lT3_llli,@function
_ZL50rocblas_symv_kernel_upper_double_buffered_diagonalILi32ELi4E24rocblas_internal_val_ptrIdEPKdPdEvbiT1_lT2_lllS6_lllS5_lT3_llli: ; @_ZL50rocblas_symv_kernel_upper_double_buffered_diagonalILi32ELi4E24rocblas_internal_val_ptrIdEPKdPdEvbiT1_lT2_lllS6_lllS5_lT3_llli
; %bb.0:
	s_load_dword s0, s[4:5], 0x0
	s_load_dwordx16 s[8:23], s[4:5], 0x8
	s_load_dwordx8 s[24:31], s[4:5], 0x48
	s_waitcnt lgkmcnt(0)
	s_bitcmp1_b32 s0, 0
	s_cselect_b64 s[2:3], -1, 0
	s_xor_b64 s[0:1], s[2:3], -1
	s_and_b64 vcc, exec, s[2:3]
	v_pk_mov_b32 v[2:3], s[8:9], s[8:9] op_sel:[0,1]
	s_cbranch_vccnz .LBB89_2
; %bb.1:
	s_mul_i32 s2, s7, s11
	s_mul_hi_u32 s3, s7, s10
	s_add_i32 s3, s3, s2
	s_mul_i32 s2, s7, s10
	s_lshl_b64 s[2:3], s[2:3], 3
	s_add_u32 s2, s8, s2
	s_addc_u32 s3, s9, s3
	v_pk_mov_b32 v[2:3], s[2:3], s[2:3] op_sel:[0,1]
	flat_load_dwordx2 v[2:3], v[2:3]
.LBB89_2:
	s_andn2_b64 vcc, exec, s[0:1]
	v_pk_mov_b32 v[4:5], s[28:29], s[28:29] op_sel:[0,1]
	s_cbranch_vccnz .LBB89_4
; %bb.3:
	s_mul_i32 s0, s7, s31
	s_mul_hi_u32 s1, s7, s30
	s_add_i32 s1, s1, s0
	s_mul_i32 s0, s7, s30
	s_lshl_b64 s[0:1], s[0:1], 3
	s_add_u32 s0, s28, s0
	s_addc_u32 s1, s29, s1
	v_pk_mov_b32 v[4:5], s[0:1], s[0:1] op_sel:[0,1]
	flat_load_dwordx2 v[4:5], v[4:5]
.LBB89_4:
	s_waitcnt vmcnt(0) lgkmcnt(0)
	v_cmp_neq_f64_e32 vcc, 0, v[2:3]
	v_cmp_neq_f64_e64 s[0:1], 1.0, v[4:5]
	s_or_b64 s[0:1], vcc, s[0:1]
	s_and_saveexec_b64 s[2:3], s[0:1]
	s_cbranch_execz .LBB89_34
; %bb.5:
	s_load_dwordx2 s[8:9], s[4:5], 0x80
	s_load_dwordx2 s[10:11], s[4:5], 0x68
	s_load_dwordx4 s[0:3], s[4:5], 0x70
	v_and_b32_e32 v14, 0x3ff, v0
	v_bfe_u32 v15, v0, 10, 10
	s_waitcnt lgkmcnt(0)
	s_mul_i32 s5, s7, s9
	s_mul_hi_u32 s9, s7, s8
	s_mul_i32 s4, s7, s8
	s_add_i32 s5, s9, s5
	s_lshl_b64 s[4:5], s[4:5], 3
	s_add_u32 s4, s10, s4
	s_addc_u32 s5, s11, s5
	s_lshl_b64 s[0:1], s[0:1], 3
	s_add_u32 s4, s4, s0
	s_addc_u32 s5, s5, s1
	s_lshl_b32 s6, s6, 5
	s_ashr_i32 s10, s6, 31
	s_mul_i32 s0, s6, s3
	s_mul_hi_u32 s1, s6, s2
	s_add_i32 s0, s1, s0
	s_mul_i32 s1, s10, s2
	s_add_i32 s1, s0, s1
	s_mul_i32 s0, s6, s2
	s_lshl_b64 s[0:1], s[0:1], 3
	s_add_u32 s28, s4, s0
	s_addc_u32 s29, s5, s1
	v_cmp_eq_f64_e32 vcc, 0, v[2:3]
	s_and_saveexec_b64 s[0:1], vcc
	s_xor_b64 s[0:1], exec, s[0:1]
	s_cbranch_execz .LBB89_9
; %bb.6:
	v_cmp_eq_u32_e32 vcc, 0, v15
	s_and_saveexec_b64 s[4:5], vcc
	s_cbranch_execz .LBB89_8
; %bb.7:
	v_mad_u64_u32 v[0:1], s[8:9], v14, s2, 0
	v_mov_b32_e32 v2, v1
	v_mad_u64_u32 v[2:3], s[8:9], v14, s3, v[2:3]
	v_mov_b32_e32 v1, v2
	v_lshlrev_b64 v[0:1], 3, v[0:1]
	v_mov_b32_e32 v2, s29
	v_add_co_u32_e32 v0, vcc, s28, v0
	v_addc_co_u32_e32 v1, vcc, v2, v1, vcc
	global_load_dwordx2 v[2:3], v[0:1], off
	s_waitcnt vmcnt(0)
	v_mul_f64 v[2:3], v[4:5], v[2:3]
	global_store_dwordx2 v[0:1], v[2:3], off
.LBB89_8:
	s_or_b64 exec, exec, s[4:5]
                                        ; implicit-def: $vgpr15
                                        ; implicit-def: $vgpr2_vgpr3
                                        ; implicit-def: $vgpr4_vgpr5
                                        ; implicit-def: $vgpr14
.LBB89_9:
	s_andn2_saveexec_b64 s[0:1], s[0:1]
	s_cbranch_execz .LBB89_34
; %bb.10:
	v_cmp_eq_u32_e32 vcc, 0, v15
	v_pk_mov_b32 v[0:1], 0, 0
	s_and_saveexec_b64 s[4:5], vcc
	s_cbranch_execz .LBB89_14
; %bb.11:
	v_cmp_neq_f64_e64 s[0:1], 0, v[4:5]
	v_pk_mov_b32 v[0:1], 0, 0
	s_and_saveexec_b64 s[8:9], s[0:1]
	s_cbranch_execz .LBB89_13
; %bb.12:
	v_mad_u64_u32 v[0:1], s[0:1], v14, s2, 0
	v_mov_b32_e32 v6, v1
	v_mad_u64_u32 v[6:7], s[0:1], v14, s3, v[6:7]
	v_mov_b32_e32 v1, v6
	v_lshlrev_b64 v[0:1], 3, v[0:1]
	v_mov_b32_e32 v6, s29
	v_add_co_u32_e64 v0, s[0:1], s28, v0
	v_addc_co_u32_e64 v1, s[0:1], v6, v1, s[0:1]
	global_load_dwordx2 v[0:1], v[0:1], off
	s_waitcnt vmcnt(0)
	v_mul_f64 v[0:1], v[4:5], v[0:1]
.LBB89_13:
	s_or_b64 exec, exec, s[8:9]
	s_mul_i32 s0, s7, s27
	s_mul_hi_u32 s1, s7, s26
	s_add_i32 s1, s1, s0
	s_mul_i32 s0, s7, s26
	s_lshl_b64 s[0:1], s[0:1], 3
	s_add_u32 s8, s20, s0
	s_addc_u32 s9, s21, s1
	s_lshl_b64 s[0:1], s[22:23], 3
	s_add_u32 s8, s8, s0
	s_addc_u32 s9, s9, s1
	s_mul_i32 s0, s6, s25
	s_mul_hi_u32 s1, s6, s24
	s_add_i32 s0, s1, s0
	s_mul_i32 s1, s10, s24
	s_add_i32 s1, s0, s1
	s_mul_i32 s0, s6, s24
	s_lshl_b64 s[0:1], s[0:1], 3
	s_add_u32 s8, s8, s0
	s_addc_u32 s9, s9, s1
	v_mad_u64_u32 v[6:7], s[0:1], v14, s24, 0
	v_mov_b32_e32 v8, v7
	v_mad_u64_u32 v[8:9], s[0:1], v14, s25, v[8:9]
	v_mov_b32_e32 v7, v8
	v_lshlrev_b64 v[6:7], 3, v[6:7]
	v_mov_b32_e32 v8, s9
	v_add_co_u32_e64 v6, s[0:1], s8, v6
	v_addc_co_u32_e64 v7, s[0:1], v8, v7, s[0:1]
	global_load_dwordx2 v[6:7], v[6:7], off
	v_lshlrev_b32_e32 v8, 3, v14
	s_waitcnt vmcnt(0)
	ds_write_b64 v8, v[6:7] offset:10240
.LBB89_14:
	s_or_b64 exec, exec, s[4:5]
	s_mul_i32 s0, s7, s19
	s_mul_hi_u32 s1, s7, s18
	s_add_i32 s1, s1, s0
	s_mul_i32 s0, s7, s18
	s_lshl_b64 s[0:1], s[0:1], 3
	s_add_u32 s4, s12, s0
	s_addc_u32 s5, s13, s1
	s_lshl_b64 s[0:1], s[14:15], 3
	s_add_u32 s4, s4, s0
	s_addc_u32 s5, s5, s1
	s_add_u32 s0, s16, 1
	s_addc_u32 s1, s17, 0
	s_mul_i32 s7, s0, s10
	s_mul_hi_u32 s8, s0, s6
	s_add_i32 s7, s8, s7
	s_mul_i32 s1, s1, s6
	s_add_i32 s1, s7, s1
	s_mul_i32 s0, s0, s6
	s_lshl_b64 s[0:1], s[0:1], 3
	s_add_u32 s4, s4, s0
	s_addc_u32 s5, s5, s1
	v_mad_u64_u32 v[6:7], s[0:1], v15, s16, 0
	v_mov_b32_e32 v8, v7
	v_mad_u64_u32 v[8:9], s[0:1], v15, s17, v[8:9]
	v_mov_b32_e32 v7, v8
	v_lshlrev_b64 v[6:7], 3, v[6:7]
	v_mov_b32_e32 v8, s5
	v_add_co_u32_e64 v6, s[0:1], s4, v6
	v_addc_co_u32_e64 v7, s[0:1], v8, v7, s[0:1]
	v_lshlrev_b32_e32 v16, 3, v14
	v_add_co_u32_e64 v6, s[0:1], v6, v16
	v_addc_co_u32_e64 v7, s[0:1], 0, v7, s[0:1]
	v_cmp_lt_u32_e64 s[0:1], 15, v14
	s_mul_i32 s12, s17, 12
	s_mul_hi_u32 s13, s16, 12
	s_mul_i32 s4, s16, 12
                                        ; implicit-def: $sgpr8_sgpr9
                                        ; implicit-def: $sgpr10_sgpr11
	s_and_saveexec_b64 s[6:7], s[0:1]
	s_xor_b64 s[0:1], exec, s[6:7]
; %bb.15:
	s_lshl_b64 s[8:9], s[16:17], 2
	s_lshl_b64 s[10:11], s[16:17], 3
	s_add_i32 s5, s13, s12
; %bb.16:
	s_or_saveexec_b64 s[6:7], s[0:1]
	v_lshlrev_b32_e32 v17, 5, v15
	v_pk_mov_b32 v[8:9], s[4:5], s[4:5] op_sel:[0,1]
	v_pk_mov_b32 v[10:11], s[10:11], s[10:11] op_sel:[0,1]
	;; [unrolled: 1-line block ×3, first 2 shown]
	s_xor_b64 exec, exec, s[6:7]
	s_cbranch_execz .LBB89_18
; %bb.17:
	s_lshl_b64 s[8:9], s[16:17], 5
	v_mov_b32_e32 v10, s9
	v_add_co_u32_e64 v8, s[0:1], s8, v6
	v_addc_co_u32_e64 v9, s[0:1], v7, v10, s[0:1]
	global_load_dwordx2 v[12:13], v[6:7], off
	global_load_dwordx2 v[18:19], v[8:9], off
	v_add_co_u32_e64 v8, s[0:1], s8, v8
	v_addc_co_u32_e64 v9, s[0:1], v9, v10, s[0:1]
	global_load_dwordx2 v[20:21], v[8:9], off
	v_add_co_u32_e64 v8, s[0:1], s8, v8
	v_addc_co_u32_e64 v9, s[0:1], v9, v10, s[0:1]
	global_load_dwordx2 v[22:23], v[8:9], off
	v_or_b32_e32 v8, v17, v14
	s_lshl_b64 s[0:1], s[16:17], 2
	s_lshl_b64 s[8:9], s[16:17], 3
	s_add_i32 s5, s13, s12
	v_lshlrev_b32_e32 v24, 3, v8
	v_pk_mov_b32 v[8:9], s[4:5], s[4:5] op_sel:[0,1]
	v_pk_mov_b32 v[10:11], s[8:9], s[8:9] op_sel:[0,1]
	s_waitcnt vmcnt(2)
	ds_write2st64_b64 v24, v[12:13], v[18:19] offset1:2
	s_waitcnt vmcnt(0)
	ds_write2st64_b64 v24, v[20:21], v[22:23] offset0:4 offset1:6
	v_pk_mov_b32 v[12:13], s[0:1], s[0:1] op_sel:[0,1]
.LBB89_18:
	s_or_b64 exec, exec, s[6:7]
	s_lshl_b64 s[0:1], s[16:17], 7
	v_mov_b32_e32 v18, s1
	v_add_co_u32_e64 v6, s[0:1], s0, v6
	v_addc_co_u32_e64 v7, s[0:1], v7, v18, s[0:1]
	v_lshlrev_b64 v[12:13], 3, v[12:13]
	v_add_co_u32_e64 v12, s[0:1], v6, v12
	v_addc_co_u32_e64 v13, s[0:1], v7, v13, s[0:1]
	v_lshlrev_b64 v[10:11], 3, v[10:11]
	v_add_co_u32_e64 v10, s[0:1], v6, v10
	v_addc_co_u32_e64 v11, s[0:1], v7, v11, s[0:1]
	v_lshlrev_b64 v[8:9], 3, v[8:9]
	global_load_dwordx2 v[18:19], v[6:7], off
	v_add_co_u32_e64 v6, s[0:1], v6, v8
	v_addc_co_u32_e64 v7, s[0:1], v7, v9, s[0:1]
	global_load_dwordx2 v[8:9], v[12:13], off
	global_load_dwordx2 v[20:21], v[10:11], off
	;; [unrolled: 1-line block ×3, first 2 shown]
	v_sub_u32_e32 v10, v14, v15
	v_sub_u32_e32 v12, 0, v10
	v_add_lshl_u32 v7, v17, v14, 3
	v_lshlrev_b32_e32 v11, 5, v14
	v_max_i32_e32 v12, v10, v12
	v_add_u32_e32 v6, 0x1000, v7
	v_cmp_lt_u32_e64 s[0:1], 16, v12
	v_add_lshl_u32 v11, v15, v11, 3
	s_waitcnt vmcnt(2)
	ds_write2st64_b64 v7, v[18:19], v[8:9] offset0:8 offset1:10
	s_waitcnt vmcnt(0)
	ds_write2st64_b64 v7, v[20:21], v[22:23] offset0:12 offset1:14
	s_waitcnt lgkmcnt(0)
	s_barrier
	s_and_saveexec_b64 s[4:5], s[0:1]
	s_cbranch_execz .LBB89_20
; %bb.19:
	ds_read_b64 v[8:9], v11 offset:128
	s_waitcnt lgkmcnt(0)
	ds_write_b64 v6, v[8:9]
.LBB89_20:
	s_or_b64 exec, exec, s[4:5]
	v_add_u32_e32 v8, 0x1400, v7
	v_cmp_lt_u32_e64 s[0:1], 20, v12
	s_and_saveexec_b64 s[4:5], s[0:1]
	s_cbranch_execz .LBB89_22
; %bb.21:
	ds_read_b64 v[18:19], v11 offset:160
	s_waitcnt lgkmcnt(0)
	ds_write_b64 v8, v[18:19]
.LBB89_22:
	s_or_b64 exec, exec, s[4:5]
	v_add_u32_e32 v9, 0x1800, v7
	v_cmp_lt_u32_e64 s[0:1], 24, v12
	;; [unrolled: 10-line block ×3, first 2 shown]
	s_and_saveexec_b64 s[4:5], s[0:1]
	s_cbranch_execz .LBB89_26
; %bb.25:
	ds_read_b64 v[18:19], v11 offset:224
	s_waitcnt lgkmcnt(0)
	ds_write_b64 v10, v[18:19]
.LBB89_26:
	s_or_b64 exec, exec, s[4:5]
	v_add_u32_e32 v13, v17, v14
	v_cmp_ge_u32_e64 s[0:1], v14, v15
	v_lshlrev_b32_e32 v13, 3, v13
	s_and_saveexec_b64 s[4:5], s[0:1]
	s_cbranch_execnz .LBB89_35
; %bb.27:
	s_or_b64 exec, exec, s[4:5]
	v_cmp_lt_u32_e64 s[0:1], 4, v12
	s_and_saveexec_b64 s[4:5], s[0:1]
	s_cbranch_execnz .LBB89_36
.LBB89_28:
	s_or_b64 exec, exec, s[4:5]
	v_cmp_lt_u32_e64 s[0:1], 8, v12
	s_and_saveexec_b64 s[4:5], s[0:1]
	s_cbranch_execz .LBB89_30
.LBB89_29:
	ds_read_b64 v[18:19], v11 offset:64
	s_waitcnt lgkmcnt(0)
	ds_write_b64 v7, v[18:19] offset:2048
.LBB89_30:
	s_or_b64 exec, exec, s[4:5]
	s_movk_i32 s4, 0x180
	v_cmp_lt_u32_e64 s[0:1], 12, v12
	v_add3_u32 v12, v17, v14, s4
	v_lshlrev_b32_e32 v12, 3, v12
	s_and_saveexec_b64 s[4:5], s[0:1]
	s_cbranch_execz .LBB89_32
; %bb.31:
	ds_read_b64 v[18:19], v11 offset:96
	s_waitcnt lgkmcnt(0)
	ds_write_b64 v12, v[18:19]
.LBB89_32:
	s_or_b64 exec, exec, s[4:5]
	v_lshlrev_b32_e32 v11, 3, v15
	v_add_u32_e32 v11, 0x2800, v11
	s_waitcnt lgkmcnt(0)
	s_barrier
	ds_read2_b64 v[18:21], v11 offset1:4
	ds_read_b64 v[30:31], v13
	ds_read2st64_b64 v[22:25], v7 offset0:2 offset1:4
	ds_read2_b64 v[26:29], v11 offset0:8 offset1:12
	ds_read_b64 v[32:33], v12
	s_waitcnt lgkmcnt(3)
	v_fma_f64 v[30:31], v[30:31], v[18:19], 0
	s_waitcnt lgkmcnt(2)
	v_fmac_f64_e32 v[30:31], v[22:23], v[20:21]
	s_waitcnt lgkmcnt(1)
	v_fmac_f64_e32 v[30:31], v[24:25], v[26:27]
	ds_read2_b64 v[18:21], v11 offset0:16 offset1:20
	ds_read2_b64 v[22:25], v11 offset0:24 offset1:28
	ds_read_b64 v[6:7], v6
	ds_read_b64 v[26:27], v8
	;; [unrolled: 1-line block ×4, first 2 shown]
	s_waitcnt lgkmcnt(6)
	v_fmac_f64_e32 v[30:31], v[32:33], v[28:29]
	s_waitcnt lgkmcnt(3)
	v_fmac_f64_e32 v[30:31], v[6:7], v[18:19]
	;; [unrolled: 2-line block ×5, first 2 shown]
	ds_write_b64 v13, v[30:31] offset:8192
	s_waitcnt lgkmcnt(0)
	s_barrier
	s_and_saveexec_b64 s[0:1], vcc
	s_cbranch_execz .LBB89_34
; %bb.33:
	v_add_u32_e32 v10, 0x2000, v16
	ds_read2_b64 v[6:9], v10 offset1:32
	ds_read2_b64 v[10:13], v10 offset0:64 offset1:96
	v_cmp_neq_f64_e32 vcc, 0, v[4:5]
	s_waitcnt lgkmcnt(1)
	v_add_f64 v[6:7], v[6:7], 0
	v_add_f64 v[6:7], v[6:7], v[8:9]
	s_waitcnt lgkmcnt(0)
	v_add_f64 v[6:7], v[6:7], v[10:11]
	v_add_f64 v[6:7], v[6:7], v[12:13]
	v_mul_f64 v[8:9], v[2:3], v[6:7]
	v_fmac_f64_e32 v[0:1], v[2:3], v[6:7]
	v_mad_u64_u32 v[2:3], s[0:1], v14, s2, 0
	v_mov_b32_e32 v4, v3
	v_mad_u64_u32 v[4:5], s[0:1], v14, s3, v[4:5]
	v_mov_b32_e32 v3, v4
	v_lshlrev_b64 v[2:3], 3, v[2:3]
	v_cndmask_b32_e32 v1, v9, v1, vcc
	v_cndmask_b32_e32 v0, v8, v0, vcc
	v_mov_b32_e32 v4, s29
	v_add_co_u32_e32 v2, vcc, s28, v2
	v_addc_co_u32_e32 v3, vcc, v4, v3, vcc
	global_store_dwordx2 v[2:3], v[0:1], off
.LBB89_34:
	s_endpgm
.LBB89_35:
	ds_read_b64 v[18:19], v11
	s_waitcnt lgkmcnt(0)
	ds_write_b64 v13, v[18:19]
	s_or_b64 exec, exec, s[4:5]
	v_cmp_lt_u32_e64 s[0:1], 4, v12
	s_and_saveexec_b64 s[4:5], s[0:1]
	s_cbranch_execz .LBB89_28
.LBB89_36:
	ds_read_b64 v[18:19], v11 offset:32
	s_waitcnt lgkmcnt(0)
	ds_write_b64 v7, v[18:19] offset:1024
	s_or_b64 exec, exec, s[4:5]
	v_cmp_lt_u32_e64 s[0:1], 8, v12
	s_and_saveexec_b64 s[4:5], s[0:1]
	s_cbranch_execnz .LBB89_29
	s_branch .LBB89_30
	.section	.rodata,"a",@progbits
	.p2align	6, 0x0
	.amdhsa_kernel _ZL50rocblas_symv_kernel_upper_double_buffered_diagonalILi32ELi4E24rocblas_internal_val_ptrIdEPKdPdEvbiT1_lT2_lllS6_lllS5_lT3_llli
		.amdhsa_group_segment_fixed_size 10496
		.amdhsa_private_segment_fixed_size 0
		.amdhsa_kernarg_size 140
		.amdhsa_user_sgpr_count 6
		.amdhsa_user_sgpr_private_segment_buffer 1
		.amdhsa_user_sgpr_dispatch_ptr 0
		.amdhsa_user_sgpr_queue_ptr 0
		.amdhsa_user_sgpr_kernarg_segment_ptr 1
		.amdhsa_user_sgpr_dispatch_id 0
		.amdhsa_user_sgpr_flat_scratch_init 0
		.amdhsa_user_sgpr_kernarg_preload_length 0
		.amdhsa_user_sgpr_kernarg_preload_offset 0
		.amdhsa_user_sgpr_private_segment_size 0
		.amdhsa_uses_dynamic_stack 0
		.amdhsa_system_sgpr_private_segment_wavefront_offset 0
		.amdhsa_system_sgpr_workgroup_id_x 1
		.amdhsa_system_sgpr_workgroup_id_y 0
		.amdhsa_system_sgpr_workgroup_id_z 1
		.amdhsa_system_sgpr_workgroup_info 0
		.amdhsa_system_vgpr_workitem_id 1
		.amdhsa_next_free_vgpr 34
		.amdhsa_next_free_sgpr 32
		.amdhsa_accum_offset 36
		.amdhsa_reserve_vcc 1
		.amdhsa_reserve_flat_scratch 0
		.amdhsa_float_round_mode_32 0
		.amdhsa_float_round_mode_16_64 0
		.amdhsa_float_denorm_mode_32 3
		.amdhsa_float_denorm_mode_16_64 3
		.amdhsa_dx10_clamp 1
		.amdhsa_ieee_mode 1
		.amdhsa_fp16_overflow 0
		.amdhsa_tg_split 0
		.amdhsa_exception_fp_ieee_invalid_op 0
		.amdhsa_exception_fp_denorm_src 0
		.amdhsa_exception_fp_ieee_div_zero 0
		.amdhsa_exception_fp_ieee_overflow 0
		.amdhsa_exception_fp_ieee_underflow 0
		.amdhsa_exception_fp_ieee_inexact 0
		.amdhsa_exception_int_div_zero 0
	.end_amdhsa_kernel
	.section	.text._ZL50rocblas_symv_kernel_upper_double_buffered_diagonalILi32ELi4E24rocblas_internal_val_ptrIdEPKdPdEvbiT1_lT2_lllS6_lllS5_lT3_llli,"axG",@progbits,_ZL50rocblas_symv_kernel_upper_double_buffered_diagonalILi32ELi4E24rocblas_internal_val_ptrIdEPKdPdEvbiT1_lT2_lllS6_lllS5_lT3_llli,comdat
.Lfunc_end89:
	.size	_ZL50rocblas_symv_kernel_upper_double_buffered_diagonalILi32ELi4E24rocblas_internal_val_ptrIdEPKdPdEvbiT1_lT2_lllS6_lllS5_lT3_llli, .Lfunc_end89-_ZL50rocblas_symv_kernel_upper_double_buffered_diagonalILi32ELi4E24rocblas_internal_val_ptrIdEPKdPdEvbiT1_lT2_lllS6_lllS5_lT3_llli
                                        ; -- End function
	.section	.AMDGPU.csdata,"",@progbits
; Kernel info:
; codeLenInByte = 2056
; NumSgprs: 36
; NumVgprs: 34
; NumAgprs: 0
; TotalNumVgprs: 34
; ScratchSize: 0
; MemoryBound: 0
; FloatMode: 240
; IeeeMode: 1
; LDSByteSize: 10496 bytes/workgroup (compile time only)
; SGPRBlocks: 4
; VGPRBlocks: 4
; NumSGPRsForWavesPerEU: 36
; NumVGPRsForWavesPerEU: 34
; AccumOffset: 36
; Occupancy: 3
; WaveLimiterHint : 0
; COMPUTE_PGM_RSRC2:SCRATCH_EN: 0
; COMPUTE_PGM_RSRC2:USER_SGPR: 6
; COMPUTE_PGM_RSRC2:TRAP_HANDLER: 0
; COMPUTE_PGM_RSRC2:TGID_X_EN: 1
; COMPUTE_PGM_RSRC2:TGID_Y_EN: 0
; COMPUTE_PGM_RSRC2:TGID_Z_EN: 1
; COMPUTE_PGM_RSRC2:TIDIG_COMP_CNT: 1
; COMPUTE_PGM_RSRC3_GFX90A:ACCUM_OFFSET: 8
; COMPUTE_PGM_RSRC3_GFX90A:TG_SPLIT: 0
	.section	.text._ZL54rocblas_symv_kernel_upper_double_buffered_non_diagonalILi32ELi4ELi4E24rocblas_internal_val_ptrIdEPKdPdEvbiT2_lT3_lllS6_lllT4_llli,"axG",@progbits,_ZL54rocblas_symv_kernel_upper_double_buffered_non_diagonalILi32ELi4ELi4E24rocblas_internal_val_ptrIdEPKdPdEvbiT2_lT3_lllS6_lllT4_llli,comdat
	.globl	_ZL54rocblas_symv_kernel_upper_double_buffered_non_diagonalILi32ELi4ELi4E24rocblas_internal_val_ptrIdEPKdPdEvbiT2_lT3_lllS6_lllT4_llli ; -- Begin function _ZL54rocblas_symv_kernel_upper_double_buffered_non_diagonalILi32ELi4ELi4E24rocblas_internal_val_ptrIdEPKdPdEvbiT2_lT3_lllS6_lllT4_llli
	.p2align	8
	.type	_ZL54rocblas_symv_kernel_upper_double_buffered_non_diagonalILi32ELi4ELi4E24rocblas_internal_val_ptrIdEPKdPdEvbiT2_lT3_lllS6_lllT4_llli,@function
_ZL54rocblas_symv_kernel_upper_double_buffered_non_diagonalILi32ELi4ELi4E24rocblas_internal_val_ptrIdEPKdPdEvbiT2_lT3_lllS6_lllT4_llli: ; @_ZL54rocblas_symv_kernel_upper_double_buffered_non_diagonalILi32ELi4ELi4E24rocblas_internal_val_ptrIdEPKdPdEvbiT2_lT3_lllS6_lllT4_llli
; %bb.0:
	s_load_dword s0, s[4:5], 0x0
	s_load_dwordx16 s[12:27], s[4:5], 0x8
	s_waitcnt lgkmcnt(0)
	s_bitcmp1_b32 s0, 0
	s_cselect_b64 s[0:1], -1, 0
	s_and_b64 vcc, exec, s[0:1]
	v_pk_mov_b32 v[8:9], s[12:13], s[12:13] op_sel:[0,1]
	s_cbranch_vccnz .LBB90_2
; %bb.1:
	s_mul_i32 s0, s8, s15
	s_mul_hi_u32 s1, s8, s14
	s_add_i32 s1, s1, s0
	s_mul_i32 s0, s8, s14
	s_lshl_b64 s[0:1], s[0:1], 3
	s_add_u32 s0, s12, s0
	s_addc_u32 s1, s13, s1
	v_pk_mov_b32 v[2:3], s[0:1], s[0:1] op_sel:[0,1]
	flat_load_dwordx2 v[8:9], v[2:3]
.LBB90_2:
	s_waitcnt vmcnt(0) lgkmcnt(0)
	v_cmp_neq_f64_e32 vcc, 0, v[8:9]
	s_and_saveexec_b64 s[0:1], vcc
	s_cbranch_execz .LBB90_22
; %bb.3:
	s_load_dword s11, s[4:5], 0x84
	s_cmp_eq_u32 s6, 0
	s_waitcnt lgkmcnt(0)
	v_cvt_f32_u32_e32 v1, s11
	v_rcp_iflag_f32_e32 v1, v1
	v_mul_f32_e32 v1, 0x4f7ffffe, v1
	v_cvt_u32_f32_e32 v1, v1
	v_readfirstlane_b32 s0, v1
	s_cbranch_scc1 .LBB90_22
; %bb.4:
	s_load_dwordx4 s[28:31], s[4:5], 0x48
	s_sub_i32 s1, 0, s11
	s_mul_i32 s1, s1, s0
	s_mul_hi_u32 s1, s0, s1
	s_add_i32 s0, s0, s1
	s_mul_hi_u32 s12, s6, s0
	s_waitcnt lgkmcnt(0)
	s_mul_i32 s0, s8, s31
	s_mul_hi_u32 s1, s8, s30
	s_add_i32 s1, s1, s0
	s_mul_i32 s0, s8, s30
	s_lshl_b64 s[0:1], s[0:1], 3
	s_add_u32 s2, s24, s0
	s_addc_u32 s3, s25, s1
	s_lshl_b64 s[0:1], s[26:27], 3
	s_add_u32 s9, s2, s0
	s_addc_u32 s10, s3, s1
	v_and_b32_e32 v68, 0x3ff, v0
	v_bfe_u32 v0, v0, 10, 10
	s_lshl_b32 s24, s6, 5
	s_ashr_i32 s25, s24, 31
	v_cmp_eq_u32_e32 vcc, 0, v0
	s_and_saveexec_b64 s[2:3], vcc
	s_cbranch_execz .LBB90_6
; %bb.5:
	s_mul_i32 s0, s24, s29
	s_mul_hi_u32 s1, s24, s28
	s_add_i32 s0, s1, s0
	s_mul_i32 s1, s25, s28
	s_add_i32 s1, s0, s1
	s_mul_i32 s0, s24, s28
	s_lshl_b64 s[0:1], s[0:1], 3
	s_add_u32 s13, s9, s0
	s_addc_u32 s14, s10, s1
	v_mad_u64_u32 v[2:3], s[0:1], v68, s28, 0
	v_mov_b32_e32 v4, v3
	v_mad_u64_u32 v[4:5], s[0:1], v68, s29, v[4:5]
	v_mov_b32_e32 v3, v4
	v_lshlrev_b64 v[2:3], 3, v[2:3]
	v_mov_b32_e32 v1, s14
	v_add_co_u32_e64 v2, s[0:1], s13, v2
	v_addc_co_u32_e64 v3, s[0:1], v1, v3, s[0:1]
	global_load_dwordx2 v[2:3], v[2:3], off
	v_lshlrev_b32_e32 v1, 3, v68
	s_waitcnt vmcnt(0)
	ds_write_b64 v1, v[2:3] offset:6144
.LBB90_6:
	s_or_b64 exec, exec, s[2:3]
	s_mul_i32 s0, s12, s11
	s_sub_i32 s0, s6, s0
	s_add_i32 s1, s12, 1
	s_sub_i32 s2, s0, s11
	s_cmp_ge_u32 s0, s11
	s_cselect_b32 s1, s1, s12
	s_cselect_b32 s0, s2, s0
	s_add_i32 s2, s1, 1
	s_cmp_ge_u32 s0, s11
	s_cselect_b32 s0, s2, s1
	s_add_i32 s1, s11, -1
	s_cmp_lg_u32 s7, s1
	s_mov_b32 s26, s0
	s_cbranch_scc1 .LBB90_8
; %bb.7:
	s_mul_i32 s1, s0, s11
	s_sub_i32 s1, s6, s1
	s_add_i32 s26, s1, s0
.LBB90_8:
	s_cmp_eq_u32 s26, 0
	s_cbranch_scc1 .LBB90_22
; %bb.9:
	s_load_dwordx2 s[2:3], s[4:5], 0x70
	s_load_dwordx2 s[30:31], s[4:5], 0x58
	s_load_dwordx4 s[12:15], s[4:5], 0x60
	v_lshl_add_u32 v0, v0, 5, v68
	v_pk_mov_b32 v[20:21], 0, 0
	s_waitcnt lgkmcnt(0)
	s_mul_i32 s1, s8, s3
	s_mul_hi_u32 s3, s8, s2
	s_mul_i32 s2, s8, s2
	s_add_i32 s3, s3, s1
	s_lshl_b64 s[2:3], s[2:3], 3
	s_add_u32 s1, s30, s2
	s_addc_u32 s4, s31, s3
	s_lshl_b64 s[2:3], s[12:13], 3
	s_add_u32 s12, s1, s2
	s_addc_u32 s13, s4, s3
	v_and_b32_e32 v10, 15, v68
	v_lshrrev_b32_e32 v69, 4, v0
	s_cmp_lt_i32 s26, 1
	v_pk_mov_b32 v[24:25], v[20:21], v[20:21] op_sel:[0,1]
	v_pk_mov_b32 v[26:27], v[20:21], v[20:21] op_sel:[0,1]
	;; [unrolled: 1-line block ×3, first 2 shown]
	s_barrier
	s_cbranch_scc1 .LBB90_19
; %bb.10:
	v_lshlrev_b32_e32 v3, 2, v69
	v_mov_b32_e32 v11, 0
	v_mad_u64_u32 v[0:1], s[2:3], v3, s20, v[10:11]
	v_mov_b32_e32 v2, v1
	v_mad_u64_u32 v[2:3], s[2:3], v3, s21, v[2:3]
	v_mov_b32_e32 v1, v2
	v_mad_u64_u32 v[2:3], s[2:3], v10, s28, 0
	v_mov_b32_e32 v4, v3
	s_mul_i32 s7, s7, s0
	v_mad_u64_u32 v[4:5], s[2:3], v10, s29, v[4:5]
	s_lshl_b32 s0, s7, 5
	s_ashr_i32 s1, s0, 31
	s_mul_i32 s2, s0, s15
	s_mul_hi_u32 s3, s0, s14
	s_add_i32 s2, s3, s2
	s_mul_i32 s3, s1, s14
	s_add_i32 s3, s2, s3
	s_mul_i32 s2, s0, s14
	s_lshl_b64 s[2:3], s[2:3], 3
	s_add_u32 s2, s12, s2
	s_mul_i32 s4, s8, s23
	s_mul_hi_u32 s5, s8, s22
	s_addc_u32 s3, s13, s3
	s_add_i32 s5, s5, s4
	s_mul_i32 s4, s8, s22
	s_lshl_b64 s[4:5], s[4:5], 3
	s_add_u32 s6, s16, s4
	s_addc_u32 s7, s17, s5
	s_lshl_b64 s[4:5], s[18:19], 3
	s_add_u32 s6, s6, s4
	s_addc_u32 s7, s7, s5
	s_mul_i32 s4, s24, s21
	s_mul_hi_u32 s5, s24, s20
	s_add_i32 s4, s5, s4
	s_mul_i32 s5, s25, s20
	s_add_i32 s5, s4, s5
	s_mul_i32 s4, s24, s20
	s_lshl_b64 s[4:5], s[4:5], 3
	s_add_u32 s6, s6, s4
	s_addc_u32 s7, s7, s5
	s_lshl_b64 s[4:5], s[0:1], 3
	s_add_u32 s16, s6, s4
	s_addc_u32 s17, s7, s5
	s_mul_i32 s4, s0, s29
	s_mul_hi_u32 s5, s0, s28
	s_add_i32 s4, s5, s4
	s_mul_i32 s1, s1, s28
	s_add_i32 s1, s4, s1
	s_mul_i32 s0, s0, s28
	s_lshl_b64 s[0:1], s[0:1], 3
	s_add_u32 s18, s9, s0
	v_lshlrev_b64 v[12:13], 3, v[0:1]
	s_addc_u32 s19, s10, s1
	v_mov_b32_e32 v1, s17
	v_add_co_u32_e64 v0, s[0:1], s16, v12
	v_addc_co_u32_e64 v1, s[0:1], v1, v13, s[0:1]
	s_lshl_b64 s[6:7], s[20:21], 3
	v_mov_b32_e32 v3, v4
	v_mov_b32_e32 v11, s7
	v_add_co_u32_e64 v4, s[0:1], s6, v0
	v_addc_co_u32_e64 v5, s[0:1], v1, v11, s[0:1]
	global_load_dwordx2 v[18:19], v[0:1], off
	global_load_dwordx2 v[22:23], v[4:5], off
	v_add_co_u32_e64 v0, s[0:1], s6, v4
	v_addc_co_u32_e64 v1, s[0:1], v5, v11, s[0:1]
	v_lshlrev_b64 v[14:15], 3, v[2:3]
	v_mov_b32_e32 v3, s19
	v_add_co_u32_e64 v2, s[0:1], s18, v14
	v_addc_co_u32_e64 v3, s[0:1], v3, v15, s[0:1]
	global_load_dwordx2 v[28:29], v[0:1], off
	v_add_co_u32_e64 v0, s[0:1], s6, v0
	v_addc_co_u32_e64 v1, s[0:1], v1, v11, s[0:1]
	global_load_dwordx2 v[30:31], v[2:3], off
	global_load_dwordx2 v[38:39], v[0:1], off
	v_or_b32_e32 v3, 16, v10
	v_mad_u64_u32 v[0:1], s[0:1], v3, s28, 0
	v_mov_b32_e32 v2, v1
	v_mad_u64_u32 v[2:3], s[0:1], v3, s29, v[2:3]
	v_lshlrev_b32_e32 v6, 5, v69
	v_mov_b32_e32 v1, v2
	v_or_b32_e32 v2, v6, v10
	v_mov_b32_e32 v7, 0x1000
	v_lshl_add_u32 v70, v2, 3, v7
	v_mad_u64_u32 v[2:3], s[0:1], v68, s14, 0
	v_mov_b32_e32 v4, v3
	v_mad_u64_u32 v[4:5], s[0:1], v68, s15, v[4:5]
	v_mov_b32_e32 v3, v4
	v_pk_mov_b32 v[16:17], 0, 0
	s_lshl_b64 s[8:9], s[28:29], 8
	s_add_i32 s20, s26, -1
	s_lshl_b64 s[10:11], s[14:15], 8
	v_add_u32_e32 v71, 0x1800, v6
	v_lshl_add_u32 v72, v68, 3, v7
	s_mov_b32 s21, 0
	v_pk_mov_b32 v[32:33], s[2:3], s[2:3] op_sel:[0,1]
	v_lshlrev_b64 v[34:35], 3, v[0:1]
	v_lshlrev_b64 v[36:37], 3, v[2:3]
	v_pk_mov_b32 v[26:27], v[16:17], v[16:17] op_sel:[0,1]
	v_pk_mov_b32 v[24:25], v[16:17], v[16:17] op_sel:[0,1]
	;; [unrolled: 1-line block ×3, first 2 shown]
	s_waitcnt vmcnt(4)
	v_pk_mov_b32 v[40:41], v[18:19], v[18:19] op_sel:[0,1]
	s_waitcnt vmcnt(3)
	v_pk_mov_b32 v[42:43], v[22:23], v[22:23] op_sel:[0,1]
	;; [unrolled: 2-line block ×5, first 2 shown]
.LBB90_11:                              ; =>This Loop Header: Depth=1
                                        ;     Child Loop BB90_15 Depth 2
	v_mov_b32_e32 v1, s19
	v_add_co_u32_e64 v0, s[0:1], s18, v34
	v_addc_co_u32_e64 v1, s[0:1], v1, v35, s[0:1]
	global_load_dwordx2 v[50:51], v[0:1], off
	v_mov_b32_e32 v0, s17
	v_add_co_u32_e64 v60, s[0:1], s16, v12
	v_addc_co_u32_e64 v61, s[0:1], v0, v13, s[0:1]
	v_add_co_u32_e64 v62, s[0:1], s6, v60
	v_addc_co_u32_e64 v63, s[0:1], v61, v11, s[0:1]
	;; [unrolled: 2-line block ×3, first 2 shown]
	v_add_co_u32_e64 v66, s[2:3], s6, v64
	global_load_dwordx2 v[52:53], v[60:61], off offset:128
	global_load_dwordx2 v[54:55], v[62:63], off offset:128
	v_addc_co_u32_e64 v67, s[4:5], v65, v11, s[2:3]
	global_load_dwordx2 v[56:57], v[64:65], off offset:128
	global_load_dwordx2 v[58:59], v[66:67], off offset:128
	ds_read_b128 v[4:7], v71
	ds_read_b128 v[0:3], v71 offset:16
	s_add_u32 s18, s18, s8
	s_addc_u32 s19, s19, s9
	s_cmp_eq_u32 s21, s20
	s_cbranch_scc1 .LBB90_13
; %bb.12:                               ;   in Loop: Header=BB90_11 Depth=1
	v_mov_b32_e32 v40, s7
	v_addc_co_u32_e64 v65, s[0:1], v63, v40, s[0:1]
	v_addc_co_u32_e64 v67, s[0:1], v65, v40, s[2:3]
	global_load_dwordx2 v[40:41], v[60:61], off offset:256
	global_load_dwordx2 v[42:43], v[62:63], off offset:256
	;; [unrolled: 1-line block ×4, first 2 shown]
	v_mov_b32_e32 v49, s19
	v_add_co_u32_e64 v48, s[0:1], s18, v14
	v_addc_co_u32_e64 v49, s[0:1], v49, v15, s[0:1]
	global_load_dwordx2 v[48:49], v[48:49], off
.LBB90_13:                              ;   in Loop: Header=BB90_11 Depth=1
	s_waitcnt lgkmcnt(1)
	v_fma_f64 v[60:61], v[18:19], v[4:5], 0
	s_waitcnt vmcnt(3)
	v_fma_f64 v[4:5], v[52:53], v[4:5], 0
	v_fmac_f64_e32 v[60:61], v[22:23], v[6:7]
	s_waitcnt vmcnt(2)
	v_fmac_f64_e32 v[4:5], v[54:55], v[6:7]
	s_waitcnt lgkmcnt(0)
	v_fmac_f64_e32 v[60:61], v[28:29], v[0:1]
	s_waitcnt vmcnt(1)
	v_fmac_f64_e32 v[4:5], v[56:57], v[0:1]
	v_fmac_f64_e32 v[60:61], v[38:39], v[2:3]
	s_waitcnt vmcnt(0)
	v_fmac_f64_e32 v[4:5], v[58:59], v[2:3]
	s_barrier
	ds_write2_b64 v70, v[60:61], v[4:5] offset1:16
	s_waitcnt lgkmcnt(0)
	s_barrier
	s_and_saveexec_b64 s[2:3], vcc
	s_cbranch_execz .LBB90_17
; %bb.14:                               ;   in Loop: Header=BB90_11 Depth=1
	v_add_co_u32_e64 v4, s[0:1], v32, v36
	v_addc_co_u32_e64 v5, s[0:1], v33, v37, s[0:1]
	global_load_dwordx2 v[2:3], v[4:5], off
	ds_read2_b64 v[60:63], v72 offset1:32
	ds_read2_b64 v[64:67], v72 offset0:64 offset1:96
	ds_read2_b64 v[74:77], v72 offset0:128 offset1:160
	s_mov_b64 s[4:5], 0
	s_waitcnt lgkmcnt(2)
	v_add_f64 v[0:1], v[60:61], 0
	v_add_f64 v[0:1], v[0:1], v[62:63]
	ds_read2_b64 v[60:63], v72 offset0:192 offset1:224
	s_waitcnt lgkmcnt(2)
	v_add_f64 v[0:1], v[0:1], v[64:65]
	v_add_f64 v[0:1], v[0:1], v[66:67]
	s_waitcnt lgkmcnt(1)
	v_add_f64 v[0:1], v[0:1], v[74:75]
	v_add_f64 v[0:1], v[0:1], v[76:77]
	;; [unrolled: 3-line block ×3, first 2 shown]
	v_mul_f64 v[6:7], v[8:9], v[0:1]
.LBB90_15:                              ;   Parent Loop BB90_11 Depth=1
                                        ; =>  This Inner Loop Header: Depth=2
	s_waitcnt vmcnt(0)
	v_add_f64 v[0:1], v[2:3], v[6:7]
	global_atomic_cmpswap_x2 v[0:1], v[4:5], v[0:3], off glc
	s_waitcnt vmcnt(0)
	v_cmp_eq_u64_e64 s[0:1], v[0:1], v[2:3]
	s_or_b64 s[4:5], s[0:1], s[4:5]
	v_pk_mov_b32 v[2:3], v[0:1], v[0:1] op_sel:[0,1]
	s_andn2_b64 exec, exec, s[4:5]
	s_cbranch_execnz .LBB90_15
; %bb.16:                               ;   in Loop: Header=BB90_11 Depth=1
	s_or_b64 exec, exec, s[4:5]
	v_mov_b32_e32 v0, s11
	v_add_co_u32_e64 v32, s[0:1], s10, v32
	v_addc_co_u32_e64 v33, s[0:1], v33, v0, s[0:1]
.LBB90_17:                              ;   in Loop: Header=BB90_11 Depth=1
	s_or_b64 exec, exec, s[2:3]
	s_add_u32 s16, s16, 0x100
	v_fmac_f64_e32 v[16:17], v[30:31], v[18:19]
	v_fmac_f64_e32 v[26:27], v[30:31], v[22:23]
	;; [unrolled: 1-line block ×4, first 2 shown]
	s_addc_u32 s17, s17, 0
	s_add_i32 s21, s21, 1
	v_fmac_f64_e32 v[16:17], v[50:51], v[52:53]
	v_fmac_f64_e32 v[26:27], v[50:51], v[54:55]
	;; [unrolled: 1-line block ×4, first 2 shown]
	s_cmp_eq_u32 s21, s26
	s_cbranch_scc1 .LBB90_19
; %bb.18:                               ;   in Loop: Header=BB90_11 Depth=1
	v_pk_mov_b32 v[30:31], v[48:49], v[48:49] op_sel:[0,1]
	v_pk_mov_b32 v[18:19], v[40:41], v[40:41] op_sel:[0,1]
	;; [unrolled: 1-line block ×5, first 2 shown]
	s_branch .LBB90_11
.LBB90_19:
	v_lshlrev_b32_e32 v0, 3, v10
	v_lshl_or_b32 v0, v69, 9, v0
	ds_write2_b64 v0, v[16:17], v[26:27] offset1:16
	ds_write2_b64 v0, v[24:25], v[20:21] offset0:32 offset1:48
	s_waitcnt lgkmcnt(0)
	s_barrier
	s_and_b64 exec, exec, vcc
	s_cbranch_execz .LBB90_22
; %bb.20:
	s_mul_i32 s0, s24, s15
	s_mul_hi_u32 s1, s24, s14
	s_add_i32 s0, s1, s0
	s_mul_i32 s25, s25, s14
	s_add_i32 s1, s0, s25
	s_mul_i32 s0, s24, s14
	s_lshl_b64 s[0:1], s[0:1], 3
	s_add_u32 s2, s12, s0
	s_addc_u32 s3, s13, s1
	v_mad_u64_u32 v[0:1], s[0:1], v68, s14, 0
	v_mov_b32_e32 v2, v1
	v_mad_u64_u32 v[2:3], s[0:1], v68, s15, v[2:3]
	v_mov_b32_e32 v1, v2
	v_lshlrev_b64 v[0:1], 3, v[0:1]
	v_mov_b32_e32 v2, s3
	v_add_co_u32_e32 v4, vcc, s2, v0
	v_addc_co_u32_e32 v5, vcc, v2, v1, vcc
	global_load_dwordx2 v[2:3], v[4:5], off
	v_lshlrev_b32_e32 v18, 4, v68
	v_add_u32_e32 v1, 1, v68
	v_and_or_b32 v1, v1, 15, v18
	v_lshlrev_b32_e32 v6, 3, v1
	v_add_u32_e32 v1, 2, v68
	v_or_b32_e32 v19, v10, v18
	v_and_or_b32 v1, v1, 15, v18
	v_lshlrev_b32_e32 v0, 3, v19
	v_lshlrev_b32_e32 v10, 3, v1
	v_add_u32_e32 v1, 3, v68
	v_and_or_b32 v12, v1, 15, v18
	ds_read_b64 v[0:1], v0
	ds_read_b64 v[6:7], v6
	;; [unrolled: 1-line block ×3, first 2 shown]
	v_lshlrev_b32_e32 v12, 3, v12
	ds_read_b64 v[12:13], v12
	s_waitcnt lgkmcnt(3)
	v_add_f64 v[0:1], v[0:1], 0
	s_waitcnt lgkmcnt(2)
	v_add_f64 v[0:1], v[0:1], v[6:7]
	v_add_u32_e32 v7, 5, v68
	v_and_or_b32 v7, v7, 15, v18
	s_waitcnt lgkmcnt(1)
	v_add_f64 v[0:1], v[0:1], v[10:11]
	v_lshlrev_b32_e32 v10, 3, v7
	v_add_u32_e32 v7, 6, v68
	v_and_or_b32 v7, v7, 15, v18
	v_add_u32_e32 v6, 4, v68
	v_lshlrev_b32_e32 v14, 3, v7
	v_add_u32_e32 v7, 7, v68
	v_and_or_b32 v6, v6, 15, v18
	v_and_or_b32 v7, v7, 15, v18
	v_lshlrev_b32_e32 v6, 3, v6
	v_lshlrev_b32_e32 v16, 3, v7
	ds_read_b64 v[6:7], v6
	ds_read_b64 v[10:11], v10
	;; [unrolled: 1-line block ×4, first 2 shown]
	s_waitcnt lgkmcnt(4)
	v_add_f64 v[0:1], v[0:1], v[12:13]
	s_waitcnt lgkmcnt(3)
	v_add_f64 v[0:1], v[0:1], v[6:7]
	v_add_u32_e32 v7, 9, v68
	v_and_or_b32 v7, v7, 15, v18
	s_waitcnt lgkmcnt(2)
	v_add_f64 v[0:1], v[0:1], v[10:11]
	v_lshlrev_b32_e32 v10, 3, v7
	v_add_u32_e32 v7, 10, v68
	v_xor_b32_e32 v6, 8, v19
	v_and_or_b32 v7, v7, 15, v18
	v_lshlrev_b32_e32 v6, 3, v6
	v_lshlrev_b32_e32 v12, 3, v7
	v_add_u32_e32 v7, 11, v68
	s_waitcnt lgkmcnt(1)
	v_add_f64 v[0:1], v[0:1], v[14:15]
	v_and_or_b32 v14, v7, 15, v18
	ds_read_b64 v[6:7], v6
	ds_read_b64 v[10:11], v10
	;; [unrolled: 1-line block ×3, first 2 shown]
	s_waitcnt lgkmcnt(3)
	v_add_f64 v[0:1], v[0:1], v[16:17]
	v_lshlrev_b32_e32 v14, 3, v14
	s_waitcnt lgkmcnt(2)
	v_add_f64 v[0:1], v[0:1], v[6:7]
	v_add_u32_e32 v7, 13, v68
	v_and_or_b32 v7, v7, 15, v18
	s_waitcnt lgkmcnt(1)
	v_add_f64 v[0:1], v[0:1], v[10:11]
	v_lshlrev_b32_e32 v10, 3, v7
	v_add_u32_e32 v7, 14, v68
	ds_read_b64 v[14:15], v14
	v_and_or_b32 v7, v7, 15, v18
	s_waitcnt lgkmcnt(1)
	v_add_f64 v[0:1], v[0:1], v[12:13]
	v_add_u32_e32 v6, 12, v68
	v_lshlrev_b32_e32 v12, 3, v7
	v_add_u32_e32 v7, -1, v68
	v_and_or_b32 v6, v6, 15, v18
	v_and_or_b32 v7, v7, 15, v18
	v_lshlrev_b32_e32 v6, 3, v6
	v_lshlrev_b32_e32 v16, 3, v7
	ds_read_b64 v[6:7], v6
	ds_read_b64 v[10:11], v10
	;; [unrolled: 1-line block ×4, first 2 shown]
	s_waitcnt lgkmcnt(4)
	v_add_f64 v[0:1], v[0:1], v[14:15]
	s_waitcnt lgkmcnt(3)
	v_add_f64 v[0:1], v[0:1], v[6:7]
	;; [unrolled: 2-line block ×5, first 2 shown]
	s_mov_b64 s[0:1], 0
	v_mul_f64 v[6:7], v[8:9], v[0:1]
.LBB90_21:                              ; =>This Inner Loop Header: Depth=1
	s_waitcnt vmcnt(0)
	v_add_f64 v[0:1], v[2:3], v[6:7]
	global_atomic_cmpswap_x2 v[0:1], v[4:5], v[0:3], off glc
	s_waitcnt vmcnt(0)
	v_cmp_eq_u64_e32 vcc, v[0:1], v[2:3]
	s_or_b64 s[0:1], vcc, s[0:1]
	v_pk_mov_b32 v[2:3], v[0:1], v[0:1] op_sel:[0,1]
	s_andn2_b64 exec, exec, s[0:1]
	s_cbranch_execnz .LBB90_21
.LBB90_22:
	s_endpgm
	.section	.rodata,"a",@progbits
	.p2align	6, 0x0
	.amdhsa_kernel _ZL54rocblas_symv_kernel_upper_double_buffered_non_diagonalILi32ELi4ELi4E24rocblas_internal_val_ptrIdEPKdPdEvbiT2_lT3_lllS6_lllT4_llli
		.amdhsa_group_segment_fixed_size 6400
		.amdhsa_private_segment_fixed_size 0
		.amdhsa_kernarg_size 384
		.amdhsa_user_sgpr_count 6
		.amdhsa_user_sgpr_private_segment_buffer 1
		.amdhsa_user_sgpr_dispatch_ptr 0
		.amdhsa_user_sgpr_queue_ptr 0
		.amdhsa_user_sgpr_kernarg_segment_ptr 1
		.amdhsa_user_sgpr_dispatch_id 0
		.amdhsa_user_sgpr_flat_scratch_init 0
		.amdhsa_user_sgpr_kernarg_preload_length 0
		.amdhsa_user_sgpr_kernarg_preload_offset 0
		.amdhsa_user_sgpr_private_segment_size 0
		.amdhsa_uses_dynamic_stack 0
		.amdhsa_system_sgpr_private_segment_wavefront_offset 0
		.amdhsa_system_sgpr_workgroup_id_x 1
		.amdhsa_system_sgpr_workgroup_id_y 1
		.amdhsa_system_sgpr_workgroup_id_z 1
		.amdhsa_system_sgpr_workgroup_info 0
		.amdhsa_system_vgpr_workitem_id 1
		.amdhsa_next_free_vgpr 78
		.amdhsa_next_free_sgpr 32
		.amdhsa_accum_offset 80
		.amdhsa_reserve_vcc 1
		.amdhsa_reserve_flat_scratch 0
		.amdhsa_float_round_mode_32 0
		.amdhsa_float_round_mode_16_64 0
		.amdhsa_float_denorm_mode_32 3
		.amdhsa_float_denorm_mode_16_64 3
		.amdhsa_dx10_clamp 1
		.amdhsa_ieee_mode 1
		.amdhsa_fp16_overflow 0
		.amdhsa_tg_split 0
		.amdhsa_exception_fp_ieee_invalid_op 0
		.amdhsa_exception_fp_denorm_src 0
		.amdhsa_exception_fp_ieee_div_zero 0
		.amdhsa_exception_fp_ieee_overflow 0
		.amdhsa_exception_fp_ieee_underflow 0
		.amdhsa_exception_fp_ieee_inexact 0
		.amdhsa_exception_int_div_zero 0
	.end_amdhsa_kernel
	.section	.text._ZL54rocblas_symv_kernel_upper_double_buffered_non_diagonalILi32ELi4ELi4E24rocblas_internal_val_ptrIdEPKdPdEvbiT2_lT3_lllS6_lllT4_llli,"axG",@progbits,_ZL54rocblas_symv_kernel_upper_double_buffered_non_diagonalILi32ELi4ELi4E24rocblas_internal_val_ptrIdEPKdPdEvbiT2_lT3_lllS6_lllT4_llli,comdat
.Lfunc_end90:
	.size	_ZL54rocblas_symv_kernel_upper_double_buffered_non_diagonalILi32ELi4ELi4E24rocblas_internal_val_ptrIdEPKdPdEvbiT2_lT3_lllS6_lllT4_llli, .Lfunc_end90-_ZL54rocblas_symv_kernel_upper_double_buffered_non_diagonalILi32ELi4ELi4E24rocblas_internal_val_ptrIdEPKdPdEvbiT2_lT3_lllS6_lllT4_llli
                                        ; -- End function
	.section	.AMDGPU.csdata,"",@progbits
; Kernel info:
; codeLenInByte = 2600
; NumSgprs: 36
; NumVgprs: 78
; NumAgprs: 0
; TotalNumVgprs: 78
; ScratchSize: 0
; MemoryBound: 0
; FloatMode: 240
; IeeeMode: 1
; LDSByteSize: 6400 bytes/workgroup (compile time only)
; SGPRBlocks: 4
; VGPRBlocks: 9
; NumSGPRsForWavesPerEU: 36
; NumVGPRsForWavesPerEU: 78
; AccumOffset: 80
; Occupancy: 5
; WaveLimiterHint : 0
; COMPUTE_PGM_RSRC2:SCRATCH_EN: 0
; COMPUTE_PGM_RSRC2:USER_SGPR: 6
; COMPUTE_PGM_RSRC2:TRAP_HANDLER: 0
; COMPUTE_PGM_RSRC2:TGID_X_EN: 1
; COMPUTE_PGM_RSRC2:TGID_Y_EN: 1
; COMPUTE_PGM_RSRC2:TGID_Z_EN: 1
; COMPUTE_PGM_RSRC2:TIDIG_COMP_CNT: 1
; COMPUTE_PGM_RSRC3_GFX90A:ACCUM_OFFSET: 19
; COMPUTE_PGM_RSRC3_GFX90A:TG_SPLIT: 0
	.section	.text._ZL58rocblas_symv_kernel_upper_double_buffered_diagonal_genericILi32ELi8E24rocblas_internal_val_ptrIdEPKdPdEvbiT1_lT2_lllS6_lllS5_lT3_lllii,"axG",@progbits,_ZL58rocblas_symv_kernel_upper_double_buffered_diagonal_genericILi32ELi8E24rocblas_internal_val_ptrIdEPKdPdEvbiT1_lT2_lllS6_lllS5_lT3_lllii,comdat
	.globl	_ZL58rocblas_symv_kernel_upper_double_buffered_diagonal_genericILi32ELi8E24rocblas_internal_val_ptrIdEPKdPdEvbiT1_lT2_lllS6_lllS5_lT3_lllii ; -- Begin function _ZL58rocblas_symv_kernel_upper_double_buffered_diagonal_genericILi32ELi8E24rocblas_internal_val_ptrIdEPKdPdEvbiT1_lT2_lllS6_lllS5_lT3_lllii
	.p2align	8
	.type	_ZL58rocblas_symv_kernel_upper_double_buffered_diagonal_genericILi32ELi8E24rocblas_internal_val_ptrIdEPKdPdEvbiT1_lT2_lllS6_lllS5_lT3_lllii,@function
_ZL58rocblas_symv_kernel_upper_double_buffered_diagonal_genericILi32ELi8E24rocblas_internal_val_ptrIdEPKdPdEvbiT1_lT2_lllS6_lllS5_lT3_lllii: ; @_ZL58rocblas_symv_kernel_upper_double_buffered_diagonal_genericILi32ELi8E24rocblas_internal_val_ptrIdEPKdPdEvbiT1_lT2_lllS6_lllS5_lT3_lllii
; %bb.0:
	s_load_dword s0, s[4:5], 0x0
	s_load_dwordx16 s[8:23], s[4:5], 0x8
	s_load_dwordx8 s[24:31], s[4:5], 0x48
	s_waitcnt lgkmcnt(0)
	s_bitcmp1_b32 s0, 0
	s_cselect_b64 s[2:3], -1, 0
	s_xor_b64 s[0:1], s[2:3], -1
	s_and_b64 vcc, exec, s[2:3]
	v_pk_mov_b32 v[4:5], s[8:9], s[8:9] op_sel:[0,1]
	s_cbranch_vccnz .LBB91_2
; %bb.1:
	s_mul_i32 s2, s7, s11
	s_mul_hi_u32 s3, s7, s10
	s_add_i32 s3, s3, s2
	s_mul_i32 s2, s7, s10
	s_lshl_b64 s[2:3], s[2:3], 3
	s_add_u32 s2, s8, s2
	s_addc_u32 s3, s9, s3
	v_pk_mov_b32 v[2:3], s[2:3], s[2:3] op_sel:[0,1]
	flat_load_dwordx2 v[4:5], v[2:3]
.LBB91_2:
	s_andn2_b64 vcc, exec, s[0:1]
	v_pk_mov_b32 v[2:3], s[28:29], s[28:29] op_sel:[0,1]
	s_cbranch_vccnz .LBB91_4
; %bb.3:
	s_mul_i32 s0, s7, s31
	s_mul_hi_u32 s1, s7, s30
	s_add_i32 s1, s1, s0
	s_mul_i32 s0, s7, s30
	s_lshl_b64 s[0:1], s[0:1], 3
	s_add_u32 s0, s28, s0
	s_addc_u32 s1, s29, s1
	v_pk_mov_b32 v[2:3], s[0:1], s[0:1] op_sel:[0,1]
	flat_load_dwordx2 v[2:3], v[2:3]
.LBB91_4:
	s_waitcnt vmcnt(0) lgkmcnt(0)
	v_cmp_neq_f64_e32 vcc, 0, v[4:5]
	v_cmp_neq_f64_e64 s[0:1], 1.0, v[2:3]
	s_or_b64 s[0:1], vcc, s[0:1]
	s_and_saveexec_b64 s[2:3], s[0:1]
	s_cbranch_execz .LBB91_49
; %bb.5:
	s_load_dwordx2 s[0:1], s[4:5], 0x80
	s_load_dwordx2 s[2:3], s[4:5], 0x68
	s_load_dwordx4 s[8:11], s[4:5], 0x70
	s_load_dword s37, s[4:5], 0x88
	v_and_b32_e32 v18, 0x3ff, v0
	s_waitcnt lgkmcnt(0)
	s_mul_i32 s1, s7, s1
	s_mul_hi_u32 s28, s7, s0
	s_add_i32 s1, s28, s1
	s_mul_i32 s0, s7, s0
	s_lshl_b64 s[0:1], s[0:1], 3
	s_add_u32 s2, s2, s0
	s_addc_u32 s3, s3, s1
	s_lshl_b64 s[0:1], s[8:9], 3
	s_add_u32 s2, s2, s0
	s_addc_u32 s3, s3, s1
	s_lshl_b32 s38, s6, 5
	s_ashr_i32 s39, s38, 31
	s_mul_i32 s0, s38, s11
	s_mul_hi_u32 s1, s38, s10
	s_add_i32 s0, s1, s0
	s_mul_i32 s1, s39, s10
	s_add_i32 s1, s0, s1
	s_mul_i32 s0, s38, s10
	s_lshl_b64 s[0:1], s[0:1], 3
	s_add_u32 s33, s2, s0
	v_bfe_u32 v19, v0, 10, 10
	s_addc_u32 s36, s3, s1
	v_cmp_eq_f64_e32 vcc, 0, v[4:5]
	s_and_saveexec_b64 s[0:1], vcc
	s_xor_b64 s[0:1], exec, s[0:1]
	s_cbranch_execz .LBB91_12
; %bb.6:
	v_cmp_eq_u32_e32 vcc, 0, v19
	s_and_saveexec_b64 s[2:3], vcc
	s_cbranch_execz .LBB91_11
; %bb.7:
	v_cmp_gt_i32_e64 s[8:9], s37, v18
	v_cmp_le_i32_e32 vcc, s37, v18
	s_and_saveexec_b64 s[28:29], vcc
	s_cbranch_execz .LBB91_9
; %bb.8:
	s_load_dword s30, s[4:5], 0x90
	s_waitcnt lgkmcnt(0)
	s_add_i32 s30, s30, -1
	s_cmp_lt_u32 s6, s30
	s_cselect_b64 s[30:31], -1, 0
	s_andn2_b64 s[8:9], s[8:9], exec
	s_and_b64 s[30:31], s[30:31], exec
	s_or_b64 s[8:9], s[8:9], s[30:31]
.LBB91_9:
	s_or_b64 exec, exec, s[28:29]
	s_and_b64 exec, exec, s[8:9]
	s_cbranch_execz .LBB91_11
; %bb.10:
	v_mad_u64_u32 v[0:1], s[8:9], v18, s10, 0
	v_mov_b32_e32 v4, v1
	v_mad_u64_u32 v[4:5], s[8:9], v18, s11, v[4:5]
	v_mov_b32_e32 v1, v4
	v_lshlrev_b64 v[0:1], 3, v[0:1]
	v_mov_b32_e32 v4, s36
	v_add_co_u32_e32 v0, vcc, s33, v0
	v_addc_co_u32_e32 v1, vcc, v4, v1, vcc
	global_load_dwordx2 v[4:5], v[0:1], off
	s_waitcnt vmcnt(0)
	v_mul_f64 v[2:3], v[2:3], v[4:5]
	global_store_dwordx2 v[0:1], v[2:3], off
.LBB91_11:
	s_or_b64 exec, exec, s[2:3]
                                        ; implicit-def: $vgpr19
                                        ; implicit-def: $vgpr18
                                        ; implicit-def: $vgpr2_vgpr3
                                        ; implicit-def: $vgpr4_vgpr5
.LBB91_12:
	s_andn2_saveexec_b64 s[0:1], s[0:1]
	s_cbranch_execz .LBB91_49
; %bb.13:
	v_cmp_ne_u32_e64 s[2:3], 0, v19
	v_cmp_eq_u32_e64 s[0:1], 0, v19
	v_pk_mov_b32 v[0:1], 0, 0
	s_and_saveexec_b64 s[8:9], s[0:1]
	s_cbranch_execz .LBB91_21
; %bb.14:
	v_cmp_gt_i32_e64 s[30:31], s37, v18
	v_cmp_le_i32_e32 vcc, s37, v18
                                        ; implicit-def: $sgpr28_sgpr29
	s_and_saveexec_b64 s[34:35], vcc
	s_cbranch_execz .LBB91_16
; %bb.15:
	s_load_dword s40, s[4:5], 0x90
	s_mov_b64 s[28:29], 0
	s_waitcnt lgkmcnt(0)
	s_add_i32 s40, s40, -1
	s_cmp_lt_u32 s6, s40
	s_cselect_b64 s[40:41], -1, 0
	s_andn2_b64 s[30:31], s[30:31], exec
	s_and_b64 s[40:41], s[40:41], exec
	s_or_b64 s[30:31], s[30:31], s[40:41]
.LBB91_16:
	s_or_b64 exec, exec, s[34:35]
	v_pk_mov_b32 v[0:1], s[28:29], s[28:29] op_sel:[0,1]
	s_and_saveexec_b64 s[28:29], s[30:31]
	s_cbranch_execz .LBB91_20
; %bb.17:
	s_mul_i32 s27, s7, s27
	s_mul_hi_u32 s30, s7, s26
	s_add_i32 s27, s30, s27
	s_mul_i32 s26, s7, s26
	s_lshl_b64 s[26:27], s[26:27], 3
	s_add_u32 s26, s20, s26
	s_addc_u32 s27, s21, s27
	s_lshl_b64 s[20:21], s[22:23], 3
	s_add_u32 s22, s26, s20
	s_addc_u32 s23, s27, s21
	s_mul_i32 s20, s38, s25
	s_mul_hi_u32 s21, s38, s24
	s_add_i32 s20, s21, s20
	s_mul_i32 s21, s39, s24
	s_add_i32 s21, s20, s21
	s_mul_i32 s20, s38, s24
	s_lshl_b64 s[20:21], s[20:21], 3
	s_add_u32 s22, s22, s20
	s_addc_u32 s23, s23, s21
	v_mad_u64_u32 v[0:1], s[20:21], v18, s24, 0
	v_mov_b32_e32 v6, v1
	v_mad_u64_u32 v[6:7], s[20:21], v18, s25, v[6:7]
	v_mov_b32_e32 v1, v6
	v_lshlrev_b64 v[0:1], 3, v[0:1]
	v_mov_b32_e32 v6, s23
	v_add_co_u32_e32 v0, vcc, s22, v0
	v_addc_co_u32_e32 v1, vcc, v6, v1, vcc
	global_load_dwordx2 v[0:1], v[0:1], off
	v_lshlrev_b32_e32 v6, 3, v18
	v_cmp_neq_f64_e32 vcc, 0, v[2:3]
	s_waitcnt vmcnt(0)
	ds_write_b64 v6, v[0:1] offset:12288
	v_pk_mov_b32 v[0:1], 0, 0
	s_and_saveexec_b64 s[20:21], vcc
	s_cbranch_execz .LBB91_19
; %bb.18:
	v_mad_u64_u32 v[0:1], s[22:23], v18, s10, 0
	v_mov_b32_e32 v6, v1
	v_mad_u64_u32 v[6:7], s[22:23], v18, s11, v[6:7]
	v_mov_b32_e32 v1, v6
	v_lshlrev_b64 v[0:1], 3, v[0:1]
	v_mov_b32_e32 v6, s36
	v_add_co_u32_e32 v0, vcc, s33, v0
	v_addc_co_u32_e32 v1, vcc, v6, v1, vcc
	global_load_dwordx2 v[0:1], v[0:1], off
	s_waitcnt vmcnt(0)
	v_mul_f64 v[0:1], v[2:3], v[0:1]
.LBB91_19:
	s_or_b64 exec, exec, s[20:21]
.LBB91_20:
	s_or_b64 exec, exec, s[28:29]
.LBB91_21:
	s_or_b64 exec, exec, s[8:9]
	s_mul_i32 s8, s7, s19
	s_mul_hi_u32 s9, s7, s18
	s_add_i32 s9, s9, s8
	s_mul_i32 s8, s7, s18
	s_lshl_b64 s[18:19], s[8:9], 3
	s_add_u32 s7, s12, s18
	s_addc_u32 s20, s13, s19
	s_lshl_b64 s[8:9], s[14:15], 3
	s_add_u32 s7, s7, s8
	s_addc_u32 s20, s20, s9
	s_add_u32 s14, s16, 1
	s_addc_u32 s15, s17, 0
	s_mul_i32 s21, s14, s39
	s_mul_hi_u32 s22, s14, s38
	s_add_i32 s21, s22, s21
	s_mul_i32 s15, s15, s38
	s_add_i32 s15, s21, s15
	s_mul_i32 s14, s14, s38
	s_lshl_b64 s[14:15], s[14:15], 3
	s_add_u32 s7, s7, s14
	s_addc_u32 s22, s20, s15
	v_mad_u64_u32 v[6:7], s[20:21], v19, s16, 0
	v_mov_b32_e32 v8, v7
	v_mad_u64_u32 v[8:9], s[20:21], v19, s17, v[8:9]
	v_mov_b32_e32 v7, v8
	v_lshlrev_b64 v[6:7], 3, v[6:7]
	v_add_co_u32_e32 v10, vcc, s7, v6
	s_load_dword s7, s[4:5], 0x90
	v_mov_b32_e32 v8, s22
	v_addc_co_u32_e32 v7, vcc, v8, v7, vcc
	v_lshlrev_b32_e32 v6, 3, v18
	v_add_co_u32_e32 v8, vcc, v10, v6
	v_lshl_add_u32 v22, v19, 5, v18
	s_waitcnt lgkmcnt(0)
	s_add_i32 s7, s7, -1
	v_addc_co_u32_e32 v9, vcc, 0, v7, vcc
	s_cmp_eq_u32 s6, s7
	v_lshlrev_b32_e32 v20, 3, v22
	v_add_u32_e32 v21, 16, v19
	s_cbranch_scc1 .LBB91_24
; %bb.22:
	s_lshl_b64 s[4:5], s[16:17], 6
	v_mov_b32_e32 v11, s5
	v_add_co_u32_e32 v12, vcc, s4, v8
	v_addc_co_u32_e32 v13, vcc, v9, v11, vcc
	global_load_dwordx2 v[16:17], v[8:9], off
	global_load_dwordx2 v[24:25], v[12:13], off
	v_add_co_u32_e32 v12, vcc, s4, v12
	v_addc_co_u32_e32 v13, vcc, v13, v11, vcc
	global_load_dwordx2 v[26:27], v[12:13], off
	v_mov_b32_e32 v12, 0xc0
	v_add_u32_e32 v14, 16, v19
	s_mul_i32 s22, s17, 0xc0
	v_mad_u64_u32 v[12:13], s[4:5], s16, v12, v[8:9]
	v_lshlrev_b32_e32 v15, 3, v22
	v_add_u32_e32 v11, 0x300, v22
	v_lshlrev_b32_e32 v23, 5, v14
	v_add_u32_e32 v13, s22, v13
	s_mov_b64 s[4:5], -1
	v_add_lshl_u32 v23, v23, v18, 3
	s_waitcnt vmcnt(1)
	ds_write2st64_b64 v15, v[16:17], v[24:25] offset1:4
	s_waitcnt vmcnt(0)
	ds_write_b64 v23, v[26:27]
	s_cbranch_execz .LBB91_25
; %bb.23:
                                        ; implicit-def: $vgpr21
	s_and_saveexec_b64 s[2:3], s[4:5]
	s_cbranch_execnz .LBB91_39
	s_branch .LBB91_40
.LBB91_24:
	s_mov_b64 s[4:5], 0
                                        ; implicit-def: $vgpr14
                                        ; implicit-def: $vgpr12_vgpr13
                                        ; implicit-def: $vgpr11
.LBB91_25:
	s_mov_b32 s20, 0
	v_cmp_gt_i32_e32 vcc, s37, v18
	s_mov_b32 s21, s20
	v_lshlrev_b32_e32 v11, 5, v21
	s_or_b64 s[2:3], s[2:3], vcc
	v_pk_mov_b32 v[12:13], s[20:21], s[20:21] op_sel:[0,1]
	v_add_lshl_u32 v11, v11, v18, 3
	s_xor_b64 s[20:21], s[2:3], -1
	ds_write2st64_b64 v20, v[12:13], v[12:13] offset1:4
	ds_write_b64 v11, v[12:13]
	ds_write_b64 v20, v[12:13] offset:6144
	s_and_saveexec_b64 s[2:3], s[20:21]
	s_cbranch_execz .LBB91_27
; %bb.26:
	v_mov_b32_e32 v12, 0
	v_mov_b32_e32 v13, v12
	ds_write_b64 v6, v[12:13] offset:12288
.LBB91_27:
	s_or_b64 exec, exec, s[2:3]
                                        ; implicit-def: $vgpr14
                                        ; implicit-def: $vgpr12_vgpr13
                                        ; implicit-def: $vgpr11
	s_and_saveexec_b64 s[2:3], vcc
	s_cbranch_execz .LBB91_38
; %bb.28:
	s_cmp_lt_u32 s37, 8
	s_mov_b32 s22, 0
	s_cbranch_scc1 .LBB91_35
; %bb.29:
	s_lshr_b32 s22, s37, 3
	s_add_i32 s20, s22, -1
	s_cmp_lt_u32 s20, 3
	s_mov_b32 s23, 0
	s_cbranch_scc1 .LBB91_32
; %bb.30:
	s_and_b32 s23, s22, 0x1ffffffc
	s_add_u32 s20, s14, s18
	s_addc_u32 s21, s15, s19
	s_add_u32 s24, s12, s8
	s_addc_u32 s25, s13, s9
	s_add_u32 s20, s24, s20
	v_lshlrev_b32_e32 v23, 3, v19
	s_addc_u32 s21, s25, s21
	v_add_u32_e32 v11, 0xc0, v23
	v_pk_mov_b32 v[16:17], s[20:21], s[20:21] op_sel:[0,1]
	v_mad_u64_u32 v[12:13], s[20:21], s16, v11, v[16:17]
	v_mov_b32_e32 v14, v13
	v_mad_u64_u32 v[14:15], s[20:21], s17, v11, v[14:15]
	v_add_u32_e32 v13, 0x80, v23
	v_mov_b32_e32 v11, v14
	v_mad_u64_u32 v[14:15], s[24:25], s16, v13, v[16:17]
	v_mov_b32_e32 v24, v15
	v_add_u32_e32 v15, 64, v23
	v_mad_u64_u32 v[24:25], s[24:25], s17, v13, v[24:25]
	v_mad_u64_u32 v[16:17], s[24:25], s16, v15, v[16:17]
	v_mov_b32_e32 v13, v24
	v_mov_b32_e32 v24, v17
	s_lshl_b64 s[20:21], s[16:17], 8
	v_mad_u64_u32 v[24:25], s[24:25], s17, v15, v[24:25]
	v_mov_b32_e32 v15, v24
	s_mov_b32 s24, 0
	v_mov_b32_e32 v17, s21
	v_mov_b32_e32 v23, v20
.LBB91_31:                              ; =>This Inner Loop Header: Depth=1
	v_add_co_u32_e32 v24, vcc, v10, v6
	v_addc_co_u32_e32 v25, vcc, 0, v7, vcc
	v_add_co_u32_e32 v26, vcc, v16, v6
	v_addc_co_u32_e32 v27, vcc, 0, v15, vcc
	;; [unrolled: 2-line block ×4, first 2 shown]
	global_load_dwordx2 v[32:33], v[24:25], off
	global_load_dwordx2 v[34:35], v[26:27], off
	;; [unrolled: 1-line block ×4, first 2 shown]
	v_add_co_u32_e32 v12, vcc, s20, v12
	v_addc_co_u32_e32 v11, vcc, v11, v17, vcc
	v_add_co_u32_e32 v14, vcc, s20, v14
	v_addc_co_u32_e32 v13, vcc, v13, v17, vcc
	;; [unrolled: 2-line block ×3, first 2 shown]
	s_add_i32 s24, s24, 4
	v_add_co_u32_e32 v10, vcc, s20, v10
	v_addc_co_u32_e32 v7, vcc, v7, v17, vcc
	s_cmp_lg_u32 s23, s24
	s_waitcnt vmcnt(2)
	ds_write2st64_b64 v23, v[32:33], v[34:35] offset1:4
	s_waitcnt vmcnt(0)
	ds_write2st64_b64 v23, v[36:37], v[38:39] offset0:8 offset1:12
	v_add_u32_e32 v23, 0x2000, v23
	s_cbranch_scc1 .LBB91_31
.LBB91_32:
	s_bfe_u32 s24, s37, 0x20003
	s_cmp_eq_u32 s24, 0
	s_mov_b32 s21, 0
	s_cbranch_scc1 .LBB91_35
; %bb.33:
	s_lshl_b32 s20, s23, 11
	v_lshlrev_b32_e32 v7, 8, v19
	s_add_u32 s18, s14, s18
	v_add3_u32 v7, s20, v7, v6
	s_addc_u32 s19, s15, s19
	s_lshl_b32 s20, s23, 3
	s_lshl_b64 s[14:15], s[20:21], 3
	v_lshlrev_b32_e32 v10, 3, v19
	s_add_u32 s8, s8, s18
	v_mov_b32_e32 v11, s15
	v_add_co_u32_e32 v12, vcc, s14, v10
	s_addc_u32 s9, s9, s19
	v_addc_co_u32_e32 v13, vcc, 0, v11, vcc
	v_pk_mov_b32 v[10:11], s[8:9], s[8:9] op_sel:[0,1]
	v_mad_u64_u32 v[10:11], s[8:9], s16, v12, v[10:11]
	v_mul_lo_u32 v13, s16, v13
	v_mul_lo_u32 v12, s17, v12
	v_add3_u32 v11, v12, v11, v13
	v_add_co_u32_e32 v10, vcc, v10, v6
	v_addc_co_u32_e32 v11, vcc, 0, v11, vcc
	v_mov_b32_e32 v12, s13
	v_add_co_u32_e32 v10, vcc, s12, v10
	s_lshl_b64 s[8:9], s[16:17], 6
	v_addc_co_u32_e32 v11, vcc, v12, v11, vcc
	v_mov_b32_e32 v12, s9
.LBB91_34:                              ; =>This Inner Loop Header: Depth=1
	global_load_dwordx2 v[14:15], v[10:11], off
	v_add_co_u32_e32 v10, vcc, s8, v10
	s_add_i32 s24, s24, -1
	v_addc_co_u32_e32 v11, vcc, v11, v12, vcc
	s_cmp_lg_u32 s24, 0
	s_waitcnt vmcnt(0)
	ds_write_b64 v7, v[14:15]
	v_add_u32_e32 v7, 0x800, v7
	s_cbranch_scc1 .LBB91_34
.LBB91_35:
	s_and_b32 s8, s37, 7
	v_cmp_gt_u32_e32 vcc, s8, v19
	s_mov_b64 s[12:13], s[4:5]
                                        ; implicit-def: $vgpr12_vgpr13
                                        ; implicit-def: $vgpr11
	s_and_saveexec_b64 s[8:9], vcc
; %bb.36:
	s_lshl_b32 s12, s22, 3
	s_mul_i32 s13, s12, s17
	s_mul_hi_u32 s14, s12, s16
	s_add_i32 s13, s14, s13
	s_mul_i32 s12, s12, s16
	s_lshl_b64 s[12:13], s[12:13], 3
	v_mov_b32_e32 v7, s13
	v_add_co_u32_e32 v12, vcc, s12, v8
	v_addc_co_u32_e32 v13, vcc, v9, v7, vcc
	v_lshl_add_u32 v11, s22, 8, v22
	s_or_b64 s[12:13], s[4:5], exec
; %bb.37:
	s_or_b64 exec, exec, s[8:9]
	s_andn2_b64 s[4:5], s[4:5], exec
	s_and_b64 s[8:9], s[12:13], exec
	s_or_b64 s[4:5], s[4:5], s[8:9]
	v_mov_b32_e32 v14, v21
.LBB91_38:
	s_or_b64 exec, exec, s[2:3]
	s_and_saveexec_b64 s[2:3], s[4:5]
	s_cbranch_execz .LBB91_40
.LBB91_39:
	global_load_dwordx2 v[8:9], v[12:13], off
	v_lshlrev_b32_e32 v7, 3, v11
	v_mov_b32_e32 v21, v14
	s_waitcnt vmcnt(0)
	ds_write_b64 v7, v[8:9]
.LBB91_40:
	s_or_b64 exec, exec, s[2:3]
	v_sub_u32_e32 v7, v18, v19
	v_sub_u32_e32 v8, 0, v7
	v_max_i32_e32 v9, v7, v8
	v_lshlrev_b32_e32 v8, 5, v18
	v_add_u32_e32 v10, v21, v8
	v_cmp_lt_u32_e32 vcc, 16, v9
	v_lshlrev_b32_e32 v7, 5, v21
	v_lshlrev_b32_e32 v10, 3, v10
	s_waitcnt lgkmcnt(0)
	s_barrier
	s_and_saveexec_b64 s[2:3], vcc
	s_cbranch_execnz .LBB91_50
; %bb.41:
	s_or_b64 exec, exec, s[2:3]
	v_cmp_lt_u32_e32 vcc, 24, v9
	s_and_saveexec_b64 s[2:3], vcc
	s_cbranch_execnz .LBB91_51
.LBB91_42:
	s_or_b64 exec, exec, s[2:3]
	v_cmp_ge_u32_e32 vcc, v18, v19
	s_and_saveexec_b64 s[2:3], vcc
	s_cbranch_execz .LBB91_44
.LBB91_43:
	v_add_lshl_u32 v10, v8, v19, 3
	ds_read_b64 v[10:11], v10
	s_waitcnt lgkmcnt(0)
	ds_write_b64 v20, v[10:11]
.LBB91_44:
	s_or_b64 exec, exec, s[2:3]
	v_cmp_lt_u32_e32 vcc, 8, v9
	v_lshlrev_b32_e32 v9, 5, v19
	s_movk_i32 s2, 0x100
	v_add3_u32 v10, v9, v18, s2
	v_lshlrev_b32_e32 v10, 3, v10
	s_and_saveexec_b64 s[2:3], vcc
	s_cbranch_execz .LBB91_46
; %bb.45:
	v_add_lshl_u32 v8, v19, v8, 3
	ds_read_b64 v[12:13], v8 offset:64
	s_waitcnt lgkmcnt(0)
	ds_write_b64 v10, v[12:13]
.LBB91_46:
	s_or_b64 exec, exec, s[2:3]
	v_lshlrev_b32_e32 v19, 3, v19
	v_add_u32_e32 v8, 0x3000, v19
	s_waitcnt lgkmcnt(0)
	s_barrier
	ds_read2_b64 v[12:15], v8 offset1:8
	ds_read_b64 v[16:17], v20
	ds_read_b64 v[10:11], v10
	v_lshlrev_b32_e32 v8, 3, v21
	v_add_lshl_u32 v7, v7, v18, 3
	v_add_lshl_u32 v21, v9, v18, 3
	ds_read_b64 v[8:9], v8 offset:12288
	ds_read_b64 v[22:23], v21 offset:6144
	ds_read_b64 v[24:25], v7
	ds_read_b64 v[26:27], v19 offset:12480
	s_waitcnt lgkmcnt(5)
	v_fma_f64 v[12:13], v[16:17], v[12:13], 0
	s_waitcnt lgkmcnt(4)
	v_fmac_f64_e32 v[12:13], v[10:11], v[14:15]
	s_waitcnt lgkmcnt(1)
	v_fmac_f64_e32 v[12:13], v[24:25], v[8:9]
	;; [unrolled: 2-line block ×3, first 2 shown]
	ds_write_b64 v20, v[12:13] offset:8192
	s_waitcnt lgkmcnt(0)
	s_barrier
	s_and_saveexec_b64 s[2:3], s[0:1]
	s_cbranch_execz .LBB91_49
; %bb.47:
	s_cmp_lt_u32 s6, s7
	v_cmp_gt_i32_e32 vcc, s37, v18
	s_cselect_b64 s[0:1], -1, 0
	s_or_b64 s[0:1], vcc, s[0:1]
	s_and_b64 exec, exec, s[0:1]
	s_cbranch_execz .LBB91_49
; %bb.48:
	v_add_u32_e32 v19, 0x2000, v6
	ds_read2_b64 v[6:9], v19 offset1:32
	ds_read2_b64 v[10:13], v19 offset0:64 offset1:96
	ds_read2_b64 v[14:17], v19 offset0:128 offset1:160
	;; [unrolled: 1-line block ×3, first 2 shown]
	v_cmp_neq_f64_e32 vcc, 0, v[2:3]
	s_waitcnt lgkmcnt(3)
	v_add_f64 v[6:7], v[6:7], 0
	v_add_f64 v[6:7], v[6:7], v[8:9]
	s_waitcnt lgkmcnt(2)
	v_add_f64 v[6:7], v[6:7], v[10:11]
	v_add_f64 v[6:7], v[6:7], v[12:13]
	;; [unrolled: 3-line block ×4, first 2 shown]
	v_mad_u64_u32 v[2:3], s[0:1], v18, s10, 0
	v_mul_f64 v[8:9], v[4:5], v[6:7]
	v_fmac_f64_e32 v[0:1], v[4:5], v[6:7]
	v_mov_b32_e32 v4, v3
	v_mad_u64_u32 v[4:5], s[0:1], v18, s11, v[4:5]
	v_mov_b32_e32 v3, v4
	v_lshlrev_b64 v[2:3], 3, v[2:3]
	v_cndmask_b32_e32 v1, v9, v1, vcc
	v_cndmask_b32_e32 v0, v8, v0, vcc
	v_mov_b32_e32 v4, s36
	v_add_co_u32_e32 v2, vcc, s33, v2
	v_addc_co_u32_e32 v3, vcc, v4, v3, vcc
	global_store_dwordx2 v[2:3], v[0:1], off
.LBB91_49:
	s_endpgm
.LBB91_50:
	ds_read_b64 v[12:13], v10
	v_add_lshl_u32 v11, v7, v18, 3
	s_waitcnt lgkmcnt(0)
	ds_write_b64 v11, v[12:13]
	s_or_b64 exec, exec, s[2:3]
	v_cmp_lt_u32_e32 vcc, 24, v9
	s_and_saveexec_b64 s[2:3], vcc
	s_cbranch_execz .LBB91_42
.LBB91_51:
	ds_read_b64 v[10:11], v10 offset:64
	s_waitcnt lgkmcnt(0)
	ds_write_b64 v20, v[10:11] offset:6144
	s_or_b64 exec, exec, s[2:3]
	v_cmp_ge_u32_e32 vcc, v18, v19
	s_and_saveexec_b64 s[2:3], vcc
	s_cbranch_execnz .LBB91_43
	s_branch .LBB91_44
	.section	.rodata,"a",@progbits
	.p2align	6, 0x0
	.amdhsa_kernel _ZL58rocblas_symv_kernel_upper_double_buffered_diagonal_genericILi32ELi8E24rocblas_internal_val_ptrIdEPKdPdEvbiT1_lT2_lllS6_lllS5_lT3_lllii
		.amdhsa_group_segment_fixed_size 12544
		.amdhsa_private_segment_fixed_size 0
		.amdhsa_kernarg_size 400
		.amdhsa_user_sgpr_count 6
		.amdhsa_user_sgpr_private_segment_buffer 1
		.amdhsa_user_sgpr_dispatch_ptr 0
		.amdhsa_user_sgpr_queue_ptr 0
		.amdhsa_user_sgpr_kernarg_segment_ptr 1
		.amdhsa_user_sgpr_dispatch_id 0
		.amdhsa_user_sgpr_flat_scratch_init 0
		.amdhsa_user_sgpr_kernarg_preload_length 0
		.amdhsa_user_sgpr_kernarg_preload_offset 0
		.amdhsa_user_sgpr_private_segment_size 0
		.amdhsa_uses_dynamic_stack 0
		.amdhsa_system_sgpr_private_segment_wavefront_offset 0
		.amdhsa_system_sgpr_workgroup_id_x 1
		.amdhsa_system_sgpr_workgroup_id_y 0
		.amdhsa_system_sgpr_workgroup_id_z 1
		.amdhsa_system_sgpr_workgroup_info 0
		.amdhsa_system_vgpr_workitem_id 1
		.amdhsa_next_free_vgpr 40
		.amdhsa_next_free_sgpr 42
		.amdhsa_accum_offset 40
		.amdhsa_reserve_vcc 1
		.amdhsa_reserve_flat_scratch 0
		.amdhsa_float_round_mode_32 0
		.amdhsa_float_round_mode_16_64 0
		.amdhsa_float_denorm_mode_32 3
		.amdhsa_float_denorm_mode_16_64 3
		.amdhsa_dx10_clamp 1
		.amdhsa_ieee_mode 1
		.amdhsa_fp16_overflow 0
		.amdhsa_tg_split 0
		.amdhsa_exception_fp_ieee_invalid_op 0
		.amdhsa_exception_fp_denorm_src 0
		.amdhsa_exception_fp_ieee_div_zero 0
		.amdhsa_exception_fp_ieee_overflow 0
		.amdhsa_exception_fp_ieee_underflow 0
		.amdhsa_exception_fp_ieee_inexact 0
		.amdhsa_exception_int_div_zero 0
	.end_amdhsa_kernel
	.section	.text._ZL58rocblas_symv_kernel_upper_double_buffered_diagonal_genericILi32ELi8E24rocblas_internal_val_ptrIdEPKdPdEvbiT1_lT2_lllS6_lllS5_lT3_lllii,"axG",@progbits,_ZL58rocblas_symv_kernel_upper_double_buffered_diagonal_genericILi32ELi8E24rocblas_internal_val_ptrIdEPKdPdEvbiT1_lT2_lllS6_lllS5_lT3_lllii,comdat
.Lfunc_end91:
	.size	_ZL58rocblas_symv_kernel_upper_double_buffered_diagonal_genericILi32ELi8E24rocblas_internal_val_ptrIdEPKdPdEvbiT1_lT2_lllS6_lllS5_lT3_lllii, .Lfunc_end91-_ZL58rocblas_symv_kernel_upper_double_buffered_diagonal_genericILi32ELi8E24rocblas_internal_val_ptrIdEPKdPdEvbiT1_lT2_lllS6_lllS5_lT3_lllii
                                        ; -- End function
	.section	.AMDGPU.csdata,"",@progbits
; Kernel info:
; codeLenInByte = 2572
; NumSgprs: 46
; NumVgprs: 40
; NumAgprs: 0
; TotalNumVgprs: 40
; ScratchSize: 0
; MemoryBound: 0
; FloatMode: 240
; IeeeMode: 1
; LDSByteSize: 12544 bytes/workgroup (compile time only)
; SGPRBlocks: 5
; VGPRBlocks: 4
; NumSGPRsForWavesPerEU: 46
; NumVGPRsForWavesPerEU: 40
; AccumOffset: 40
; Occupancy: 5
; WaveLimiterHint : 0
; COMPUTE_PGM_RSRC2:SCRATCH_EN: 0
; COMPUTE_PGM_RSRC2:USER_SGPR: 6
; COMPUTE_PGM_RSRC2:TRAP_HANDLER: 0
; COMPUTE_PGM_RSRC2:TGID_X_EN: 1
; COMPUTE_PGM_RSRC2:TGID_Y_EN: 0
; COMPUTE_PGM_RSRC2:TGID_Z_EN: 1
; COMPUTE_PGM_RSRC2:TIDIG_COMP_CNT: 1
; COMPUTE_PGM_RSRC3_GFX90A:ACCUM_OFFSET: 9
; COMPUTE_PGM_RSRC3_GFX90A:TG_SPLIT: 0
	.section	.text._ZL62rocblas_symv_kernel_upper_double_buffered_non_diagonal_genericILi32ELi8ELi2ELi0E24rocblas_internal_val_ptrIdEPKdPdEvbiT3_lT4_lllS6_lllT5_lllii,"axG",@progbits,_ZL62rocblas_symv_kernel_upper_double_buffered_non_diagonal_genericILi32ELi8ELi2ELi0E24rocblas_internal_val_ptrIdEPKdPdEvbiT3_lT4_lllS6_lllT5_lllii,comdat
	.globl	_ZL62rocblas_symv_kernel_upper_double_buffered_non_diagonal_genericILi32ELi8ELi2ELi0E24rocblas_internal_val_ptrIdEPKdPdEvbiT3_lT4_lllS6_lllT5_lllii ; -- Begin function _ZL62rocblas_symv_kernel_upper_double_buffered_non_diagonal_genericILi32ELi8ELi2ELi0E24rocblas_internal_val_ptrIdEPKdPdEvbiT3_lT4_lllS6_lllT5_lllii
	.p2align	8
	.type	_ZL62rocblas_symv_kernel_upper_double_buffered_non_diagonal_genericILi32ELi8ELi2ELi0E24rocblas_internal_val_ptrIdEPKdPdEvbiT3_lT4_lllS6_lllT5_lllii,@function
_ZL62rocblas_symv_kernel_upper_double_buffered_non_diagonal_genericILi32ELi8ELi2ELi0E24rocblas_internal_val_ptrIdEPKdPdEvbiT3_lT4_lllS6_lllT5_lllii: ; @_ZL62rocblas_symv_kernel_upper_double_buffered_non_diagonal_genericILi32ELi8ELi2ELi0E24rocblas_internal_val_ptrIdEPKdPdEvbiT3_lT4_lllS6_lllT5_lllii
; %bb.0:
	s_load_dword s0, s[4:5], 0x0
	s_load_dwordx16 s[12:27], s[4:5], 0x8
	s_waitcnt lgkmcnt(0)
	s_bitcmp1_b32 s0, 0
	s_cselect_b64 s[0:1], -1, 0
	s_and_b64 vcc, exec, s[0:1]
	v_pk_mov_b32 v[12:13], s[12:13], s[12:13] op_sel:[0,1]
	s_cbranch_vccnz .LBB92_2
; %bb.1:
	s_mul_i32 s0, s8, s15
	s_mul_hi_u32 s1, s8, s14
	s_add_i32 s1, s1, s0
	s_mul_i32 s0, s8, s14
	s_lshl_b64 s[0:1], s[0:1], 3
	s_add_u32 s0, s12, s0
	s_addc_u32 s1, s13, s1
	v_pk_mov_b32 v[2:3], s[0:1], s[0:1] op_sel:[0,1]
	flat_load_dwordx2 v[12:13], v[2:3]
.LBB92_2:
	s_waitcnt vmcnt(0) lgkmcnt(0)
	v_cmp_neq_f64_e32 vcc, 0, v[12:13]
	s_and_saveexec_b64 s[0:1], vcc
	s_cbranch_execz .LBB92_40
; %bb.3:
	s_load_dword s2, s[4:5], 0x84
	s_add_u32 s0, s4, 0x80
	s_addc_u32 s1, s5, 0
	s_cmp_eq_u32 s6, 0
	s_waitcnt lgkmcnt(0)
	v_cvt_f32_u32_e32 v1, s2
	v_rcp_iflag_f32_e32 v1, v1
	v_mul_f32_e32 v1, 0x4f7ffffe, v1
	v_cvt_u32_f32_e32 v1, v1
	v_readfirstlane_b32 s3, v1
	s_cbranch_scc1 .LBB92_40
; %bb.4:
	s_sub_i32 s9, 0, s2
	s_mul_i32 s9, s9, s3
	s_mul_hi_u32 s9, s3, s9
	s_add_i32 s3, s3, s9
	s_mul_hi_u32 s3, s6, s3
	s_mul_i32 s9, s3, s2
	s_sub_i32 s9, s6, s9
	s_add_i32 s10, s3, 1
	s_sub_i32 s11, s9, s2
	s_cmp_ge_u32 s9, s2
	s_cselect_b32 s3, s10, s3
	s_cselect_b32 s9, s11, s9
	s_add_i32 s10, s3, 1
	s_cmp_ge_u32 s9, s2
	s_cselect_b32 s9, s10, s3
	s_add_i32 s3, s2, -1
	s_cmp_lg_u32 s7, s3
	s_mov_b32 s34, s9
	s_cbranch_scc1 .LBB92_6
; %bb.5:
	s_mul_i32 s2, s9, s2
	s_sub_i32 s2, s6, s2
	s_add_i32 s34, s2, s9
.LBB92_6:
	s_cmp_eq_u32 s34, 0
	s_cbranch_scc1 .LBB92_40
; %bb.7:
	s_load_dwordx4 s[28:31], s[4:5], 0x48
	s_load_dword s33, s[4:5], 0x78
	v_and_b32_e32 v46, 0x3ff, v0
	v_bfe_u32 v0, v0, 10, 10
	v_lshl_add_u32 v1, v0, 5, v46
	s_waitcnt lgkmcnt(0)
	s_mul_i32 s3, s8, s31
	s_mul_hi_u32 s10, s8, s30
	s_mul_i32 s2, s8, s30
	s_add_i32 s3, s10, s3
	s_lshl_b64 s[2:3], s[2:3], 3
	s_add_u32 s10, s24, s2
	s_addc_u32 s11, s25, s3
	s_lshl_b64 s[2:3], s[26:27], 3
	s_add_u32 s31, s10, s2
	s_addc_u32 s35, s11, s3
	s_lshl_b32 s26, s6, 5
	s_ashr_i32 s27, s26, 31
	s_mul_i32 s2, s26, s29
	s_mul_hi_u32 s3, s26, s28
	s_load_dword s30, s[0:1], 0x0
	s_add_i32 s2, s3, s2
	s_mul_i32 s3, s27, s28
	s_add_i32 s3, s2, s3
	s_mul_i32 s2, s26, s28
	s_lshl_b64 s[0:1], s[2:3], 3
	s_add_u32 s14, s31, s0
	s_addc_u32 s15, s35, s1
	s_waitcnt lgkmcnt(0)
	s_add_i32 s30, s30, -1
	s_cmp_lg_u32 s6, s30
	s_cselect_b64 s[2:3], -1, 0
	v_and_b32_e32 v14, 15, v46
	v_lshrrev_b32_e32 v6, 4, v1
	v_cmp_eq_u32_e64 s[0:1], 0, v0
	s_mov_b64 s[10:11], -1
	s_and_b64 vcc, exec, s[2:3]
	s_cbranch_vccnz .LBB92_13
; %bb.8:
	s_and_saveexec_b64 s[10:11], s[0:1]
	s_cbranch_execz .LBB92_12
; %bb.9:
	v_cmp_gt_i32_e32 vcc, s33, v46
	v_pk_mov_b32 v[0:1], 0, 0
	s_and_saveexec_b64 s[12:13], vcc
	s_cbranch_execz .LBB92_11
; %bb.10:
	v_mad_u64_u32 v[0:1], s[24:25], v46, s28, 0
	v_mov_b32_e32 v2, v1
	v_mad_u64_u32 v[2:3], s[24:25], v46, s29, v[2:3]
	v_mov_b32_e32 v1, v2
	v_lshlrev_b64 v[0:1], 3, v[0:1]
	v_mov_b32_e32 v2, s15
	v_add_co_u32_e32 v0, vcc, s14, v0
	v_addc_co_u32_e32 v1, vcc, v2, v1, vcc
	global_load_dwordx2 v[0:1], v[0:1], off
.LBB92_11:
	s_or_b64 exec, exec, s[12:13]
	v_lshlrev_b32_e32 v2, 3, v46
	s_waitcnt vmcnt(0)
	ds_write_b64 v2, v[0:1] offset:8192
.LBB92_12:
	s_or_b64 exec, exec, s[10:11]
	s_mov_b32 s10, 0
	v_lshlrev_b32_e32 v0, 3, v14
	s_mov_b32 s11, s10
	v_lshl_or_b32 v2, v6, 8, v0
	v_pk_mov_b32 v[0:1], s[10:11], s[10:11] op_sel:[0,1]
	ds_write2_b64 v2, v[0:1], v[0:1] offset1:16
	v_add_u32_e32 v2, 0x1000, v2
	s_mov_b64 s[10:11], 0
	ds_write2_b64 v2, v[0:1], v[0:1] offset1:16
.LBB92_13:
	s_load_dwordx2 s[24:25], s[4:5], 0x58
	s_and_b64 vcc, exec, s[10:11]
	s_cbranch_vccz .LBB92_17
; %bb.14:
	s_and_saveexec_b64 s[10:11], s[0:1]
	s_cbranch_execz .LBB92_16
; %bb.15:
	v_mad_u64_u32 v[0:1], s[12:13], v46, s28, 0
	v_mov_b32_e32 v2, v1
	v_mad_u64_u32 v[2:3], s[12:13], v46, s29, v[2:3]
	v_mov_b32_e32 v1, v2
	v_lshlrev_b64 v[0:1], 3, v[0:1]
	v_mov_b32_e32 v2, s15
	v_add_co_u32_e32 v0, vcc, s14, v0
	v_addc_co_u32_e32 v1, vcc, v2, v1, vcc
	global_load_dwordx2 v[0:1], v[0:1], off
	v_lshlrev_b32_e32 v2, 3, v46
	s_waitcnt vmcnt(0)
	ds_write_b64 v2, v[0:1] offset:8192
.LBB92_16:
	s_or_b64 exec, exec, s[10:11]
.LBB92_17:
	s_lshr_b32 s10, s33, 31
	s_add_i32 s10, s33, s10
	s_ashr_i32 s14, s10, 1
	s_mul_i32 s10, s8, s23
	s_mul_hi_u32 s11, s8, s22
	s_add_i32 s11, s11, s10
	s_mul_i32 s10, s8, s22
	s_lshl_b64 s[10:11], s[10:11], 3
	s_add_u32 s12, s16, s10
	s_addc_u32 s13, s17, s11
	s_lshl_b64 s[10:11], s[18:19], 3
	s_add_u32 s12, s12, s10
	s_addc_u32 s13, s13, s11
	s_mul_i32 s10, s26, s21
	s_mul_hi_u32 s11, s26, s20
	s_add_i32 s10, s11, s10
	s_mul_i32 s11, s27, s20
	s_add_i32 s11, s10, s11
	s_mul_i32 s10, s26, s20
	s_lshl_b64 s[10:11], s[10:11], 3
	s_add_u32 s15, s12, s10
	s_mul_i32 s7, s7, s9
	s_addc_u32 s16, s13, s11
	s_lshl_b32 s10, s7, 5
	s_ashr_i32 s11, s10, 31
	s_lshl_b64 s[12:13], s[10:11], 3
	s_add_u32 s7, s15, s12
	v_lshlrev_b32_e32 v7, 1, v6
	v_mov_b32_e32 v15, 0
	s_addc_u32 s18, s16, s13
	v_mad_u64_u32 v[4:5], s[12:13], v7, s20, v[14:15]
	v_mov_b32_e32 v0, v5
	v_mad_u64_u32 v[0:1], s[12:13], v7, s21, v[0:1]
	s_mov_b32 s12, 0
	s_mov_b32 s13, s12
	v_mov_b32_e32 v5, v0
	v_cmp_gt_i32_e32 vcc, s14, v6
	s_mov_b32 s14, s12
	s_mov_b32 s15, s12
	v_pk_mov_b32 v[0:1], s[12:13], s[12:13] op_sel:[0,1]
	s_or_b64 s[2:3], s[2:3], vcc
	v_pk_mov_b32 v[2:3], s[14:15], s[14:15] op_sel:[0,1]
	v_lshlrev_b64 v[16:17], 3, v[4:5]
	s_waitcnt lgkmcnt(0)
	s_barrier
	s_and_saveexec_b64 s[12:13], s[2:3]
	s_cbranch_execz .LBB92_19
; %bb.18:
	v_mov_b32_e32 v0, s18
	v_add_co_u32_e32 v8, vcc, s7, v16
	v_addc_co_u32_e32 v9, vcc, v0, v17, vcc
	s_lshl_b64 s[14:15], s[20:21], 3
	v_mov_b32_e32 v0, s15
	v_add_co_u32_e32 v10, vcc, s14, v8
	v_addc_co_u32_e32 v11, vcc, v9, v0, vcc
	global_load_dwordx2 v[0:1], v[8:9], off
	global_load_dwordx2 v[2:3], v[10:11], off
.LBB92_19:
	s_or_b64 exec, exec, s[12:13]
	s_load_dwordx2 s[16:17], s[4:5], 0x70
	s_load_dwordx4 s[12:15], s[4:5], 0x60
	v_lshl_or_b32 v15, v6, 5, v14
	s_waitcnt lgkmcnt(0)
	s_mul_i32 s5, s8, s17
	s_mul_hi_u32 s9, s8, s16
	s_mul_i32 s4, s8, s16
	s_add_i32 s5, s9, s5
	s_lshl_b64 s[4:5], s[4:5], 3
	s_add_u32 s8, s24, s4
	s_addc_u32 s9, s25, s5
	s_lshl_b64 s[4:5], s[12:13], 3
	s_add_u32 s19, s8, s4
	s_addc_u32 s22, s9, s5
	s_cmp_gt_i32 s34, 0
	s_cbranch_scc1 .LBB92_21
; %bb.20:
	v_lshl_or_b32 v6, v6, 5, v14
	v_or_b32_e32 v47, 16, v6
	s_mov_b64 s[8:9], 0
	v_pk_mov_b32 v[24:25], s[8:9], s[8:9] op_sel:[0,1]
	v_pk_mov_b32 v[20:21], s[8:9], s[8:9] op_sel:[0,1]
	s_cbranch_execz .LBB92_22
	s_branch .LBB92_36
.LBB92_21:
                                        ; implicit-def: $sgpr8_sgpr9
                                        ; implicit-def: $vgpr6
                                        ; implicit-def: $vgpr47
	v_pk_mov_b32 v[24:25], s[8:9], s[8:9] op_sel:[0,1]
	v_pk_mov_b32 v[20:21], s[8:9], s[8:9] op_sel:[0,1]
.LBB92_22:
	v_mad_u64_u32 v[8:9], s[4:5], v14, s28, 0
	v_mov_b32_e32 v6, v9
	v_mad_u64_u32 v[10:11], s[4:5], v14, s29, v[6:7]
	s_mul_i32 s4, s10, s29
	s_mul_hi_u32 s5, s10, s28
	s_add_i32 s4, s5, s4
	s_mul_i32 s5, s11, s28
	s_add_i32 s5, s4, s5
	s_mul_i32 s4, s10, s28
	s_lshl_b64 s[4:5], s[4:5], 3
	v_mov_b32_e32 v9, v10
	s_add_u32 s23, s31, s4
	s_addc_u32 s24, s35, s5
	v_lshlrev_b64 v[18:19], 3, v[8:9]
	v_mov_b32_e32 v6, s24
	v_add_co_u32_e32 v8, vcc, s23, v18
	v_addc_co_u32_e32 v9, vcc, v6, v19, vcc
	global_load_dwordx2 v[22:23], v[8:9], off
	s_mul_i32 s4, s10, s15
	s_mul_hi_u32 s5, s10, s14
	s_add_i32 s4, s5, s4
	s_mul_i32 s5, s11, s14
	s_add_i32 s5, s4, s5
	s_mul_i32 s4, s10, s14
	s_lshl_b64 s[4:5], s[4:5], 3
	s_add_u32 s10, s19, s4
	v_or_b32_e32 v10, 16, v14
	s_addc_u32 s11, s22, s5
	v_mad_u64_u32 v[8:9], s[4:5], v10, s28, 0
	v_mov_b32_e32 v6, v9
	v_mad_u64_u32 v[10:11], s[4:5], v10, s29, v[6:7]
	v_mov_b32_e32 v9, v10
	;; [unrolled: 2-line block ×4, first 2 shown]
	v_lshl_add_u32 v49, v7, 3, v6
	v_mov_b32_e32 v6, s21
	v_add_co_u32_e32 v4, vcc, s20, v4
	v_mov_b32_e32 v11, v20
	v_addc_co_u32_e32 v5, vcc, v5, v6, vcc
	v_pk_mov_b32 v[20:21], 0, 0
	s_lshl_b64 s[4:5], s[28:29], 8
	s_add_i32 s25, s34, -1
	v_lshlrev_b32_e32 v48, 3, v15
	v_or_b32_e32 v47, 16, v15
	s_lshl_b64 s[8:9], s[14:15], 8
	v_lshlrev_b32_e32 v50, 3, v46
	s_mov_b32 s28, 0
	v_pk_mov_b32 v[26:27], s[10:11], s[10:11] op_sel:[0,1]
	v_lshlrev_b64 v[28:29], 3, v[8:9]
	v_lshlrev_b64 v[30:31], 3, v[4:5]
	s_lshl_b64 s[10:11], s[20:21], 3
	v_lshlrev_b64 v[32:33], 3, v[10:11]
	v_pk_mov_b32 v[24:25], v[20:21], v[20:21] op_sel:[0,1]
	v_pk_mov_b32 v[34:35], v[20:21], v[20:21] op_sel:[0,1]
	;; [unrolled: 1-line block ×3, first 2 shown]
.LBB92_23:                              ; =>This Loop Header: Depth=1
                                        ;     Child Loop BB92_31 Depth 2
	v_mov_b32_e32 v5, s24
	v_add_co_u32_e32 v4, vcc, s23, v28
	v_addc_co_u32_e32 v5, vcc, v5, v29, vcc
	global_load_dwordx2 v[38:39], v[4:5], off
	s_and_saveexec_b64 s[12:13], s[2:3]
	s_cbranch_execz .LBB92_25
; %bb.24:                               ;   in Loop: Header=BB92_23 Depth=1
	v_mov_b32_e32 v7, s18
	v_add_co_u32_e32 v4, vcc, s7, v30
	v_addc_co_u32_e32 v5, vcc, v7, v31, vcc
	v_add_co_u32_e32 v6, vcc, s7, v16
	v_addc_co_u32_e32 v7, vcc, v7, v17, vcc
	global_load_dwordx2 v[34:35], v[6:7], off offset:128
	global_load_dwordx2 v[36:37], v[4:5], off offset:128
.LBB92_25:                              ;   in Loop: Header=BB92_23 Depth=1
	s_or_b64 exec, exec, s[12:13]
	ds_read_b128 v[8:11], v49
	s_add_u32 s23, s23, s4
	s_addc_u32 s24, s24, s5
	s_waitcnt vmcnt(2)
	v_pk_mov_b32 v[6:7], v[2:3], v[2:3] op_sel:[0,1]
	s_cmp_eq_u32 s28, s25
	s_waitcnt vmcnt(1)
	v_pk_mov_b32 v[40:41], v[22:23], v[22:23] op_sel:[0,1]
	v_pk_mov_b32 v[4:5], v[0:1], v[0:1] op_sel:[0,1]
	s_cbranch_scc1 .LBB92_29
; %bb.26:                               ;   in Loop: Header=BB92_23 Depth=1
	v_pk_mov_b32 v[6:7], v[2:3], v[2:3] op_sel:[0,1]
	v_pk_mov_b32 v[4:5], v[0:1], v[0:1] op_sel:[0,1]
	s_and_saveexec_b64 s[12:13], s[2:3]
	s_cbranch_execz .LBB92_28
; %bb.27:                               ;   in Loop: Header=BB92_23 Depth=1
	v_mov_b32_e32 v4, s18
	v_add_co_u32_e32 v40, vcc, s7, v16
	v_addc_co_u32_e32 v41, vcc, v4, v17, vcc
	v_mov_b32_e32 v4, s11
	v_add_co_u32_e32 v42, vcc, s10, v40
	v_addc_co_u32_e32 v43, vcc, v41, v4, vcc
	global_load_dwordx2 v[4:5], v[40:41], off offset:256
	global_load_dwordx2 v[6:7], v[42:43], off offset:256
.LBB92_28:                              ;   in Loop: Header=BB92_23 Depth=1
	s_or_b64 exec, exec, s[12:13]
	v_mov_b32_e32 v41, s24
	v_add_co_u32_e32 v40, vcc, s23, v18
	v_addc_co_u32_e32 v41, vcc, v41, v19, vcc
	global_load_dwordx2 v[40:41], v[40:41], off
.LBB92_29:                              ;   in Loop: Header=BB92_23 Depth=1
	s_waitcnt lgkmcnt(0)
	v_fma_f64 v[42:43], v[0:1], v[8:9], 0
	v_fma_f64 v[8:9], v[34:35], v[8:9], 0
	v_fmac_f64_e32 v[42:43], v[2:3], v[10:11]
	s_waitcnt vmcnt(0)
	v_fmac_f64_e32 v[8:9], v[36:37], v[10:11]
	s_barrier
	ds_write2_b64 v48, v[42:43], v[8:9] offset1:16
	s_waitcnt lgkmcnt(0)
	s_barrier
	s_and_saveexec_b64 s[12:13], s[0:1]
	s_cbranch_execz .LBB92_33
; %bb.30:                               ;   in Loop: Header=BB92_23 Depth=1
	v_add_co_u32_e32 v42, vcc, v26, v32
	v_addc_co_u32_e32 v43, vcc, v27, v33, vcc
	global_load_dwordx2 v[10:11], v[42:43], off
	ds_read2_b64 v[52:55], v50 offset1:32
	ds_read2_b64 v[56:59], v50 offset0:64 offset1:96
	ds_read2_b64 v[60:63], v50 offset0:128 offset1:160
	v_add_u32_e32 v44, 0x800, v50
	s_mov_b64 s[16:17], 0
	s_waitcnt lgkmcnt(2)
	v_add_f64 v[8:9], v[52:53], 0
	v_add_f64 v[8:9], v[8:9], v[54:55]
	ds_read2_b64 v[52:55], v50 offset0:192 offset1:224
	s_waitcnt lgkmcnt(2)
	v_add_f64 v[8:9], v[8:9], v[56:57]
	v_add_f64 v[8:9], v[8:9], v[58:59]
	s_waitcnt lgkmcnt(1)
	v_add_f64 v[8:9], v[8:9], v[60:61]
	ds_read2_b64 v[56:59], v44 offset1:32
	v_add_f64 v[8:9], v[8:9], v[62:63]
	s_waitcnt lgkmcnt(1)
	v_add_f64 v[8:9], v[8:9], v[52:53]
	v_add_f64 v[8:9], v[8:9], v[54:55]
	ds_read2_b64 v[52:55], v44 offset0:64 offset1:96
	ds_read2_b64 v[60:63], v44 offset0:128 offset1:160
	s_waitcnt lgkmcnt(2)
	v_add_f64 v[8:9], v[8:9], v[56:57]
	v_add_f64 v[8:9], v[8:9], v[58:59]
	ds_read2_b64 v[56:59], v44 offset0:192 offset1:224
	s_waitcnt lgkmcnt(2)
	v_add_f64 v[8:9], v[8:9], v[52:53]
	v_add_f64 v[8:9], v[8:9], v[54:55]
	s_waitcnt lgkmcnt(1)
	v_add_f64 v[8:9], v[8:9], v[60:61]
	v_add_f64 v[8:9], v[8:9], v[62:63]
	;; [unrolled: 3-line block ×3, first 2 shown]
	v_mul_f64 v[44:45], v[12:13], v[8:9]
.LBB92_31:                              ;   Parent Loop BB92_23 Depth=1
                                        ; =>  This Inner Loop Header: Depth=2
	s_waitcnt vmcnt(0)
	v_add_f64 v[8:9], v[10:11], v[44:45]
	global_atomic_cmpswap_x2 v[8:9], v[42:43], v[8:11], off glc
	s_waitcnt vmcnt(0)
	v_cmp_eq_u64_e32 vcc, v[8:9], v[10:11]
	s_or_b64 s[16:17], vcc, s[16:17]
	v_pk_mov_b32 v[10:11], v[8:9], v[8:9] op_sel:[0,1]
	s_andn2_b64 exec, exec, s[16:17]
	s_cbranch_execnz .LBB92_31
; %bb.32:                               ;   in Loop: Header=BB92_23 Depth=1
	s_or_b64 exec, exec, s[16:17]
	v_mov_b32_e32 v8, s9
	v_add_co_u32_e32 v26, vcc, s8, v26
	v_addc_co_u32_e32 v27, vcc, v27, v8, vcc
.LBB92_33:                              ;   in Loop: Header=BB92_23 Depth=1
	s_or_b64 exec, exec, s[12:13]
	s_add_u32 s7, s7, 0x100
	v_fmac_f64_e32 v[20:21], v[22:23], v[0:1]
	v_fmac_f64_e32 v[24:25], v[22:23], v[2:3]
	s_addc_u32 s18, s18, 0
	s_add_i32 s28, s28, 1
	v_fmac_f64_e32 v[20:21], v[38:39], v[34:35]
	v_fmac_f64_e32 v[24:25], v[38:39], v[36:37]
	s_cmp_eq_u32 s28, s34
	s_cbranch_scc1 .LBB92_35
; %bb.34:                               ;   in Loop: Header=BB92_23 Depth=1
	v_pk_mov_b32 v[0:1], v[4:5], v[4:5] op_sel:[0,1]
	v_pk_mov_b32 v[22:23], v[40:41], v[40:41] op_sel:[0,1]
	;; [unrolled: 1-line block ×3, first 2 shown]
	s_branch .LBB92_23
.LBB92_35:
	v_mov_b32_e32 v6, v15
.LBB92_36:
	s_waitcnt vmcnt(1)
	v_lshlrev_b32_e32 v0, 3, v6
	ds_write_b64 v0, v[20:21] offset:4096
	v_lshlrev_b32_e32 v0, 3, v47
	ds_write_b64 v0, v[24:25] offset:4096
	s_waitcnt lgkmcnt(0)
	s_barrier
	s_and_b64 exec, exec, s[0:1]
	s_cbranch_execz .LBB92_40
; %bb.37:
	s_cmp_lt_u32 s6, s30
	v_cmp_gt_i32_e32 vcc, s33, v46
	s_cselect_b64 s[0:1], -1, 0
	s_or_b64 s[0:1], vcc, s[0:1]
	s_and_b64 exec, exec, s[0:1]
	s_cbranch_execz .LBB92_40
; %bb.38:
	s_mul_i32 s0, s26, s15
	s_mul_hi_u32 s1, s26, s14
	s_add_i32 s0, s1, s0
	s_mul_i32 s1, s27, s14
	s_add_i32 s1, s0, s1
	s_mul_i32 s0, s26, s14
	s_lshl_b64 s[0:1], s[0:1], 3
	s_add_u32 s2, s19, s0
	s_addc_u32 s3, s22, s1
	v_mad_u64_u32 v[0:1], s[0:1], v46, s14, 0
	s_waitcnt vmcnt(0)
	v_mov_b32_e32 v2, v1
	v_mad_u64_u32 v[2:3], s[0:1], v46, s15, v[2:3]
	v_mov_b32_e32 v1, v2
	v_lshlrev_b64 v[0:1], 3, v[0:1]
	v_mov_b32_e32 v2, s3
	v_add_co_u32_e32 v4, vcc, s2, v0
	v_addc_co_u32_e32 v5, vcc, v2, v1, vcc
	global_load_dwordx2 v[2:3], v[4:5], off
	v_lshlrev_b32_e32 v18, 4, v46
	v_add_u32_e32 v1, 1, v46
	v_and_or_b32 v1, v1, 15, v18
	v_lshlrev_b32_e32 v6, 3, v1
	v_add_u32_e32 v1, 2, v46
	v_or_b32_e32 v19, v14, v18
	v_and_or_b32 v1, v1, 15, v18
	v_lshlrev_b32_e32 v0, 3, v19
	v_lshlrev_b32_e32 v8, 3, v1
	v_add_u32_e32 v1, 3, v46
	v_and_or_b32 v10, v1, 15, v18
	ds_read_b64 v[0:1], v0 offset:4096
	ds_read_b64 v[6:7], v6 offset:4096
	;; [unrolled: 1-line block ×3, first 2 shown]
	v_lshlrev_b32_e32 v10, 3, v10
	ds_read_b64 v[10:11], v10 offset:4096
	s_waitcnt lgkmcnt(3)
	v_add_f64 v[0:1], v[0:1], 0
	s_waitcnt lgkmcnt(2)
	v_add_f64 v[0:1], v[0:1], v[6:7]
	v_add_u32_e32 v7, 5, v46
	v_and_or_b32 v7, v7, 15, v18
	s_waitcnt lgkmcnt(1)
	v_add_f64 v[0:1], v[0:1], v[8:9]
	v_lshlrev_b32_e32 v8, 3, v7
	v_add_u32_e32 v7, 6, v46
	v_and_or_b32 v7, v7, 15, v18
	v_add_u32_e32 v6, 4, v46
	v_lshlrev_b32_e32 v14, 3, v7
	v_add_u32_e32 v7, 7, v46
	v_and_or_b32 v6, v6, 15, v18
	v_and_or_b32 v7, v7, 15, v18
	v_lshlrev_b32_e32 v6, 3, v6
	v_lshlrev_b32_e32 v16, 3, v7
	ds_read_b64 v[6:7], v6 offset:4096
	ds_read_b64 v[8:9], v8 offset:4096
	;; [unrolled: 1-line block ×4, first 2 shown]
	s_waitcnt lgkmcnt(4)
	v_add_f64 v[0:1], v[0:1], v[10:11]
	s_waitcnt lgkmcnt(3)
	v_add_f64 v[0:1], v[0:1], v[6:7]
	v_add_u32_e32 v7, 9, v46
	v_and_or_b32 v7, v7, 15, v18
	s_waitcnt lgkmcnt(2)
	v_add_f64 v[0:1], v[0:1], v[8:9]
	v_lshlrev_b32_e32 v8, 3, v7
	v_add_u32_e32 v7, 10, v46
	v_xor_b32_e32 v6, 8, v19
	v_and_or_b32 v7, v7, 15, v18
	v_lshlrev_b32_e32 v6, 3, v6
	v_lshlrev_b32_e32 v10, 3, v7
	v_add_u32_e32 v7, 11, v46
	s_waitcnt lgkmcnt(1)
	v_add_f64 v[0:1], v[0:1], v[14:15]
	v_and_or_b32 v14, v7, 15, v18
	ds_read_b64 v[6:7], v6 offset:4096
	ds_read_b64 v[8:9], v8 offset:4096
	;; [unrolled: 1-line block ×3, first 2 shown]
	s_waitcnt lgkmcnt(3)
	v_add_f64 v[0:1], v[0:1], v[16:17]
	v_lshlrev_b32_e32 v14, 3, v14
	s_waitcnt lgkmcnt(2)
	v_add_f64 v[0:1], v[0:1], v[6:7]
	v_add_u32_e32 v7, 13, v46
	v_and_or_b32 v7, v7, 15, v18
	s_waitcnt lgkmcnt(1)
	v_add_f64 v[0:1], v[0:1], v[8:9]
	v_lshlrev_b32_e32 v8, 3, v7
	v_add_u32_e32 v7, 14, v46
	ds_read_b64 v[14:15], v14 offset:4096
	v_and_or_b32 v7, v7, 15, v18
	s_waitcnt lgkmcnt(1)
	v_add_f64 v[0:1], v[0:1], v[10:11]
	v_add_u32_e32 v6, 12, v46
	v_lshlrev_b32_e32 v10, 3, v7
	v_add_u32_e32 v7, -1, v46
	v_and_or_b32 v6, v6, 15, v18
	v_and_or_b32 v7, v7, 15, v18
	v_lshlrev_b32_e32 v6, 3, v6
	v_lshlrev_b32_e32 v16, 3, v7
	ds_read_b64 v[6:7], v6 offset:4096
	ds_read_b64 v[8:9], v8 offset:4096
	;; [unrolled: 1-line block ×4, first 2 shown]
	s_waitcnt lgkmcnt(4)
	v_add_f64 v[0:1], v[0:1], v[14:15]
	s_waitcnt lgkmcnt(3)
	v_add_f64 v[0:1], v[0:1], v[6:7]
	;; [unrolled: 2-line block ×5, first 2 shown]
	s_mov_b64 s[0:1], 0
	v_mul_f64 v[6:7], v[12:13], v[0:1]
.LBB92_39:                              ; =>This Inner Loop Header: Depth=1
	s_waitcnt vmcnt(0)
	v_add_f64 v[0:1], v[2:3], v[6:7]
	global_atomic_cmpswap_x2 v[0:1], v[4:5], v[0:3], off glc
	s_waitcnt vmcnt(0)
	v_cmp_eq_u64_e32 vcc, v[0:1], v[2:3]
	s_or_b64 s[0:1], vcc, s[0:1]
	v_pk_mov_b32 v[2:3], v[0:1], v[0:1] op_sel:[0,1]
	s_andn2_b64 exec, exec, s[0:1]
	s_cbranch_execnz .LBB92_39
.LBB92_40:
	s_endpgm
	.section	.rodata,"a",@progbits
	.p2align	6, 0x0
	.amdhsa_kernel _ZL62rocblas_symv_kernel_upper_double_buffered_non_diagonal_genericILi32ELi8ELi2ELi0E24rocblas_internal_val_ptrIdEPKdPdEvbiT3_lT4_lllS6_lllT5_lllii
		.amdhsa_group_segment_fixed_size 8448
		.amdhsa_private_segment_fixed_size 0
		.amdhsa_kernarg_size 384
		.amdhsa_user_sgpr_count 6
		.amdhsa_user_sgpr_private_segment_buffer 1
		.amdhsa_user_sgpr_dispatch_ptr 0
		.amdhsa_user_sgpr_queue_ptr 0
		.amdhsa_user_sgpr_kernarg_segment_ptr 1
		.amdhsa_user_sgpr_dispatch_id 0
		.amdhsa_user_sgpr_flat_scratch_init 0
		.amdhsa_user_sgpr_kernarg_preload_length 0
		.amdhsa_user_sgpr_kernarg_preload_offset 0
		.amdhsa_user_sgpr_private_segment_size 0
		.amdhsa_uses_dynamic_stack 0
		.amdhsa_system_sgpr_private_segment_wavefront_offset 0
		.amdhsa_system_sgpr_workgroup_id_x 1
		.amdhsa_system_sgpr_workgroup_id_y 1
		.amdhsa_system_sgpr_workgroup_id_z 1
		.amdhsa_system_sgpr_workgroup_info 0
		.amdhsa_system_vgpr_workitem_id 1
		.amdhsa_next_free_vgpr 64
		.amdhsa_next_free_sgpr 36
		.amdhsa_accum_offset 64
		.amdhsa_reserve_vcc 1
		.amdhsa_reserve_flat_scratch 0
		.amdhsa_float_round_mode_32 0
		.amdhsa_float_round_mode_16_64 0
		.amdhsa_float_denorm_mode_32 3
		.amdhsa_float_denorm_mode_16_64 3
		.amdhsa_dx10_clamp 1
		.amdhsa_ieee_mode 1
		.amdhsa_fp16_overflow 0
		.amdhsa_tg_split 0
		.amdhsa_exception_fp_ieee_invalid_op 0
		.amdhsa_exception_fp_denorm_src 0
		.amdhsa_exception_fp_ieee_div_zero 0
		.amdhsa_exception_fp_ieee_overflow 0
		.amdhsa_exception_fp_ieee_underflow 0
		.amdhsa_exception_fp_ieee_inexact 0
		.amdhsa_exception_int_div_zero 0
	.end_amdhsa_kernel
	.section	.text._ZL62rocblas_symv_kernel_upper_double_buffered_non_diagonal_genericILi32ELi8ELi2ELi0E24rocblas_internal_val_ptrIdEPKdPdEvbiT3_lT4_lllS6_lllT5_lllii,"axG",@progbits,_ZL62rocblas_symv_kernel_upper_double_buffered_non_diagonal_genericILi32ELi8ELi2ELi0E24rocblas_internal_val_ptrIdEPKdPdEvbiT3_lT4_lllS6_lllT5_lllii,comdat
.Lfunc_end92:
	.size	_ZL62rocblas_symv_kernel_upper_double_buffered_non_diagonal_genericILi32ELi8ELi2ELi0E24rocblas_internal_val_ptrIdEPKdPdEvbiT3_lT4_lllS6_lllT5_lllii, .Lfunc_end92-_ZL62rocblas_symv_kernel_upper_double_buffered_non_diagonal_genericILi32ELi8ELi2ELi0E24rocblas_internal_val_ptrIdEPKdPdEvbiT3_lT4_lllS6_lllT5_lllii
                                        ; -- End function
	.section	.AMDGPU.csdata,"",@progbits
; Kernel info:
; codeLenInByte = 2840
; NumSgprs: 40
; NumVgprs: 64
; NumAgprs: 0
; TotalNumVgprs: 64
; ScratchSize: 0
; MemoryBound: 1
; FloatMode: 240
; IeeeMode: 1
; LDSByteSize: 8448 bytes/workgroup (compile time only)
; SGPRBlocks: 4
; VGPRBlocks: 7
; NumSGPRsForWavesPerEU: 40
; NumVGPRsForWavesPerEU: 64
; AccumOffset: 64
; Occupancy: 7
; WaveLimiterHint : 0
; COMPUTE_PGM_RSRC2:SCRATCH_EN: 0
; COMPUTE_PGM_RSRC2:USER_SGPR: 6
; COMPUTE_PGM_RSRC2:TRAP_HANDLER: 0
; COMPUTE_PGM_RSRC2:TGID_X_EN: 1
; COMPUTE_PGM_RSRC2:TGID_Y_EN: 1
; COMPUTE_PGM_RSRC2:TGID_Z_EN: 1
; COMPUTE_PGM_RSRC2:TIDIG_COMP_CNT: 1
; COMPUTE_PGM_RSRC3_GFX90A:ACCUM_OFFSET: 15
; COMPUTE_PGM_RSRC3_GFX90A:TG_SPLIT: 0
	.section	.text._ZL62rocblas_symv_kernel_upper_double_buffered_non_diagonal_genericILi32ELi8ELi2ELi1E24rocblas_internal_val_ptrIdEPKdPdEvbiT3_lT4_lllS6_lllT5_lllii,"axG",@progbits,_ZL62rocblas_symv_kernel_upper_double_buffered_non_diagonal_genericILi32ELi8ELi2ELi1E24rocblas_internal_val_ptrIdEPKdPdEvbiT3_lT4_lllS6_lllT5_lllii,comdat
	.globl	_ZL62rocblas_symv_kernel_upper_double_buffered_non_diagonal_genericILi32ELi8ELi2ELi1E24rocblas_internal_val_ptrIdEPKdPdEvbiT3_lT4_lllS6_lllT5_lllii ; -- Begin function _ZL62rocblas_symv_kernel_upper_double_buffered_non_diagonal_genericILi32ELi8ELi2ELi1E24rocblas_internal_val_ptrIdEPKdPdEvbiT3_lT4_lllS6_lllT5_lllii
	.p2align	8
	.type	_ZL62rocblas_symv_kernel_upper_double_buffered_non_diagonal_genericILi32ELi8ELi2ELi1E24rocblas_internal_val_ptrIdEPKdPdEvbiT3_lT4_lllS6_lllT5_lllii,@function
_ZL62rocblas_symv_kernel_upper_double_buffered_non_diagonal_genericILi32ELi8ELi2ELi1E24rocblas_internal_val_ptrIdEPKdPdEvbiT3_lT4_lllS6_lllT5_lllii: ; @_ZL62rocblas_symv_kernel_upper_double_buffered_non_diagonal_genericILi32ELi8ELi2ELi1E24rocblas_internal_val_ptrIdEPKdPdEvbiT3_lT4_lllS6_lllT5_lllii
; %bb.0:
	s_load_dword s0, s[4:5], 0x0
	s_load_dwordx16 s[12:27], s[4:5], 0x8
	s_waitcnt lgkmcnt(0)
	s_bitcmp1_b32 s0, 0
	s_cselect_b64 s[0:1], -1, 0
	s_and_b64 vcc, exec, s[0:1]
	v_pk_mov_b32 v[12:13], s[12:13], s[12:13] op_sel:[0,1]
	s_cbranch_vccnz .LBB93_2
; %bb.1:
	s_mul_i32 s0, s8, s15
	s_mul_hi_u32 s1, s8, s14
	s_add_i32 s1, s1, s0
	s_mul_i32 s0, s8, s14
	s_lshl_b64 s[0:1], s[0:1], 3
	s_add_u32 s0, s12, s0
	s_addc_u32 s1, s13, s1
	v_pk_mov_b32 v[2:3], s[0:1], s[0:1] op_sel:[0,1]
	flat_load_dwordx2 v[12:13], v[2:3]
.LBB93_2:
	s_waitcnt vmcnt(0) lgkmcnt(0)
	v_cmp_neq_f64_e32 vcc, 0, v[12:13]
	s_and_saveexec_b64 s[0:1], vcc
	s_cbranch_execz .LBB93_64
; %bb.3:
	s_load_dword s2, s[4:5], 0x84
	s_add_u32 s0, s4, 0x80
	s_addc_u32 s1, s5, 0
	s_cmp_eq_u32 s6, 0
	s_waitcnt lgkmcnt(0)
	v_cvt_f32_u32_e32 v1, s2
	v_rcp_iflag_f32_e32 v1, v1
	v_mul_f32_e32 v1, 0x4f7ffffe, v1
	v_cvt_u32_f32_e32 v1, v1
	v_readfirstlane_b32 s3, v1
	s_cbranch_scc1 .LBB93_64
; %bb.4:
	s_sub_i32 s9, 0, s2
	s_mul_i32 s9, s9, s3
	s_mul_hi_u32 s9, s3, s9
	s_add_i32 s3, s3, s9
	s_mul_hi_u32 s3, s6, s3
	s_mul_i32 s9, s3, s2
	s_sub_i32 s9, s6, s9
	s_add_i32 s10, s3, 1
	s_sub_i32 s11, s9, s2
	s_cmp_ge_u32 s9, s2
	s_cselect_b32 s3, s10, s3
	s_cselect_b32 s9, s11, s9
	s_add_i32 s10, s3, 1
	s_cmp_ge_u32 s9, s2
	s_cselect_b32 s9, s10, s3
	s_add_i32 s3, s2, -1
	s_cmp_lg_u32 s7, s3
	s_mov_b32 s33, s9
	s_cbranch_scc1 .LBB93_6
; %bb.5:
	s_mul_i32 s2, s9, s2
	s_sub_i32 s2, s6, s2
	s_add_i32 s33, s2, s9
.LBB93_6:
	s_cmp_eq_u32 s33, 0
	s_cbranch_scc1 .LBB93_64
; %bb.7:
	s_load_dwordx4 s[28:31], s[4:5], 0x48
	v_and_b32_e32 v44, 0x3ff, v0
	v_bfe_u32 v1, v0, 10, 10
	v_lshl_add_u32 v0, v1, 5, v44
	s_waitcnt lgkmcnt(0)
	s_mul_i32 s3, s8, s31
	s_mul_hi_u32 s10, s8, s30
	s_mul_i32 s2, s8, s30
	s_add_i32 s3, s10, s3
	s_lshl_b64 s[2:3], s[2:3], 3
	s_add_u32 s10, s24, s2
	s_addc_u32 s11, s25, s3
	s_lshl_b64 s[2:3], s[26:27], 3
	s_add_u32 s34, s10, s2
	s_addc_u32 s35, s11, s3
	s_lshl_b32 s26, s6, 5
	s_ashr_i32 s27, s26, 31
	s_mul_i32 s2, s26, s29
	s_mul_hi_u32 s3, s26, s28
	s_load_dword s30, s[0:1], 0x0
	s_add_i32 s2, s3, s2
	s_mul_i32 s3, s27, s28
	s_add_i32 s3, s2, s3
	s_mul_i32 s2, s26, s28
	s_lshl_b64 s[0:1], s[2:3], 3
	s_add_u32 s14, s34, s0
	s_addc_u32 s15, s35, s1
	s_waitcnt lgkmcnt(0)
	s_add_i32 s30, s30, -1
	s_cmp_lg_u32 s6, s30
	s_cselect_b64 s[10:11], -1, 0
	v_cmp_eq_u32_e64 s[0:1], 0, v1
	s_mov_b64 s[2:3], -1
	s_and_b64 vcc, exec, s[10:11]
	s_cbranch_vccz .LBB93_11
; %bb.8:
	s_and_saveexec_b64 s[2:3], s[0:1]
	s_cbranch_execz .LBB93_10
; %bb.9:
	v_mad_u64_u32 v[2:3], s[12:13], v44, s28, 0
	v_mov_b32_e32 v4, v3
	v_mad_u64_u32 v[4:5], s[12:13], v44, s29, v[4:5]
	v_mov_b32_e32 v3, v4
	v_lshlrev_b64 v[2:3], 3, v[2:3]
	v_mov_b32_e32 v1, s15
	v_add_co_u32_e32 v2, vcc, s14, v2
	v_addc_co_u32_e32 v3, vcc, v1, v3, vcc
	global_load_dwordx2 v[2:3], v[2:3], off
	v_lshlrev_b32_e32 v1, 3, v44
	s_waitcnt vmcnt(0)
	ds_write_b64 v1, v[2:3] offset:8192
.LBB93_10:
	s_or_b64 exec, exec, s[2:3]
	s_mov_b64 s[2:3], 0
.LBB93_11:
	s_load_dword s31, s[4:5], 0x78
	v_and_b32_e32 v14, 15, v44
	s_andn2_b64 vcc, exec, s[2:3]
	v_lshrrev_b32_e32 v4, 4, v0
	s_cbranch_vccnz .LBB93_17
; %bb.12:
	s_and_saveexec_b64 s[2:3], s[0:1]
	s_cbranch_execz .LBB93_16
; %bb.13:
	s_waitcnt lgkmcnt(0)
	v_cmp_gt_i32_e32 vcc, s31, v44
	v_pk_mov_b32 v[0:1], 0, 0
	s_and_saveexec_b64 s[12:13], vcc
	s_cbranch_execz .LBB93_15
; %bb.14:
	v_mad_u64_u32 v[0:1], s[24:25], v44, s28, 0
	v_mov_b32_e32 v2, v1
	v_mad_u64_u32 v[2:3], s[24:25], v44, s29, v[2:3]
	v_mov_b32_e32 v1, v2
	v_lshlrev_b64 v[0:1], 3, v[0:1]
	v_mov_b32_e32 v2, s15
	v_add_co_u32_e32 v0, vcc, s14, v0
	v_addc_co_u32_e32 v1, vcc, v2, v1, vcc
	global_load_dwordx2 v[0:1], v[0:1], off
.LBB93_15:
	s_or_b64 exec, exec, s[12:13]
	v_lshlrev_b32_e32 v2, 3, v44
	s_waitcnt vmcnt(0)
	ds_write_b64 v2, v[0:1] offset:8192
.LBB93_16:
	s_or_b64 exec, exec, s[2:3]
	s_mov_b32 s2, 0
	v_lshlrev_b32_e32 v0, 3, v14
	s_mov_b32 s3, s2
	v_lshl_or_b32 v2, v4, 8, v0
	v_pk_mov_b32 v[0:1], s[2:3], s[2:3] op_sel:[0,1]
	ds_write2_b64 v2, v[0:1], v[0:1] offset1:16
	v_add_u32_e32 v2, 0x1000, v2
	ds_write2_b64 v2, v[0:1], v[0:1] offset1:16
.LBB93_17:
	s_waitcnt lgkmcnt(0)
	s_lshr_b32 s2, s31, 31
	s_add_i32 s2, s31, s2
	s_ashr_i32 s36, s2, 1
	s_mul_i32 s2, s8, s23
	s_mul_hi_u32 s3, s8, s22
	s_add_i32 s3, s3, s2
	s_mul_i32 s2, s8, s22
	s_lshl_b64 s[2:3], s[2:3], 3
	s_add_u32 s12, s16, s2
	s_addc_u32 s13, s17, s3
	s_lshl_b64 s[2:3], s[18:19], 3
	s_add_u32 s12, s12, s2
	s_addc_u32 s13, s13, s3
	s_mul_i32 s2, s26, s21
	s_mul_hi_u32 s3, s26, s20
	s_add_i32 s2, s3, s2
	s_mul_i32 s3, s27, s20
	s_add_i32 s3, s2, s3
	s_mul_i32 s2, s26, s20
	s_lshl_b64 s[2:3], s[2:3], 3
	s_add_u32 s12, s12, s2
	s_mul_i32 s7, s7, s9
	s_addc_u32 s13, s13, s3
	s_lshl_b32 s16, s7, 5
	s_ashr_i32 s17, s16, 31
	s_lshl_b64 s[2:3], s[16:17], 3
	s_add_u32 s7, s12, s2
	v_lshlrev_b32_e32 v5, 1, v4
	v_mov_b32_e32 v15, 0
	s_load_dwordx2 s[24:25], s[4:5], 0x58
	s_addc_u32 s22, s13, s3
	v_mad_u64_u32 v[0:1], s[2:3], v5, s20, v[14:15]
	v_mov_b32_e32 v2, v1
	v_mad_u64_u32 v[2:3], s[2:3], v5, s21, v[2:3]
	v_mov_b32_e32 v1, v2
	v_cndmask_b32_e64 v2, 0, 1, s[10:11]
	v_cmp_ne_u32_e64 s[2:3], 1, v2
	s_andn2_b64 vcc, exec, s[10:11]
	v_lshlrev_b64 v[16:17], 3, v[0:1]
	s_waitcnt lgkmcnt(0)
	s_barrier
	s_cbranch_vccnz .LBB93_19
; %bb.18:
	v_mov_b32_e32 v0, s22
	v_add_co_u32_e32 v6, vcc, s7, v16
	v_addc_co_u32_e32 v7, vcc, v0, v17, vcc
	s_lshl_b64 s[10:11], s[20:21], 3
	v_mov_b32_e32 v0, s11
	v_add_co_u32_e32 v8, vcc, s10, v6
	v_addc_co_u32_e32 v9, vcc, v7, v0, vcc
	global_load_dwordx2 v[0:1], v[6:7], off
	global_load_dwordx2 v[2:3], v[8:9], off
	v_cmp_le_i32_e64 s[10:11], s36, v4
	s_cbranch_execz .LBB93_20
	s_branch .LBB93_27
.LBB93_19:
                                        ; implicit-def: $vgpr0_vgpr1_vgpr2_vgpr3
	v_cmp_le_i32_e64 s[10:11], s36, v4
.LBB93_20:
                                        ; implicit-def: $vgpr0_vgpr1_vgpr2_vgpr3
	s_and_saveexec_b64 s[12:13], s[10:11]
	s_xor_b64 s[10:11], exec, s[12:13]
	s_cbranch_execz .LBB93_24
; %bb.21:
	s_mov_b32 s12, 0
	s_mov_b32 s13, s12
	;; [unrolled: 1-line block ×4, first 2 shown]
	s_waitcnt vmcnt(0)
	v_pk_mov_b32 v[0:1], s[12:13], s[12:13] op_sel:[0,1]
	v_cmp_eq_u32_e32 vcc, s36, v4
	v_pk_mov_b32 v[2:3], s[14:15], s[14:15] op_sel:[0,1]
	s_and_saveexec_b64 s[12:13], vcc
	s_cbranch_execz .LBB93_23
; %bb.22:
	v_mov_b32_e32 v1, s22
	v_add_co_u32_e32 v0, vcc, s7, v16
	v_addc_co_u32_e32 v1, vcc, v1, v17, vcc
	global_load_dwordx2 v[0:1], v[0:1], off
	v_mov_b32_e32 v2, 0
	v_mov_b32_e32 v3, v2
.LBB93_23:
	s_or_b64 exec, exec, s[12:13]
.LBB93_24:
	s_andn2_saveexec_b64 s[10:11], s[10:11]
	s_cbranch_execz .LBB93_26
; %bb.25:
	s_waitcnt vmcnt(0)
	v_mov_b32_e32 v0, s22
	v_add_co_u32_e32 v6, vcc, s7, v16
	v_addc_co_u32_e32 v7, vcc, v0, v17, vcc
	s_lshl_b64 s[12:13], s[20:21], 3
	v_mov_b32_e32 v0, s13
	v_add_co_u32_e32 v8, vcc, s12, v6
	v_addc_co_u32_e32 v9, vcc, v7, v0, vcc
	global_load_dwordx2 v[0:1], v[6:7], off
	global_load_dwordx2 v[2:3], v[8:9], off
.LBB93_26:
	s_or_b64 exec, exec, s[10:11]
.LBB93_27:
	s_load_dwordx2 s[10:11], s[4:5], 0x70
	s_load_dwordx4 s[12:15], s[4:5], 0x60
	v_lshl_or_b32 v15, v4, 5, v14
	s_waitcnt lgkmcnt(0)
	s_mul_i32 s5, s8, s11
	s_mul_hi_u32 s9, s8, s10
	s_mul_i32 s4, s8, s10
	s_add_i32 s5, s9, s5
	s_lshl_b64 s[4:5], s[4:5], 3
	s_add_u32 s8, s24, s4
	s_addc_u32 s9, s25, s5
	s_lshl_b64 s[4:5], s[12:13], 3
	s_add_u32 s23, s8, s4
	s_addc_u32 s24, s9, s5
	s_cmp_gt_i32 s33, 0
	s_cbranch_scc1 .LBB93_29
; %bb.28:
	v_lshl_or_b32 v6, v4, 5, v14
	v_or_b32_e32 v45, 16, v6
	s_mov_b64 s[8:9], 0
	v_pk_mov_b32 v[24:25], s[8:9], s[8:9] op_sel:[0,1]
	v_pk_mov_b32 v[20:21], s[8:9], s[8:9] op_sel:[0,1]
	s_cbranch_execz .LBB93_30
	s_branch .LBB93_60
.LBB93_29:
                                        ; implicit-def: $sgpr8_sgpr9
                                        ; implicit-def: $vgpr6
                                        ; implicit-def: $vgpr45
	v_pk_mov_b32 v[24:25], s[8:9], s[8:9] op_sel:[0,1]
	v_pk_mov_b32 v[20:21], s[8:9], s[8:9] op_sel:[0,1]
.LBB93_30:
	v_mad_u64_u32 v[6:7], s[4:5], v14, s28, 0
	v_mov_b32_e32 v8, v7
	v_mad_u64_u32 v[8:9], s[4:5], v14, s29, v[8:9]
	s_mul_i32 s4, s16, s29
	s_mul_hi_u32 s5, s16, s28
	s_add_i32 s4, s5, s4
	s_mul_i32 s5, s17, s28
	s_add_i32 s5, s4, s5
	s_mul_i32 s4, s16, s28
	s_lshl_b64 s[4:5], s[4:5], 3
	v_mov_b32_e32 v7, v8
	s_add_u32 s25, s34, s4
	s_addc_u32 s34, s35, s5
	v_lshlrev_b64 v[18:19], 3, v[6:7]
	v_mov_b32_e32 v7, s34
	v_add_co_u32_e32 v6, vcc, s25, v18
	v_addc_co_u32_e32 v7, vcc, v7, v19, vcc
	global_load_dwordx2 v[22:23], v[6:7], off
	s_mul_i32 s4, s16, s15
	s_mul_hi_u32 s5, s16, s14
	s_add_i32 s4, s5, s4
	s_mul_i32 s5, s17, s14
	s_add_i32 s5, s4, s5
	s_mul_i32 s4, s16, s14
	s_lshl_b64 s[4:5], s[4:5], 3
	s_add_u32 s16, s23, s4
	v_or_b32_e32 v9, 16, v14
	s_addc_u32 s17, s24, s5
	v_mad_u64_u32 v[6:7], s[4:5], v9, s28, 0
	v_mov_b32_e32 v8, v7
	v_mad_u64_u32 v[8:9], s[4:5], v9, s29, v[8:9]
	v_mov_b32_e32 v7, v8
	v_mad_u64_u32 v[8:9], s[12:13], v44, s14, 0
	v_cmp_le_i32_e64 s[4:5], s36, v4
	v_cmp_eq_u32_e64 s[8:9], s36, v4
	v_mov_b32_e32 v4, v9
	v_mad_u64_u32 v[10:11], s[12:13], v44, s15, v[4:5]
	v_mov_b32_e32 v9, v10
	v_mov_b32_e32 v4, 0x2000
	v_pk_mov_b32 v[20:21], 0, 0
	s_lshl_b64 s[10:11], s[28:29], 8
	s_add_i32 s28, s33, -1
	v_lshlrev_b32_e32 v46, 3, v15
	v_or_b32_e32 v45, 16, v15
	s_lshl_b64 s[12:13], s[14:15], 8
	v_lshl_add_u32 v47, v5, 3, v4
	v_lshlrev_b32_e32 v48, 3, v44
	s_mov_b32 s29, 0
	v_pk_mov_b32 v[26:27], s[16:17], s[16:17] op_sel:[0,1]
	v_lshlrev_b64 v[28:29], 3, v[6:7]
	s_lshl_b64 s[16:17], s[20:21], 3
	v_lshlrev_b64 v[30:31], 3, v[8:9]
	v_pk_mov_b32 v[24:25], v[20:21], v[20:21] op_sel:[0,1]
	v_pk_mov_b32 v[6:7], v[20:21], v[20:21] op_sel:[0,1]
	;; [unrolled: 1-line block ×3, first 2 shown]
.LBB93_31:                              ; =>This Loop Header: Depth=1
                                        ;     Child Loop BB93_55 Depth 2
	v_mov_b32_e32 v9, s34
	v_add_co_u32_e32 v8, vcc, s25, v28
	v_addc_co_u32_e32 v9, vcc, v9, v29, vcc
	global_load_dwordx2 v[32:33], v[8:9], off
	s_and_b64 vcc, exec, s[2:3]
	s_cbranch_vccnz .LBB93_33
; %bb.32:                               ;   in Loop: Header=BB93_31 Depth=1
	v_mov_b32_e32 v9, s22
	v_add_co_u32_e32 v8, vcc, s7, v16
	v_addc_co_u32_e32 v9, vcc, v9, v17, vcc
	v_mov_b32_e32 v11, s17
	v_add_co_u32_e32 v10, vcc, s16, v8
	v_addc_co_u32_e32 v11, vcc, v9, v11, vcc
	global_load_dwordx2 v[34:35], v[8:9], off offset:128
	global_load_dwordx2 v[36:37], v[10:11], off offset:128
	s_cbranch_execz .LBB93_34
	s_branch .LBB93_41
.LBB93_33:                              ;   in Loop: Header=BB93_31 Depth=1
                                        ; implicit-def: $vgpr36_vgpr37
                                        ; implicit-def: $vgpr34_vgpr35
.LBB93_34:                              ;   in Loop: Header=BB93_31 Depth=1
	s_and_saveexec_b64 s[18:19], s[4:5]
	s_xor_b64 s[18:19], exec, s[18:19]
	s_cbranch_execz .LBB93_38
; %bb.35:                               ;   in Loop: Header=BB93_31 Depth=1
	s_and_saveexec_b64 s[20:21], s[8:9]
	s_cbranch_execz .LBB93_37
; %bb.36:                               ;   in Loop: Header=BB93_31 Depth=1
	v_mov_b32_e32 v7, s22
	v_add_co_u32_e32 v6, vcc, s7, v16
	v_addc_co_u32_e32 v7, vcc, v7, v17, vcc
	global_load_dwordx2 v[6:7], v[6:7], off offset:128
.LBB93_37:                              ;   in Loop: Header=BB93_31 Depth=1
	s_or_b64 exec, exec, s[20:21]
.LBB93_38:                              ;   in Loop: Header=BB93_31 Depth=1
	s_andn2_saveexec_b64 s[18:19], s[18:19]
	s_cbranch_execz .LBB93_40
; %bb.39:                               ;   in Loop: Header=BB93_31 Depth=1
	v_mov_b32_e32 v4, s22
	v_add_co_u32_e32 v8, vcc, s7, v16
	v_addc_co_u32_e32 v9, vcc, v4, v17, vcc
	v_mov_b32_e32 v4, s17
	v_add_co_u32_e32 v10, vcc, s16, v8
	v_addc_co_u32_e32 v11, vcc, v9, v4, vcc
	global_load_dwordx2 v[6:7], v[8:9], off offset:128
	global_load_dwordx2 v[4:5], v[10:11], off offset:128
.LBB93_40:                              ;   in Loop: Header=BB93_31 Depth=1
	s_or_b64 exec, exec, s[18:19]
	s_waitcnt vmcnt(0)
	v_pk_mov_b32 v[34:35], v[6:7], v[6:7] op_sel:[0,1]
	v_pk_mov_b32 v[36:37], v[4:5], v[4:5] op_sel:[0,1]
.LBB93_41:                              ;   in Loop: Header=BB93_31 Depth=1
	ds_read_b128 v[8:11], v47
	s_add_u32 s25, s25, s10
	s_addc_u32 s34, s34, s11
	s_waitcnt vmcnt(2)
	v_pk_mov_b32 v[6:7], v[2:3], v[2:3] op_sel:[0,1]
	s_cmp_eq_u32 s29, s28
	s_waitcnt vmcnt(1)
	v_pk_mov_b32 v[38:39], v[22:23], v[22:23] op_sel:[0,1]
	v_pk_mov_b32 v[4:5], v[0:1], v[0:1] op_sel:[0,1]
	s_cbranch_scc1 .LBB93_53
; %bb.42:                               ;   in Loop: Header=BB93_31 Depth=1
	s_and_b64 vcc, exec, s[2:3]
	s_cbranch_vccnz .LBB93_44
; %bb.43:                               ;   in Loop: Header=BB93_31 Depth=1
	v_mov_b32_e32 v4, s22
	v_add_co_u32_e32 v38, vcc, s7, v16
	v_addc_co_u32_e32 v39, vcc, v4, v17, vcc
	v_mov_b32_e32 v4, s17
	v_add_co_u32_e32 v40, vcc, s16, v38
	v_addc_co_u32_e32 v41, vcc, v39, v4, vcc
	global_load_dwordx2 v[4:5], v[38:39], off offset:256
	global_load_dwordx2 v[6:7], v[40:41], off offset:256
	s_cbranch_execz .LBB93_45
	s_branch .LBB93_52
.LBB93_44:                              ;   in Loop: Header=BB93_31 Depth=1
                                        ; implicit-def: $vgpr4_vgpr5_vgpr6_vgpr7
.LBB93_45:                              ;   in Loop: Header=BB93_31 Depth=1
                                        ; implicit-def: $vgpr4_vgpr5_vgpr6_vgpr7
	s_and_saveexec_b64 s[18:19], s[4:5]
	s_xor_b64 s[18:19], exec, s[18:19]
	s_cbranch_execz .LBB93_49
; %bb.46:                               ;   in Loop: Header=BB93_31 Depth=1
	s_waitcnt vmcnt(0)
	v_pk_mov_b32 v[6:7], v[2:3], v[2:3] op_sel:[0,1]
	v_pk_mov_b32 v[4:5], v[0:1], v[0:1] op_sel:[0,1]
	s_and_saveexec_b64 s[20:21], s[8:9]
	s_cbranch_execz .LBB93_48
; %bb.47:                               ;   in Loop: Header=BB93_31 Depth=1
	v_mov_b32_e32 v5, s22
	v_add_co_u32_e32 v4, vcc, s7, v16
	v_addc_co_u32_e32 v5, vcc, v5, v17, vcc
	global_load_dwordx2 v[38:39], v[4:5], off offset:256
	v_pk_mov_b32 v[6:7], v[2:3], v[2:3] op_sel:[0,1]
	v_pk_mov_b32 v[4:5], v[0:1], v[0:1] op_sel:[0,1]
	s_waitcnt vmcnt(0)
	v_mov_b32_e32 v4, v38
	v_mov_b32_e32 v5, v39
.LBB93_48:                              ;   in Loop: Header=BB93_31 Depth=1
	s_or_b64 exec, exec, s[20:21]
.LBB93_49:                              ;   in Loop: Header=BB93_31 Depth=1
	s_andn2_saveexec_b64 s[18:19], s[18:19]
	s_cbranch_execz .LBB93_51
; %bb.50:                               ;   in Loop: Header=BB93_31 Depth=1
	s_waitcnt vmcnt(1)
	v_mov_b32_e32 v4, s22
	v_add_co_u32_e32 v38, vcc, s7, v16
	v_addc_co_u32_e32 v39, vcc, v4, v17, vcc
	v_mov_b32_e32 v4, s17
	v_add_co_u32_e32 v40, vcc, s16, v38
	v_addc_co_u32_e32 v41, vcc, v39, v4, vcc
	global_load_dwordx2 v[4:5], v[38:39], off offset:256
	global_load_dwordx2 v[6:7], v[40:41], off offset:256
.LBB93_51:                              ;   in Loop: Header=BB93_31 Depth=1
	s_or_b64 exec, exec, s[18:19]
.LBB93_52:                              ;   in Loop: Header=BB93_31 Depth=1
	v_mov_b32_e32 v39, s34
	v_add_co_u32_e32 v38, vcc, s25, v18
	v_addc_co_u32_e32 v39, vcc, v39, v19, vcc
	global_load_dwordx2 v[38:39], v[38:39], off
.LBB93_53:                              ;   in Loop: Header=BB93_31 Depth=1
	s_waitcnt lgkmcnt(0)
	v_fma_f64 v[40:41], v[0:1], v[8:9], 0
	v_fma_f64 v[8:9], v[34:35], v[8:9], 0
	v_fmac_f64_e32 v[40:41], v[2:3], v[10:11]
	s_waitcnt vmcnt(0)
	v_fmac_f64_e32 v[8:9], v[36:37], v[10:11]
	s_barrier
	ds_write2_b64 v46, v[40:41], v[8:9] offset1:16
	s_waitcnt lgkmcnt(0)
	s_barrier
	s_and_saveexec_b64 s[18:19], s[0:1]
	s_cbranch_execz .LBB93_57
; %bb.54:                               ;   in Loop: Header=BB93_31 Depth=1
	v_add_co_u32_e32 v40, vcc, v26, v30
	v_addc_co_u32_e32 v41, vcc, v27, v31, vcc
	global_load_dwordx2 v[10:11], v[40:41], off
	ds_read2_b64 v[50:53], v48 offset1:32
	ds_read2_b64 v[54:57], v48 offset0:64 offset1:96
	ds_read2_b64 v[58:61], v48 offset0:128 offset1:160
	v_add_u32_e32 v42, 0x800, v48
	s_mov_b64 s[20:21], 0
	s_waitcnt lgkmcnt(2)
	v_add_f64 v[8:9], v[50:51], 0
	v_add_f64 v[8:9], v[8:9], v[52:53]
	ds_read2_b64 v[50:53], v48 offset0:192 offset1:224
	s_waitcnt lgkmcnt(2)
	v_add_f64 v[8:9], v[8:9], v[54:55]
	v_add_f64 v[8:9], v[8:9], v[56:57]
	s_waitcnt lgkmcnt(1)
	v_add_f64 v[8:9], v[8:9], v[58:59]
	ds_read2_b64 v[54:57], v42 offset1:32
	v_add_f64 v[8:9], v[8:9], v[60:61]
	s_waitcnt lgkmcnt(1)
	v_add_f64 v[8:9], v[8:9], v[50:51]
	v_add_f64 v[8:9], v[8:9], v[52:53]
	ds_read2_b64 v[50:53], v42 offset0:64 offset1:96
	ds_read2_b64 v[58:61], v42 offset0:128 offset1:160
	s_waitcnt lgkmcnt(2)
	v_add_f64 v[8:9], v[8:9], v[54:55]
	v_add_f64 v[8:9], v[8:9], v[56:57]
	ds_read2_b64 v[54:57], v42 offset0:192 offset1:224
	s_waitcnt lgkmcnt(2)
	v_add_f64 v[8:9], v[8:9], v[50:51]
	v_add_f64 v[8:9], v[8:9], v[52:53]
	s_waitcnt lgkmcnt(1)
	v_add_f64 v[8:9], v[8:9], v[58:59]
	v_add_f64 v[8:9], v[8:9], v[60:61]
	;; [unrolled: 3-line block ×3, first 2 shown]
	v_mul_f64 v[42:43], v[12:13], v[8:9]
.LBB93_55:                              ;   Parent Loop BB93_31 Depth=1
                                        ; =>  This Inner Loop Header: Depth=2
	s_waitcnt vmcnt(0)
	v_add_f64 v[8:9], v[10:11], v[42:43]
	global_atomic_cmpswap_x2 v[8:9], v[40:41], v[8:11], off glc
	s_waitcnt vmcnt(0)
	v_cmp_eq_u64_e32 vcc, v[8:9], v[10:11]
	s_or_b64 s[20:21], vcc, s[20:21]
	v_pk_mov_b32 v[10:11], v[8:9], v[8:9] op_sel:[0,1]
	s_andn2_b64 exec, exec, s[20:21]
	s_cbranch_execnz .LBB93_55
; %bb.56:                               ;   in Loop: Header=BB93_31 Depth=1
	s_or_b64 exec, exec, s[20:21]
	v_mov_b32_e32 v8, s13
	v_add_co_u32_e32 v26, vcc, s12, v26
	v_addc_co_u32_e32 v27, vcc, v27, v8, vcc
.LBB93_57:                              ;   in Loop: Header=BB93_31 Depth=1
	s_or_b64 exec, exec, s[18:19]
	s_add_u32 s7, s7, 0x100
	v_fmac_f64_e32 v[20:21], v[22:23], v[0:1]
	v_fmac_f64_e32 v[24:25], v[22:23], v[2:3]
	s_addc_u32 s22, s22, 0
	s_add_i32 s29, s29, 1
	v_fmac_f64_e32 v[20:21], v[32:33], v[34:35]
	v_fmac_f64_e32 v[24:25], v[32:33], v[36:37]
	s_cmp_eq_u32 s29, s33
	s_cbranch_scc1 .LBB93_59
; %bb.58:                               ;   in Loop: Header=BB93_31 Depth=1
	v_pk_mov_b32 v[0:1], v[4:5], v[4:5] op_sel:[0,1]
	v_pk_mov_b32 v[22:23], v[38:39], v[38:39] op_sel:[0,1]
	;; [unrolled: 1-line block ×5, first 2 shown]
	s_branch .LBB93_31
.LBB93_59:
	v_mov_b32_e32 v6, v15
.LBB93_60:
	s_waitcnt vmcnt(0)
	v_lshlrev_b32_e32 v0, 3, v6
	ds_write_b64 v0, v[20:21] offset:4096
	v_lshlrev_b32_e32 v0, 3, v45
	ds_write_b64 v0, v[24:25] offset:4096
	s_waitcnt lgkmcnt(0)
	s_barrier
	s_and_b64 exec, exec, s[0:1]
	s_cbranch_execz .LBB93_64
; %bb.61:
	s_cmp_lt_u32 s6, s30
	v_cmp_gt_i32_e32 vcc, s31, v44
	s_cselect_b64 s[0:1], -1, 0
	s_or_b64 s[0:1], vcc, s[0:1]
	s_and_b64 exec, exec, s[0:1]
	s_cbranch_execz .LBB93_64
; %bb.62:
	s_mul_i32 s0, s26, s15
	s_mul_hi_u32 s1, s26, s14
	s_add_i32 s0, s1, s0
	s_mul_i32 s1, s27, s14
	s_add_i32 s1, s0, s1
	s_mul_i32 s0, s26, s14
	s_lshl_b64 s[0:1], s[0:1], 3
	s_add_u32 s2, s23, s0
	s_addc_u32 s3, s24, s1
	v_mad_u64_u32 v[0:1], s[0:1], v44, s14, 0
	v_mov_b32_e32 v2, v1
	v_mad_u64_u32 v[2:3], s[0:1], v44, s15, v[2:3]
	v_mov_b32_e32 v1, v2
	v_lshlrev_b64 v[0:1], 3, v[0:1]
	v_mov_b32_e32 v2, s3
	v_add_co_u32_e32 v4, vcc, s2, v0
	v_addc_co_u32_e32 v5, vcc, v2, v1, vcc
	global_load_dwordx2 v[2:3], v[4:5], off
	v_lshlrev_b32_e32 v18, 4, v44
	v_add_u32_e32 v1, 1, v44
	v_and_or_b32 v1, v1, 15, v18
	v_lshlrev_b32_e32 v6, 3, v1
	v_add_u32_e32 v1, 2, v44
	v_or_b32_e32 v19, v14, v18
	v_and_or_b32 v1, v1, 15, v18
	v_lshlrev_b32_e32 v0, 3, v19
	v_lshlrev_b32_e32 v8, 3, v1
	v_add_u32_e32 v1, 3, v44
	v_and_or_b32 v10, v1, 15, v18
	ds_read_b64 v[0:1], v0 offset:4096
	ds_read_b64 v[6:7], v6 offset:4096
	;; [unrolled: 1-line block ×3, first 2 shown]
	v_lshlrev_b32_e32 v10, 3, v10
	ds_read_b64 v[10:11], v10 offset:4096
	s_waitcnt lgkmcnt(3)
	v_add_f64 v[0:1], v[0:1], 0
	s_waitcnt lgkmcnt(2)
	v_add_f64 v[0:1], v[0:1], v[6:7]
	v_add_u32_e32 v7, 5, v44
	v_and_or_b32 v7, v7, 15, v18
	s_waitcnt lgkmcnt(1)
	v_add_f64 v[0:1], v[0:1], v[8:9]
	v_lshlrev_b32_e32 v8, 3, v7
	v_add_u32_e32 v7, 6, v44
	v_and_or_b32 v7, v7, 15, v18
	v_add_u32_e32 v6, 4, v44
	v_lshlrev_b32_e32 v14, 3, v7
	v_add_u32_e32 v7, 7, v44
	v_and_or_b32 v6, v6, 15, v18
	v_and_or_b32 v7, v7, 15, v18
	v_lshlrev_b32_e32 v6, 3, v6
	v_lshlrev_b32_e32 v16, 3, v7
	ds_read_b64 v[6:7], v6 offset:4096
	ds_read_b64 v[8:9], v8 offset:4096
	;; [unrolled: 1-line block ×4, first 2 shown]
	s_waitcnt lgkmcnt(4)
	v_add_f64 v[0:1], v[0:1], v[10:11]
	s_waitcnt lgkmcnt(3)
	v_add_f64 v[0:1], v[0:1], v[6:7]
	v_add_u32_e32 v7, 9, v44
	v_and_or_b32 v7, v7, 15, v18
	s_waitcnt lgkmcnt(2)
	v_add_f64 v[0:1], v[0:1], v[8:9]
	v_lshlrev_b32_e32 v8, 3, v7
	v_add_u32_e32 v7, 10, v44
	v_xor_b32_e32 v6, 8, v19
	v_and_or_b32 v7, v7, 15, v18
	v_lshlrev_b32_e32 v6, 3, v6
	v_lshlrev_b32_e32 v10, 3, v7
	v_add_u32_e32 v7, 11, v44
	s_waitcnt lgkmcnt(1)
	v_add_f64 v[0:1], v[0:1], v[14:15]
	v_and_or_b32 v14, v7, 15, v18
	ds_read_b64 v[6:7], v6 offset:4096
	ds_read_b64 v[8:9], v8 offset:4096
	;; [unrolled: 1-line block ×3, first 2 shown]
	s_waitcnt lgkmcnt(3)
	v_add_f64 v[0:1], v[0:1], v[16:17]
	v_lshlrev_b32_e32 v14, 3, v14
	s_waitcnt lgkmcnt(2)
	v_add_f64 v[0:1], v[0:1], v[6:7]
	v_add_u32_e32 v7, 13, v44
	v_and_or_b32 v7, v7, 15, v18
	s_waitcnt lgkmcnt(1)
	v_add_f64 v[0:1], v[0:1], v[8:9]
	v_lshlrev_b32_e32 v8, 3, v7
	v_add_u32_e32 v7, 14, v44
	ds_read_b64 v[14:15], v14 offset:4096
	v_and_or_b32 v7, v7, 15, v18
	s_waitcnt lgkmcnt(1)
	v_add_f64 v[0:1], v[0:1], v[10:11]
	v_add_u32_e32 v6, 12, v44
	v_lshlrev_b32_e32 v10, 3, v7
	v_add_u32_e32 v7, -1, v44
	v_and_or_b32 v6, v6, 15, v18
	v_and_or_b32 v7, v7, 15, v18
	v_lshlrev_b32_e32 v6, 3, v6
	v_lshlrev_b32_e32 v16, 3, v7
	ds_read_b64 v[6:7], v6 offset:4096
	ds_read_b64 v[8:9], v8 offset:4096
	;; [unrolled: 1-line block ×4, first 2 shown]
	s_waitcnt lgkmcnt(4)
	v_add_f64 v[0:1], v[0:1], v[14:15]
	s_waitcnt lgkmcnt(3)
	v_add_f64 v[0:1], v[0:1], v[6:7]
	s_waitcnt lgkmcnt(2)
	v_add_f64 v[0:1], v[0:1], v[8:9]
	s_waitcnt lgkmcnt(1)
	v_add_f64 v[0:1], v[0:1], v[10:11]
	s_waitcnt lgkmcnt(0)
	v_add_f64 v[0:1], v[0:1], v[16:17]
	s_mov_b64 s[0:1], 0
	v_mul_f64 v[6:7], v[12:13], v[0:1]
.LBB93_63:                              ; =>This Inner Loop Header: Depth=1
	s_waitcnt vmcnt(0)
	v_add_f64 v[0:1], v[2:3], v[6:7]
	global_atomic_cmpswap_x2 v[0:1], v[4:5], v[0:3], off glc
	s_waitcnt vmcnt(0)
	v_cmp_eq_u64_e32 vcc, v[0:1], v[2:3]
	s_or_b64 s[0:1], vcc, s[0:1]
	v_pk_mov_b32 v[2:3], v[0:1], v[0:1] op_sel:[0,1]
	s_andn2_b64 exec, exec, s[0:1]
	s_cbranch_execnz .LBB93_63
.LBB93_64:
	s_endpgm
	.section	.rodata,"a",@progbits
	.p2align	6, 0x0
	.amdhsa_kernel _ZL62rocblas_symv_kernel_upper_double_buffered_non_diagonal_genericILi32ELi8ELi2ELi1E24rocblas_internal_val_ptrIdEPKdPdEvbiT3_lT4_lllS6_lllT5_lllii
		.amdhsa_group_segment_fixed_size 8448
		.amdhsa_private_segment_fixed_size 0
		.amdhsa_kernarg_size 384
		.amdhsa_user_sgpr_count 6
		.amdhsa_user_sgpr_private_segment_buffer 1
		.amdhsa_user_sgpr_dispatch_ptr 0
		.amdhsa_user_sgpr_queue_ptr 0
		.amdhsa_user_sgpr_kernarg_segment_ptr 1
		.amdhsa_user_sgpr_dispatch_id 0
		.amdhsa_user_sgpr_flat_scratch_init 0
		.amdhsa_user_sgpr_kernarg_preload_length 0
		.amdhsa_user_sgpr_kernarg_preload_offset 0
		.amdhsa_user_sgpr_private_segment_size 0
		.amdhsa_uses_dynamic_stack 0
		.amdhsa_system_sgpr_private_segment_wavefront_offset 0
		.amdhsa_system_sgpr_workgroup_id_x 1
		.amdhsa_system_sgpr_workgroup_id_y 1
		.amdhsa_system_sgpr_workgroup_id_z 1
		.amdhsa_system_sgpr_workgroup_info 0
		.amdhsa_system_vgpr_workitem_id 1
		.amdhsa_next_free_vgpr 62
		.amdhsa_next_free_sgpr 37
		.amdhsa_accum_offset 64
		.amdhsa_reserve_vcc 1
		.amdhsa_reserve_flat_scratch 0
		.amdhsa_float_round_mode_32 0
		.amdhsa_float_round_mode_16_64 0
		.amdhsa_float_denorm_mode_32 3
		.amdhsa_float_denorm_mode_16_64 3
		.amdhsa_dx10_clamp 1
		.amdhsa_ieee_mode 1
		.amdhsa_fp16_overflow 0
		.amdhsa_tg_split 0
		.amdhsa_exception_fp_ieee_invalid_op 0
		.amdhsa_exception_fp_denorm_src 0
		.amdhsa_exception_fp_ieee_div_zero 0
		.amdhsa_exception_fp_ieee_overflow 0
		.amdhsa_exception_fp_ieee_underflow 0
		.amdhsa_exception_fp_ieee_inexact 0
		.amdhsa_exception_int_div_zero 0
	.end_amdhsa_kernel
	.section	.text._ZL62rocblas_symv_kernel_upper_double_buffered_non_diagonal_genericILi32ELi8ELi2ELi1E24rocblas_internal_val_ptrIdEPKdPdEvbiT3_lT4_lllS6_lllT5_lllii,"axG",@progbits,_ZL62rocblas_symv_kernel_upper_double_buffered_non_diagonal_genericILi32ELi8ELi2ELi1E24rocblas_internal_val_ptrIdEPKdPdEvbiT3_lT4_lllS6_lllT5_lllii,comdat
.Lfunc_end93:
	.size	_ZL62rocblas_symv_kernel_upper_double_buffered_non_diagonal_genericILi32ELi8ELi2ELi1E24rocblas_internal_val_ptrIdEPKdPdEvbiT3_lT4_lllS6_lllT5_lllii, .Lfunc_end93-_ZL62rocblas_symv_kernel_upper_double_buffered_non_diagonal_genericILi32ELi8ELi2ELi1E24rocblas_internal_val_ptrIdEPKdPdEvbiT3_lT4_lllS6_lllT5_lllii
                                        ; -- End function
	.section	.AMDGPU.csdata,"",@progbits
; Kernel info:
; codeLenInByte = 3264
; NumSgprs: 41
; NumVgprs: 62
; NumAgprs: 0
; TotalNumVgprs: 62
; ScratchSize: 0
; MemoryBound: 1
; FloatMode: 240
; IeeeMode: 1
; LDSByteSize: 8448 bytes/workgroup (compile time only)
; SGPRBlocks: 5
; VGPRBlocks: 7
; NumSGPRsForWavesPerEU: 41
; NumVGPRsForWavesPerEU: 62
; AccumOffset: 64
; Occupancy: 7
; WaveLimiterHint : 0
; COMPUTE_PGM_RSRC2:SCRATCH_EN: 0
; COMPUTE_PGM_RSRC2:USER_SGPR: 6
; COMPUTE_PGM_RSRC2:TRAP_HANDLER: 0
; COMPUTE_PGM_RSRC2:TGID_X_EN: 1
; COMPUTE_PGM_RSRC2:TGID_Y_EN: 1
; COMPUTE_PGM_RSRC2:TGID_Z_EN: 1
; COMPUTE_PGM_RSRC2:TIDIG_COMP_CNT: 1
; COMPUTE_PGM_RSRC3_GFX90A:ACCUM_OFFSET: 15
; COMPUTE_PGM_RSRC3_GFX90A:TG_SPLIT: 0
	.section	.text._ZL26rocblas_hemvn_kernel_upperILb0ELi64ELi4ELi33ELi32ELi16ElPKdS1_PdEviT6_lT7_lT5_lS4_lS5_lS3_lT8_i,"axG",@progbits,_ZL26rocblas_hemvn_kernel_upperILb0ELi64ELi4ELi33ELi32ELi16ElPKdS1_PdEviT6_lT7_lT5_lS4_lS5_lS3_lT8_i,comdat
	.globl	_ZL26rocblas_hemvn_kernel_upperILb0ELi64ELi4ELi33ELi32ELi16ElPKdS1_PdEviT6_lT7_lT5_lS4_lS5_lS3_lT8_i ; -- Begin function _ZL26rocblas_hemvn_kernel_upperILb0ELi64ELi4ELi33ELi32ELi16ElPKdS1_PdEviT6_lT7_lT5_lS4_lS5_lS3_lT8_i
	.p2align	8
	.type	_ZL26rocblas_hemvn_kernel_upperILb0ELi64ELi4ELi33ELi32ELi16ElPKdS1_PdEviT6_lT7_lT5_lS4_lS5_lS3_lT8_i,@function
_ZL26rocblas_hemvn_kernel_upperILb0ELi64ELi4ELi33ELi32ELi16ElPKdS1_PdEviT6_lT7_lT5_lS4_lS5_lS3_lT8_i: ; @_ZL26rocblas_hemvn_kernel_upperILb0ELi64ELi4ELi33ELi32ELi16ElPKdS1_PdEviT6_lT7_lT5_lS4_lS5_lS3_lT8_i
; %bb.0:
	s_load_dwordx2 s[2:3], s[4:5], 0x84
	s_add_u32 s0, s4, 0x78
	s_addc_u32 s1, s5, 0
	s_waitcnt lgkmcnt(0)
	s_lshr_b32 s8, s2, 16
	s_and_b32 s2, s2, 0xffff
	s_and_b32 s3, s3, 0xffff
	s_mul_i32 s2, s8, s2
	s_mul_i32 s2, s2, s3
	s_cmpk_lg_i32 s2, 0x100
	s_cbranch_scc1 .LBB94_126
; %bb.1:
	s_load_dwordx16 s[8:23], s[4:5], 0x8
	s_load_dwordx8 s[24:31], s[4:5], 0x48
	s_waitcnt lgkmcnt(0)
	s_mul_i32 s3, s7, s11
	s_mul_hi_u32 s11, s7, s10
	s_mul_i32 s2, s7, s10
	s_add_i32 s3, s11, s3
	s_lshl_b64 s[2:3], s[2:3], 3
	s_mul_i32 s10, s7, s31
	s_add_u32 s2, s8, s2
	s_mul_hi_u32 s8, s7, s30
	s_addc_u32 s3, s9, s3
	s_add_i32 s9, s8, s10
	s_mul_i32 s8, s7, s30
	s_lshl_b64 s[8:9], s[8:9], 3
	s_add_u32 s8, s28, s8
	s_addc_u32 s9, s29, s9
	s_load_dwordx2 s[2:3], s[2:3], 0x0
	s_waitcnt lgkmcnt(0)
	v_cmp_eq_f64_e64 s[2:3], s[2:3], 0
	s_load_dwordx2 s[8:9], s[8:9], 0x0
	s_waitcnt lgkmcnt(0)
	v_cmp_eq_f64_e64 s[8:9], s[8:9], 1.0
	s_and_b64 s[8:9], s[2:3], s[8:9]
	s_and_b64 vcc, exec, s[8:9]
	s_cbranch_vccnz .LBB94_126
; %bb.2:
	s_and_b64 vcc, exec, s[2:3]
	s_cbranch_vccnz .LBB94_126
; %bb.3:
	s_load_dword s33, s[0:1], 0x0
	s_load_dwordx2 s[28:29], s[4:5], 0x68
	s_load_dword s37, s[4:5], 0x0
	s_mul_i32 s0, s7, s27
	s_mul_hi_u32 s1, s7, s26
	s_add_i32 s1, s1, s0
	s_mul_i32 s0, s7, s26
	s_lshl_b64 s[0:1], s[0:1], 3
	s_add_u32 s2, s20, s0
	s_addc_u32 s3, s21, s1
	s_lshl_b64 s[0:1], s[22:23], 3
	s_add_u32 s2, s2, s0
	s_addc_u32 s3, s3, s1
	s_waitcnt lgkmcnt(0)
	s_ashr_i32 s38, s37, 31
	s_lshr_b32 s1, s38, 26
	v_and_b32_e32 v61, 0x3ff, v0
	s_lshl_b32 s22, s6, 6
	s_add_i32 s1, s37, s1
	s_andn2_b32 s1, s1, 63
	v_add_u32_e32 v24, s22, v61
	s_add_i32 s0, s33, -1
	s_sub_i32 s36, s37, s1
	v_ashrrev_i32_e32 v25, 31, v24
	v_bfe_u32 v120, v0, 10, 10
	s_cmp_eq_u32 s6, s0
	v_mul_lo_u32 v2, v25, s24
	v_mul_lo_u32 v3, v24, s25
	v_mad_u64_u32 v[0:1], s[0:1], v24, s24, 0
	v_add3_u32 v1, v1, v3, v2
	v_lshlrev_b64 v[0:1], 3, v[0:1]
	v_mov_b32_e32 v2, s3
	v_add_co_u32_e32 v14, vcc, s2, v0
	s_cselect_b32 s20, s36, 0
	v_addc_co_u32_e32 v15, vcc, v2, v1, vcc
	v_cmp_eq_u32_e64 s[0:1], 0, v120
	s_and_saveexec_b64 s[2:3], s[0:1]
	s_cbranch_execz .LBB94_7
; %bb.4:
	s_cmp_eq_u32 s20, 0
	s_cselect_b64 s[4:5], -1, 0
	v_cmp_gt_i32_e32 vcc, s20, v61
	s_or_b64 s[8:9], s[4:5], vcc
	v_pk_mov_b32 v[0:1], 0, 0
	s_and_saveexec_b64 s[4:5], s[8:9]
	s_cbranch_execz .LBB94_6
; %bb.5:
	global_load_dwordx2 v[0:1], v[14:15], off
.LBB94_6:
	s_or_b64 exec, exec, s[4:5]
	v_lshlrev_b32_e32 v2, 3, v61
	s_waitcnt vmcnt(0)
	ds_write_b64 v2, v[0:1] offset:9088
.LBB94_7:
	s_or_b64 exec, exec, s[2:3]
	s_mul_i32 s2, s7, s19
	s_mul_hi_u32 s3, s7, s18
	s_add_i32 s3, s3, s2
	s_mul_i32 s2, s7, s18
	s_lshl_b64 s[2:3], s[2:3], 3
	s_add_u32 s4, s12, s2
	s_addc_u32 s5, s13, s3
	s_lshl_b64 s[2:3], s[14:15], 3
	s_add_u32 s4, s4, s2
	s_addc_u32 s5, s5, s3
	s_ashr_i32 s23, s22, 31
	v_lshl_add_u32 v22, v120, 6, v61
	s_lshl_b64 s[2:3], s[22:23], 3
	v_and_b32_e32 v0, 31, v61
	v_lshrrev_b32_e32 v18, 5, v22
	s_add_u32 s4, s4, s2
	v_mov_b32_e32 v1, 0
	s_addc_u32 s5, s5, s3
	v_mad_u64_u32 v[2:3], s[2:3], v18, s16, v[0:1]
	v_mov_b32_e32 v4, v3
	v_mad_u64_u32 v[4:5], s[2:3], v18, s17, v[4:5]
	s_mul_i32 s2, s22, s17
	s_mul_hi_u32 s3, s22, s16
	s_add_i32 s2, s3, s2
	s_mul_i32 s3, s23, s16
	s_add_i32 s3, s2, s3
	s_mul_i32 s2, s22, s16
	s_lshl_b64 s[2:3], s[2:3], 3
	s_add_u32 s2, s2, s4
	v_mov_b32_e32 v3, v4
	s_addc_u32 s3, s3, s5
	v_lshlrev_b64 v[12:13], 3, v[2:3]
	s_cmp_eq_u32 s20, 0
	v_mov_b32_e32 v1, s3
	v_add_co_u32_e32 v4, vcc, s2, v12
	s_cselect_b64 s[18:19], -1, 0
	s_cmp_lg_u32 s20, 0
	v_addc_co_u32_e32 v5, vcc, v1, v13, vcc
	s_cselect_b64 s[26:27], -1, 0
	s_and_b64 vcc, exec, s[26:27]
	v_cmp_gt_i32_e64 s[2:3], s20, v0
	v_lshlrev_b32_e32 v1, 3, v0
	s_mul_i32 s39, s17, 0xc0
	s_cbranch_vccz .LBB94_17
; %bb.8:
	v_sub_co_u32_e32 v2, vcc, v4, v1
	s_ashr_i32 s21, s20, 31
	v_subbrev_co_u32_e32 v3, vcc, 0, v5, vcc
	s_lshl_b64 s[4:5], s[20:21], 3
	v_mov_b32_e32 v6, s5
	v_add_co_u32_e32 v2, vcc, s4, v2
	v_addc_co_u32_e32 v3, vcc, v3, v6, vcc
	v_add_co_u32_e32 v2, vcc, -8, v2
	v_addc_co_u32_e32 v3, vcc, -1, v3, vcc
	v_pk_mov_b32 v[6:7], 0, 0
	v_cndmask_b32_e64 v3, v3, v5, s[2:3]
	v_cndmask_b32_e64 v2, v2, v4, s[2:3]
	v_cmp_gt_i32_e32 vcc, s20, v18
	v_pk_mov_b32 v[8:9], v[6:7], v[6:7] op_sel:[0,1]
	s_and_saveexec_b64 s[8:9], vcc
	s_cbranch_execz .LBB94_10
; %bb.9:
	global_load_dwordx2 v[8:9], v[2:3], off
.LBB94_10:
	s_or_b64 exec, exec, s[8:9]
	v_mul_u32_u24_e32 v10, 33, v18
	v_add_lshl_u32 v10, v10, v0, 3
	s_waitcnt vmcnt(0)
	ds_write_b64 v10, v[8:9]
	v_add_u32_e32 v8, 8, v18
	v_cmp_gt_i32_e32 vcc, s20, v8
	s_and_saveexec_b64 s[8:9], vcc
	s_cbranch_execz .LBB94_12
; %bb.11:
	s_lshl_b64 s[10:11], s[16:17], 6
	v_mov_b32_e32 v7, s11
	v_add_co_u32_e32 v6, vcc, s10, v2
	v_addc_co_u32_e32 v7, vcc, v3, v7, vcc
	global_load_dwordx2 v[6:7], v[6:7], off
.LBB94_12:
	s_or_b64 exec, exec, s[8:9]
	s_waitcnt vmcnt(0)
	ds_write_b64 v10, v[6:7] offset:2112
	v_add_u32_e32 v6, 16, v18
	v_cmp_gt_i32_e32 vcc, s20, v6
	v_pk_mov_b32 v[6:7], 0, 0
	v_pk_mov_b32 v[8:9], v[6:7], v[6:7] op_sel:[0,1]
	s_and_saveexec_b64 s[8:9], vcc
	s_cbranch_execz .LBB94_14
; %bb.13:
	s_lshl_b64 s[10:11], s[16:17], 7
	v_mov_b32_e32 v9, s11
	v_add_co_u32_e32 v8, vcc, s10, v2
	v_addc_co_u32_e32 v9, vcc, v3, v9, vcc
	global_load_dwordx2 v[8:9], v[8:9], off
.LBB94_14:
	s_or_b64 exec, exec, s[8:9]
	s_waitcnt vmcnt(0)
	ds_write_b64 v10, v[8:9] offset:4224
	v_add_u32_e32 v8, 24, v18
	v_cmp_gt_i32_e32 vcc, s20, v8
	s_and_saveexec_b64 s[8:9], vcc
	s_cbranch_execz .LBB94_16
; %bb.15:
	v_mov_b32_e32 v6, 0xc0
	v_mad_u64_u32 v[6:7], s[10:11], s16, v6, v[2:3]
	v_add_u32_e32 v7, s39, v7
	global_load_dwordx2 v[6:7], v[6:7], off
.LBB94_16:
	s_or_b64 exec, exec, s[8:9]
	v_add_co_u32_e32 v2, vcc, v2, v1
	v_addc_co_u32_e32 v3, vcc, 0, v3, vcc
	s_waitcnt vmcnt(0)
	ds_write_b64 v10, v[6:7] offset:6336
	v_mov_b32_e32 v6, s5
	v_subrev_co_u32_e32 v2, vcc, s4, v2
	v_subb_co_u32_e32 v3, vcc, v3, v6, vcc
	v_add_co_u32_e32 v2, vcc, 8, v2
	v_addc_co_u32_e32 v3, vcc, 0, v3, vcc
	v_cndmask_b32_e64 v3, v3, v5, s[2:3]
	v_cndmask_b32_e64 v2, v2, v4, s[2:3]
	v_mul_u32_u24_e32 v19, 33, v18
	s_branch .LBB94_19
.LBB94_17:
                                        ; implicit-def: $vgpr2_vgpr3
	v_mul_u32_u24_e32 v19, 33, v18
	s_cbranch_execz .LBB94_19
; %bb.18:
	s_lshl_b64 s[2:3], s[16:17], 6
	v_mov_b32_e32 v10, s3
	v_add_co_u32_e32 v2, vcc, s2, v4
	v_addc_co_u32_e32 v3, vcc, v5, v10, vcc
	global_load_dwordx2 v[6:7], v[4:5], off
	global_load_dwordx2 v[8:9], v[2:3], off
	v_add_co_u32_e32 v2, vcc, s2, v2
	v_addc_co_u32_e32 v3, vcc, v3, v10, vcc
	v_mov_b32_e32 v10, 0xc0
	v_mad_u64_u32 v[10:11], s[2:3], s16, v10, v[4:5]
	v_add_u32_e32 v11, s39, v11
	global_load_dwordx2 v[16:17], v[10:11], off
	global_load_dwordx2 v[20:21], v[2:3], off
	v_add_lshl_u32 v2, v19, v0, 3
	s_waitcnt vmcnt(3)
	ds_write_b64 v2, v[6:7]
	s_waitcnt vmcnt(2)
	ds_write_b64 v2, v[8:9] offset:2112
	s_waitcnt vmcnt(1)
	ds_write_b64 v2, v[16:17] offset:6336
	;; [unrolled: 2-line block ×3, first 2 shown]
	v_pk_mov_b32 v[2:3], v[4:5], v[4:5] op_sel:[0,1]
.LBB94_19:
	v_lshlrev_b32_e32 v4, 2, v18
	v_mul_u32_u24_e32 v20, 33, v0
	v_cmp_gt_u32_e64 s[4:5], v4, v0
	v_add_lshl_u32 v16, v4, v20, 3
	s_waitcnt lgkmcnt(0)
	s_barrier
	s_and_saveexec_b64 s[2:3], s[4:5]
	s_cbranch_execz .LBB94_21
; %bb.20:
	v_mul_u32_u24_e32 v5, 0x84, v18
	v_add_lshl_u32 v5, v5, v0, 3
	ds_read_b64 v[6:7], v5
	s_waitcnt lgkmcnt(0)
	ds_write_b64 v16, v[6:7]
.LBB94_21:
	s_or_b64 exec, exec, s[2:3]
	v_cmp_ge_u32_e64 s[14:15], v4, v0
	s_and_saveexec_b64 s[2:3], s[14:15]
	s_cbranch_execz .LBB94_23
; %bb.22:
	v_or_b32_e32 v5, 1, v4
	v_mul_u32_u24_e32 v5, 33, v5
	v_add_lshl_u32 v5, v5, v0, 3
	ds_read_b64 v[6:7], v5
	s_waitcnt lgkmcnt(0)
	ds_write_b64 v16, v[6:7] offset:8
.LBB94_23:
	s_or_b64 exec, exec, s[2:3]
	v_or_b32_e32 v5, 2, v4
	v_cmp_gt_u32_e64 s[8:9], v5, v0
	s_and_saveexec_b64 s[2:3], s[8:9]
	s_cbranch_execz .LBB94_25
; %bb.24:
	v_mul_u32_u24_e32 v5, 33, v5
	v_add_lshl_u32 v5, v5, v0, 3
	ds_read_b64 v[6:7], v5
	s_waitcnt lgkmcnt(0)
	ds_write_b64 v16, v[6:7] offset:16
.LBB94_25:
	s_or_b64 exec, exec, s[2:3]
	v_or_b32_e32 v5, 3, v4
	v_cmp_gt_u32_e64 s[10:11], v5, v0
	v_mad_u32_u24 v5, v5, 33, v0
	v_lshlrev_b32_e32 v29, 3, v5
	s_and_saveexec_b64 s[2:3], s[10:11]
	s_cbranch_execz .LBB94_27
; %bb.26:
	ds_read_b64 v[6:7], v29
	s_waitcnt lgkmcnt(0)
	ds_write_b64 v16, v[6:7] offset:24
.LBB94_27:
	s_or_b64 exec, exec, s[2:3]
	v_mul_u32_u24_e32 v5, 0x84, v18
	v_add_lshl_u32 v21, v5, v0, 3
	s_waitcnt lgkmcnt(0)
	s_barrier
	v_lshlrev_b32_e32 v17, 3, v4
	ds_read_b64 v[36:37], v21
	ds_read_b128 v[4:7], v17 offset:9088
	v_add_u32_e32 v30, 0xfffffdf0, v29
	ds_read2_b64 v[8:11], v30 offset1:33
	ds_read_b128 v[32:35], v17 offset:9104
	ds_read_b64 v[38:39], v29
	v_pk_mov_b32 v[26:27], 0, 0
	v_add_lshl_u32 v28, v18, v20, 3
	s_waitcnt lgkmcnt(3)
	v_fma_f64 v[4:5], v[36:37], v[4:5], 0
	s_waitcnt lgkmcnt(2)
	v_fmac_f64_e32 v[4:5], v[8:9], v[6:7]
	s_waitcnt lgkmcnt(1)
	v_fmac_f64_e32 v[4:5], v[10:11], v[32:33]
	;; [unrolled: 2-line block ×3, first 2 shown]
	v_cmp_gt_u32_e64 s[2:3], 32, v22
	v_lshlrev_b32_e32 v23, 3, v20
	s_barrier
	ds_write_b64 v28, v[4:5]
	s_waitcnt lgkmcnt(0)
	s_barrier
	s_and_saveexec_b64 s[12:13], s[2:3]
	s_cbranch_execz .LBB94_29
; %bb.28:
	ds_read2_b64 v[4:7], v23 offset1:1
	ds_read2_b64 v[8:11], v23 offset0:2 offset1:3
	ds_read2_b64 v[32:35], v23 offset0:4 offset1:5
	s_waitcnt lgkmcnt(2)
	v_add_f64 v[26:27], v[4:5], v[6:7]
	ds_read2_b64 v[4:7], v23 offset0:6 offset1:7
	s_waitcnt lgkmcnt(2)
	v_add_f64 v[8:9], v[26:27], v[8:9]
	v_add_f64 v[8:9], v[8:9], v[10:11]
	s_waitcnt lgkmcnt(1)
	v_add_f64 v[8:9], v[8:9], v[32:33]
	v_add_f64 v[8:9], v[8:9], v[34:35]
	;; [unrolled: 3-line block ×3, first 2 shown]
.LBB94_29:
	s_or_b64 exec, exec, s[12:13]
	s_lshl_b64 s[12:13], s[16:17], 8
	v_mov_b32_e32 v4, s13
	v_add_co_u32_e32 v6, vcc, s12, v2
	v_addc_co_u32_e32 v7, vcc, v3, v4, vcc
	v_add_co_u32_e32 v4, vcc, 0x100, v6
	v_addc_co_u32_e32 v5, vcc, 0, v7, vcc
	s_and_b64 vcc, exec, s[26:27]
	s_barrier
	s_cbranch_vccz .LBB94_39
; %bb.30:
	v_sub_co_u32_e32 v3, vcc, v4, v1
	s_ashr_i32 s21, s20, 31
	v_subbrev_co_u32_e32 v8, vcc, 0, v5, vcc
	s_lshl_b64 s[30:31], s[20:21], 3
	v_mov_b32_e32 v9, s31
	v_add_co_u32_e32 v3, vcc, s30, v3
	v_or_b32_e32 v2, 32, v0
	v_addc_co_u32_e32 v8, vcc, v8, v9, vcc
	v_add_co_u32_e32 v9, vcc, 0xfffffef8, v3
	v_cmp_gt_i32_e64 s[12:13], s20, v2
	v_addc_co_u32_e32 v3, vcc, -1, v8, vcc
	v_cndmask_b32_e64 v2, v9, v4, s[12:13]
	s_sub_i32 s21, s20, 32
	v_pk_mov_b32 v[8:9], 0, 0
	v_cndmask_b32_e64 v3, v3, v5, s[12:13]
	v_cmp_gt_i32_e32 vcc, s21, v18
	v_pk_mov_b32 v[10:11], v[8:9], v[8:9] op_sel:[0,1]
	s_and_saveexec_b64 s[34:35], vcc
	s_cbranch_execz .LBB94_32
; %bb.31:
	global_load_dwordx2 v[10:11], v[2:3], off
.LBB94_32:
	s_or_b64 exec, exec, s[34:35]
	v_add_lshl_u32 v31, v19, v0, 3
	s_waitcnt vmcnt(0)
	ds_write_b64 v31, v[10:11]
	v_add_u32_e32 v10, 8, v18
	v_cmp_gt_i32_e32 vcc, s21, v10
	s_and_saveexec_b64 s[34:35], vcc
	s_cbranch_execz .LBB94_34
; %bb.33:
	s_lshl_b64 s[40:41], s[16:17], 6
	v_mov_b32_e32 v9, s41
	v_add_co_u32_e32 v8, vcc, s40, v2
	v_addc_co_u32_e32 v9, vcc, v3, v9, vcc
	global_load_dwordx2 v[8:9], v[8:9], off
.LBB94_34:
	s_or_b64 exec, exec, s[34:35]
	s_waitcnt vmcnt(0)
	ds_write_b64 v31, v[8:9] offset:2112
	v_add_u32_e32 v8, 16, v18
	v_cmp_gt_i32_e32 vcc, s21, v8
	v_pk_mov_b32 v[8:9], 0, 0
	v_pk_mov_b32 v[10:11], v[8:9], v[8:9] op_sel:[0,1]
	s_and_saveexec_b64 s[34:35], vcc
	s_cbranch_execz .LBB94_36
; %bb.35:
	s_lshl_b64 s[40:41], s[16:17], 7
	v_mov_b32_e32 v11, s41
	v_add_co_u32_e32 v10, vcc, s40, v2
	v_addc_co_u32_e32 v11, vcc, v3, v11, vcc
	global_load_dwordx2 v[10:11], v[10:11], off
.LBB94_36:
	s_or_b64 exec, exec, s[34:35]
	s_waitcnt vmcnt(0)
	ds_write_b64 v31, v[10:11] offset:4224
	v_add_u32_e32 v10, 24, v18
	v_cmp_gt_i32_e32 vcc, s21, v10
	s_and_saveexec_b64 s[34:35], vcc
	s_cbranch_execz .LBB94_38
; %bb.37:
	v_mov_b32_e32 v8, 0xc0
	v_mad_u64_u32 v[8:9], s[40:41], s16, v8, v[2:3]
	v_add_u32_e32 v9, s39, v9
	global_load_dwordx2 v[8:9], v[8:9], off
.LBB94_38:
	s_or_b64 exec, exec, s[34:35]
	v_add_co_u32_e32 v2, vcc, v2, v1
	v_addc_co_u32_e32 v3, vcc, 0, v3, vcc
	s_waitcnt vmcnt(0)
	ds_write_b64 v31, v[8:9] offset:6336
	v_mov_b32_e32 v8, s31
	v_subrev_co_u32_e32 v2, vcc, s30, v2
	v_subb_co_u32_e32 v3, vcc, v3, v8, vcc
	v_add_co_u32_e32 v2, vcc, 0x108, v2
	v_addc_co_u32_e32 v3, vcc, 0, v3, vcc
	v_cndmask_b32_e64 v3, v3, v5, s[12:13]
	v_cndmask_b32_e64 v2, v2, v4, s[12:13]
	s_branch .LBB94_41
.LBB94_39:
                                        ; implicit-def: $vgpr2_vgpr3
	s_cbranch_execz .LBB94_41
; %bb.40:
	s_lshl_b64 s[12:13], s[16:17], 6
	v_mov_b32_e32 v9, s13
	v_add_co_u32_e32 v2, vcc, s12, v6
	v_addc_co_u32_e32 v3, vcc, v7, v9, vcc
	v_mov_b32_e32 v10, 0xc0
	v_add_co_u32_e32 v8, vcc, s12, v2
	v_mad_u64_u32 v[10:11], s[12:13], s16, v10, v[6:7]
	v_addc_co_u32_e32 v9, vcc, v3, v9, vcc
	v_add_u32_e32 v11, s39, v11
	global_load_dwordx2 v[32:33], v[6:7], off offset:256
	global_load_dwordx2 v[34:35], v[2:3], off offset:256
	;; [unrolled: 1-line block ×4, first 2 shown]
	v_add_lshl_u32 v2, v19, v0, 3
	s_waitcnt vmcnt(3)
	ds_write_b64 v2, v[32:33]
	s_waitcnt vmcnt(2)
	ds_write_b64 v2, v[34:35] offset:2112
	s_waitcnt vmcnt(1)
	ds_write_b64 v2, v[36:37] offset:4224
	;; [unrolled: 2-line block ×3, first 2 shown]
	v_pk_mov_b32 v[2:3], v[4:5], v[4:5] op_sel:[0,1]
.LBB94_41:
	s_waitcnt lgkmcnt(0)
	s_barrier
	s_and_saveexec_b64 s[12:13], s[4:5]
	s_cbranch_execnz .LBB94_58
; %bb.42:
	s_or_b64 exec, exec, s[12:13]
	s_and_saveexec_b64 s[4:5], s[14:15]
	s_cbranch_execnz .LBB94_59
.LBB94_43:
	s_or_b64 exec, exec, s[4:5]
	s_and_saveexec_b64 s[4:5], s[8:9]
	s_cbranch_execnz .LBB94_60
.LBB94_44:
	s_or_b64 exec, exec, s[4:5]
	v_add_u32_e32 v31, 0x2380, v17
	s_and_saveexec_b64 s[4:5], s[10:11]
	s_cbranch_execz .LBB94_46
.LBB94_45:
	ds_read_b64 v[4:5], v29
	s_waitcnt lgkmcnt(0)
	ds_write_b64 v16, v[4:5] offset:24
.LBB94_46:
	s_or_b64 exec, exec, s[4:5]
	s_waitcnt lgkmcnt(0)
	s_barrier
	ds_read_b64 v[16:17], v21
	ds_read_b128 v[4:7], v31 offset:256
	ds_read2_b64 v[8:11], v30 offset1:33
	ds_read_b128 v[32:35], v31 offset:272
	ds_read_b64 v[36:37], v29
	v_cmp_eq_u32_e64 s[4:5], 1, v18
	s_waitcnt lgkmcnt(3)
	v_fma_f64 v[4:5], v[16:17], v[4:5], 0
	s_waitcnt lgkmcnt(2)
	v_fmac_f64_e32 v[4:5], v[8:9], v[6:7]
	s_waitcnt lgkmcnt(1)
	v_fmac_f64_e32 v[4:5], v[10:11], v[32:33]
	;; [unrolled: 2-line block ×3, first 2 shown]
	s_barrier
	ds_write_b64 v28, v[4:5]
	s_waitcnt lgkmcnt(0)
	s_barrier
	s_and_saveexec_b64 s[8:9], s[4:5]
	s_cbranch_execz .LBB94_48
; %bb.47:
	ds_read2_b64 v[4:7], v23 offset1:1
	ds_read2_b64 v[8:11], v23 offset0:2 offset1:3
	ds_read2_b64 v[32:35], v23 offset0:4 offset1:5
	s_waitcnt lgkmcnt(2)
	v_add_f64 v[16:17], v[4:5], v[6:7]
	ds_read2_b64 v[4:7], v23 offset0:6 offset1:7
	s_waitcnt lgkmcnt(2)
	v_add_f64 v[8:9], v[16:17], v[8:9]
	v_add_f64 v[8:9], v[8:9], v[10:11]
	s_waitcnt lgkmcnt(1)
	v_add_f64 v[8:9], v[8:9], v[32:33]
	v_add_f64 v[8:9], v[8:9], v[34:35]
	;; [unrolled: 3-line block ×3, first 2 shown]
.LBB94_48:
	s_or_b64 exec, exec, s[8:9]
	v_add_co_u32_e32 v4, vcc, 0xffffff00, v2
	v_addc_co_u32_e32 v5, vcc, -1, v3, vcc
	s_and_b64 vcc, exec, s[26:27]
	s_barrier
	s_cbranch_vccz .LBB94_61
; %bb.49:
	v_sub_co_u32_e32 v6, vcc, v2, v1
	s_ashr_i32 s21, s20, 31
	v_subbrev_co_u32_e32 v7, vcc, 0, v3, vcc
	s_lshl_b64 s[10:11], s[20:21], 3
	v_mov_b32_e32 v8, s11
	v_add_co_u32_e32 v6, vcc, s10, v6
	v_addc_co_u32_e32 v7, vcc, v7, v8, vcc
	v_add_co_u32_e32 v6, vcc, 0xfffffef8, v6
	v_addc_co_u32_e32 v7, vcc, -1, v7, vcc
	v_cmp_gt_i32_e32 vcc, s20, v0
	s_sub_i32 s14, s20, 32
	v_pk_mov_b32 v[8:9], 0, 0
	v_cndmask_b32_e32 v7, v7, v5, vcc
	v_cndmask_b32_e32 v6, v6, v4, vcc
	v_cmp_gt_i32_e64 s[8:9], s14, v18
	v_pk_mov_b32 v[10:11], v[8:9], v[8:9] op_sel:[0,1]
	s_and_saveexec_b64 s[12:13], s[8:9]
	s_cbranch_execz .LBB94_51
; %bb.50:
	global_load_dwordx2 v[10:11], v[6:7], off
.LBB94_51:
	s_or_b64 exec, exec, s[12:13]
	v_add_u32_e32 v32, 8, v18
	v_add_lshl_u32 v16, v19, v0, 3
	v_cmp_gt_i32_e64 s[8:9], s14, v32
	s_waitcnt vmcnt(0)
	ds_write_b64 v16, v[10:11]
	s_and_saveexec_b64 s[12:13], s[8:9]
	s_cbranch_execz .LBB94_53
; %bb.52:
	s_lshl_b64 s[8:9], s[16:17], 6
	v_mov_b32_e32 v9, s9
	v_add_co_u32_e64 v8, s[8:9], s8, v6
	v_addc_co_u32_e64 v9, s[8:9], v7, v9, s[8:9]
	global_load_dwordx2 v[8:9], v[8:9], off
.LBB94_53:
	s_or_b64 exec, exec, s[12:13]
	s_waitcnt vmcnt(0)
	ds_write_b64 v16, v[8:9] offset:2112
	v_add_u32_e32 v33, 16, v18
	v_pk_mov_b32 v[8:9], 0, 0
	v_cmp_gt_i32_e64 s[8:9], s14, v33
	v_pk_mov_b32 v[10:11], v[8:9], v[8:9] op_sel:[0,1]
	s_and_saveexec_b64 s[12:13], s[8:9]
	s_cbranch_execz .LBB94_55
; %bb.54:
	s_lshl_b64 s[8:9], s[16:17], 7
	v_mov_b32_e32 v11, s9
	v_add_co_u32_e64 v10, s[8:9], s8, v6
	v_addc_co_u32_e64 v11, s[8:9], v7, v11, s[8:9]
	global_load_dwordx2 v[10:11], v[10:11], off
.LBB94_55:
	s_or_b64 exec, exec, s[12:13]
	s_waitcnt vmcnt(0)
	ds_write_b64 v16, v[10:11] offset:4224
	v_add_u32_e32 v10, 24, v18
	v_cmp_gt_i32_e64 s[8:9], s14, v10
	s_and_saveexec_b64 s[12:13], s[8:9]
	s_cbranch_execz .LBB94_57
; %bb.56:
	v_mov_b32_e32 v8, 0xc0
	v_mad_u64_u32 v[8:9], s[8:9], s16, v8, v[6:7]
	v_add_u32_e32 v9, s39, v9
	global_load_dwordx2 v[8:9], v[8:9], off
.LBB94_57:
	s_or_b64 exec, exec, s[12:13]
	v_add_co_u32_e64 v1, s[8:9], v6, v1
	v_addc_co_u32_e64 v6, s[8:9], 0, v7, s[8:9]
	v_mov_b32_e32 v7, s11
	v_subrev_co_u32_e64 v1, s[8:9], s10, v1
	v_subb_co_u32_e64 v6, s[8:9], v6, v7, s[8:9]
	v_add_co_u32_e64 v1, s[8:9], 8, v1
	v_addc_co_u32_e64 v6, s[8:9], 0, v6, s[8:9]
	s_waitcnt vmcnt(0)
	ds_write_b64 v16, v[8:9] offset:6336
	v_cndmask_b32_e32 v17, v6, v5, vcc
	v_cndmask_b32_e32 v16, v1, v4, vcc
	s_branch .LBB94_63
.LBB94_58:
	ds_read_b64 v[4:5], v21
	s_waitcnt lgkmcnt(0)
	ds_write_b64 v16, v[4:5]
	s_or_b64 exec, exec, s[12:13]
	s_and_saveexec_b64 s[4:5], s[14:15]
	s_cbranch_execz .LBB94_43
.LBB94_59:
	ds_read_b64 v[4:5], v30
	s_waitcnt lgkmcnt(0)
	ds_write_b64 v16, v[4:5] offset:8
	s_or_b64 exec, exec, s[4:5]
	s_and_saveexec_b64 s[4:5], s[8:9]
	s_cbranch_execz .LBB94_44
.LBB94_60:
	ds_read_b64 v[4:5], v30 offset:264
	s_waitcnt lgkmcnt(0)
	ds_write_b64 v16, v[4:5] offset:16
	s_or_b64 exec, exec, s[4:5]
	v_add_u32_e32 v31, 0x2380, v17
	s_and_saveexec_b64 s[4:5], s[10:11]
	s_cbranch_execnz .LBB94_45
	s_branch .LBB94_46
.LBB94_61:
                                        ; implicit-def: $vgpr16_vgpr17
                                        ; implicit-def: $vgpr32
                                        ; implicit-def: $vgpr33
                                        ; implicit-def: $vgpr10
	s_cbranch_execz .LBB94_63
; %bb.62:
	s_lshl_b64 s[8:9], s[16:17], 6
	v_mov_b32_e32 v1, s9
	v_add_co_u32_e32 v6, vcc, s8, v2
	v_addc_co_u32_e32 v7, vcc, v3, v1, vcc
	v_add_co_u32_e32 v8, vcc, s8, v6
	v_addc_co_u32_e32 v9, vcc, v7, v1, vcc
	global_load_dwordx2 v[16:17], v[6:7], off offset:-256
	global_load_dwordx2 v[34:35], v[8:9], off offset:-256
	v_mov_b32_e32 v1, 0xc0
	global_load_dwordx2 v[6:7], v[2:3], off offset:-256
	v_mad_u64_u32 v[2:3], s[8:9], s16, v1, v[2:3]
	v_add_u32_e32 v3, s39, v3
	global_load_dwordx2 v[2:3], v[2:3], off offset:-256
	v_add_lshl_u32 v0, v19, v0, 3
	v_add_u32_e32 v32, 8, v18
	v_add_u32_e32 v33, 16, v18
	;; [unrolled: 1-line block ×3, first 2 shown]
	s_waitcnt vmcnt(1)
	ds_write_b64 v0, v[6:7]
	ds_write_b64 v0, v[16:17] offset:2112
	ds_write_b64 v0, v[34:35] offset:4224
	s_waitcnt vmcnt(0)
	ds_write_b64 v0, v[2:3] offset:6336
	v_pk_mov_b32 v[16:17], v[4:5], v[4:5] op_sel:[0,1]
.LBB94_63:
	v_lshlrev_b32_e32 v0, 3, v18
	s_waitcnt lgkmcnt(0)
	s_barrier
	v_add_lshl_u32 v1, v32, v20, 3
	v_lshlrev_b32_e32 v2, 3, v32
	v_add_lshl_u32 v3, v33, v20, 3
	ds_read_b64 v[34:35], v0 offset:9088
	ds_read_b64 v[36:37], v1
	ds_read_b64 v[38:39], v2 offset:9088
	ds_read_b64 v[40:41], v3
	v_lshlrev_b32_e32 v18, 3, v33
	v_add_lshl_u32 v19, v10, v20, 3
	v_lshlrev_b32_e32 v44, 3, v10
	ds_read_b64 v[20:21], v21
	ds_read_b128 v[8:11], v31 offset:256
	ds_read_b64 v[32:33], v28
	ds_read_b128 v[0:3], v31 offset:272
	ds_read2_b64 v[4:7], v30 offset1:33
	ds_read_b64 v[30:31], v18 offset:9088
	ds_read_b64 v[42:43], v19
	ds_read_b64 v[44:45], v44 offset:9088
	ds_read_b64 v[18:19], v29
	s_waitcnt lgkmcnt(6)
	v_fma_f64 v[32:33], v[32:33], v[34:35], 0
	v_fmac_f64_e32 v[32:33], v[36:37], v[38:39]
	s_waitcnt lgkmcnt(3)
	v_fmac_f64_e32 v[32:33], v[40:41], v[30:31]
	s_waitcnt lgkmcnt(1)
	;; [unrolled: 2-line block ×3, first 2 shown]
	s_barrier
	ds_write_b64 v28, v[32:33]
	s_waitcnt lgkmcnt(0)
	s_barrier
	s_and_saveexec_b64 s[8:9], s[4:5]
	s_cbranch_execz .LBB94_65
; %bb.64:
	ds_read2_b64 v[30:33], v23 offset1:1
	ds_read2_b64 v[34:37], v23 offset0:2 offset1:3
	ds_read2_b64 v[38:41], v23 offset0:4 offset1:5
	s_waitcnt lgkmcnt(2)
	v_add_f64 v[26:27], v[26:27], v[30:31]
	v_add_f64 v[26:27], v[26:27], v[32:33]
	ds_read2_b64 v[30:33], v23 offset0:6 offset1:7
	s_waitcnt lgkmcnt(2)
	v_add_f64 v[26:27], v[26:27], v[34:35]
	v_add_f64 v[26:27], v[26:27], v[36:37]
	s_waitcnt lgkmcnt(1)
	v_add_f64 v[26:27], v[26:27], v[38:39]
	v_add_f64 v[26:27], v[26:27], v[40:41]
	s_waitcnt lgkmcnt(0)
	v_add_f64 v[26:27], v[26:27], v[30:31]
	v_add_f64 v[26:27], v[26:27], v[32:33]
.LBB94_65:
	s_or_b64 exec, exec, s[8:9]
	v_fma_f64 v[8:9], v[20:21], v[8:9], 0
	v_fmac_f64_e32 v[8:9], v[4:5], v[10:11]
	v_fmac_f64_e32 v[8:9], v[6:7], v[0:1]
	v_fmac_f64_e32 v[8:9], v[18:19], v[2:3]
	s_barrier
	ds_write_b64 v28, v[8:9]
	s_waitcnt lgkmcnt(0)
	s_barrier
	s_and_saveexec_b64 s[4:5], s[2:3]
	s_cbranch_execz .LBB94_67
; %bb.66:
	ds_read2_b64 v[0:3], v23 offset1:1
	ds_read2_b64 v[4:7], v23 offset0:2 offset1:3
	ds_read2_b64 v[8:11], v23 offset0:4 offset1:5
	s_waitcnt lgkmcnt(2)
	v_add_f64 v[0:1], v[26:27], v[0:1]
	v_add_f64 v[18:19], v[0:1], v[2:3]
	ds_read2_b64 v[0:3], v23 offset0:6 offset1:7
	s_waitcnt lgkmcnt(2)
	v_add_f64 v[4:5], v[18:19], v[4:5]
	v_add_f64 v[4:5], v[4:5], v[6:7]
	s_waitcnt lgkmcnt(1)
	v_add_f64 v[4:5], v[4:5], v[8:9]
	v_add_f64 v[4:5], v[4:5], v[10:11]
	;; [unrolled: 3-line block ×3, first 2 shown]
.LBB94_67:
	s_or_b64 exec, exec, s[4:5]
	s_mul_hi_u32 s2, s37, s7
	s_mul_i32 s38, s38, s7
	s_add_i32 s2, s2, s38
	s_mul_i32 s4, s37, s7
	s_mul_i32 s2, s2, s33
	s_mul_hi_u32 s3, s4, s33
	s_add_i32 s3, s3, s2
	s_mul_i32 s2, s4, s33
	s_lshl_b64 s[2:3], s[2:3], 3
	s_add_u32 s4, s28, s2
	s_addc_u32 s5, s29, s3
	s_mul_hi_i32 s3, s37, s6
	s_mul_i32 s2, s37, s6
	s_lshl_b64 s[2:3], s[2:3], 3
	s_add_u32 s7, s4, s2
	s_addc_u32 s14, s5, s3
	s_add_i32 s2, s6, 1
	s_cmp_ge_u32 s2, s33
	v_lshlrev_b32_e32 v28, 3, v61
	s_barrier
	s_cbranch_scc1 .LBB94_124
; %bb.68:
	s_mul_i32 s2, s22, s25
	s_mul_hi_u32 s3, s22, s24
	s_add_i32 s2, s3, s2
	s_mul_i32 s3, s23, s24
	s_add_i32 s3, s2, s3
	s_mul_i32 s2, s22, s24
	s_lshl_b64 s[2:3], s[2:3], 3
	v_mov_b32_e32 v0, s3
	v_subrev_co_u32_e32 v121, vcc, s2, v14
	v_and_b32_e32 v1, 48, v61
	v_subb_co_u32_e32 v122, vcc, v15, v0, vcc
	v_and_b32_e32 v0, 15, v61
	v_lshlrev_b32_e32 v2, 3, v1
	s_movk_i32 s4, 0x218
	v_lshrrev_b32_e32 v4, 4, v22
	v_mad_u32_u24 v123, v0, s4, v2
	v_or_b32_e32 v2, 0x78, v28
	v_lshlrev_b32_e32 v5, 5, v120
	v_mad_u32_u24 v124, v0, s4, v2
	v_lshlrev_b32_e32 v2, 5, v4
	v_add_u32_e32 v3, 0x100, v5
	v_mad_u32_u24 v125, v0, s4, v2
	v_or_b32_e32 v126, v1, v0
	v_mad_u64_u32 v[0:1], s[4:5], s16, v3, 0
	v_mov_b32_e32 v2, v1
	v_mad_u64_u32 v[2:3], s[4:5], s17, v3, v[2:3]
	v_mov_b32_e32 v1, v2
	v_sub_co_u32_e32 v0, vcc, v0, v12
	v_subb_co_u32_e32 v1, vcc, v1, v13, vcc
	v_add_co_u32_e32 v30, vcc, v16, v0
	v_add_u32_e32 v3, 0x110, v5
	v_addc_co_u32_e32 v29, vcc, v17, v1, vcc
	v_mad_u64_u32 v[0:1], s[4:5], s16, v3, 0
	v_mov_b32_e32 v2, v1
	v_mad_u64_u32 v[2:3], s[4:5], s17, v3, v[2:3]
	v_mov_b32_e32 v1, v2
	v_sub_co_u32_e32 v0, vcc, v0, v12
	v_subb_co_u32_e32 v1, vcc, v1, v13, vcc
	v_add_co_u32_e32 v32, vcc, v16, v0
	v_add_u32_e32 v3, 0x108, v5
	v_addc_co_u32_e32 v31, vcc, v17, v1, vcc
	;; [unrolled: 9-line block ×12, first 2 shown]
	v_mad_u64_u32 v[0:1], s[4:5], s16, v3, 0
	v_mov_b32_e32 v2, v1
	v_mad_u64_u32 v[2:3], s[4:5], s17, v3, v[2:3]
	v_mov_b32_e32 v1, v2
	v_sub_co_u32_e32 v6, vcc, v0, v12
	v_add_u32_e32 v3, 0x288, v5
	v_subb_co_u32_e32 v7, vcc, v1, v13, vcc
	v_mad_u64_u32 v[0:1], s[4:5], s16, v3, 0
	v_mov_b32_e32 v2, v1
	v_mad_u64_u32 v[2:3], s[4:5], s17, v3, v[2:3]
	v_mov_b32_e32 v1, v2
	v_sub_co_u32_e32 v8, vcc, v0, v12
	v_add_u32_e32 v3, 0x290, v5
	v_subb_co_u32_e32 v9, vcc, v1, v13, vcc
	;; [unrolled: 7-line block ×3, first 2 shown]
	v_mad_u64_u32 v[0:1], s[4:5], s16, v3, 0
	v_mov_b32_e32 v2, v1
	v_add_co_u32_e32 v54, vcc, v16, v6
	v_mad_u64_u32 v[2:3], s[4:5], s17, v3, v[2:3]
	v_addc_co_u32_e32 v53, vcc, v17, v7, vcc
	v_mov_b32_e32 v1, v2
	v_sub_co_u32_e32 v0, vcc, v0, v12
	v_subb_co_u32_e32 v1, vcc, v1, v13, vcc
	v_add_co_u32_e32 v56, vcc, v16, v8
	v_addc_co_u32_e32 v55, vcc, v17, v9, vcc
	v_add_co_u32_e32 v58, vcc, v16, v10
	v_addc_co_u32_e32 v57, vcc, v17, v11, vcc
	v_add_co_u32_e32 v60, vcc, v16, v0
	s_movk_i32 s4, 0x860
	v_mul_i32_i24_e32 v0, 0xffffffe8, v4
	v_lshlrev_b32_e32 v129, 2, v120
	v_cmp_gt_u32_e64 s[2:3], 64, v22
	v_addc_co_u32_e32 v59, vcc, v17, v1, vcc
	s_add_i32 s15, s33, -2
	v_add_u32_e32 v127, 0x2180, v5
	s_add_i32 s21, s22, 64
	s_lshl_b64 s[10:11], s[16:17], 9
	v_add_u32_e32 v128, v125, v0
	v_add_u32_e32 v130, 0x2180, v28
	;; [unrolled: 1-line block ×3, first 2 shown]
	v_or_b32_e32 v132, 1, v129
	v_or_b32_e32 v133, 2, v129
	;; [unrolled: 1-line block ×3, first 2 shown]
	v_mad_u32_u24 v135, v120, s4, v28
	v_add_u32_e32 v136, 16, v129
	v_add_u32_e32 v137, 17, v129
	;; [unrolled: 1-line block ×12, first 2 shown]
	s_cmp_eq_u32 s15, s6
	s_cselect_b32 s16, s36, 0
	s_and_saveexec_b64 s[4:5], s[0:1]
	s_cbranch_execz .LBB94_72
.LBB94_69:
	s_cmp_eq_u32 s16, 0
	s_cselect_b64 s[8:9], -1, 0
	v_cmp_gt_i32_e32 vcc, s16, v61
	s_or_b64 s[12:13], s[8:9], vcc
	v_pk_mov_b32 v[0:1], 0, 0
	s_and_saveexec_b64 s[8:9], s[12:13]
	s_cbranch_execz .LBB94_71
; %bb.70:
	s_ashr_i32 s12, s21, 31
	s_mul_i32 s13, s21, s25
	s_mul_hi_u32 s17, s21, s24
	s_add_i32 s13, s17, s13
	s_mul_i32 s12, s12, s24
	s_add_i32 s13, s13, s12
	s_mul_i32 s12, s21, s24
	s_lshl_b64 s[12:13], s[12:13], 3
	v_mov_b32_e32 v1, s13
	v_add_co_u32_e32 v0, vcc, s12, v121
	v_addc_co_u32_e32 v1, vcc, v122, v1, vcc
	global_load_dwordx2 v[0:1], v[0:1], off
.LBB94_71:
	s_or_b64 exec, exec, s[8:9]
	s_waitcnt vmcnt(0)
	ds_write_b64 v130, v[0:1]
.LBB94_72:                              ; =>This Inner Loop Header: Depth=1
	s_or_b64 exec, exec, s[4:5]
	s_cmp_eq_u32 s16, 0
	v_add_co_u32_e32 v0, vcc, v30, v28
	s_cselect_b64 s[12:13], -1, 0
	s_cmp_lg_u32 s16, 0
	v_addc_co_u32_e32 v1, vcc, 0, v29, vcc
	s_cselect_b64 s[8:9], -1, 0
	s_and_b64 vcc, exec, s[8:9]
	s_waitcnt lgkmcnt(0)
	s_barrier
	s_cbranch_vccz .LBB94_120
; %bb.73:                               ;   in Loop: Header=BB94_72 Depth=1
	v_pk_mov_b32 v[64:65], 0, 0
	v_cmp_gt_i32_e32 vcc, s16, v129
	v_pk_mov_b32 v[62:63], v[64:65], v[64:65] op_sel:[0,1]
	s_and_saveexec_b64 s[4:5], vcc
	s_cbranch_execz .LBB94_75
; %bb.74:                               ;   in Loop: Header=BB94_72 Depth=1
	global_load_dwordx2 v[62:63], v[0:1], off
.LBB94_75:                              ;   in Loop: Header=BB94_72 Depth=1
	s_or_b64 exec, exec, s[4:5]
	v_cmp_gt_i32_e32 vcc, s16, v132
	s_and_saveexec_b64 s[4:5], vcc
	s_cbranch_execz .LBB94_77
; %bb.76:                               ;   in Loop: Header=BB94_72 Depth=1
	v_add_co_u32_e32 v2, vcc, v34, v28
	v_addc_co_u32_e32 v3, vcc, 0, v33, vcc
	global_load_dwordx2 v[64:65], v[2:3], off
.LBB94_77:                              ;   in Loop: Header=BB94_72 Depth=1
	s_or_b64 exec, exec, s[4:5]
	v_pk_mov_b32 v[68:69], 0, 0
	v_cmp_gt_i32_e32 vcc, s16, v133
	v_pk_mov_b32 v[66:67], v[68:69], v[68:69] op_sel:[0,1]
	s_and_saveexec_b64 s[4:5], vcc
	s_cbranch_execz .LBB94_79
; %bb.78:                               ;   in Loop: Header=BB94_72 Depth=1
	v_add_co_u32_e32 v2, vcc, v32, v28
	v_addc_co_u32_e32 v3, vcc, 0, v31, vcc
	global_load_dwordx2 v[66:67], v[2:3], off
.LBB94_79:                              ;   in Loop: Header=BB94_72 Depth=1
	s_or_b64 exec, exec, s[4:5]
	v_cmp_gt_i32_e32 vcc, s16, v134
	s_and_saveexec_b64 s[4:5], vcc
	s_cbranch_execz .LBB94_81
; %bb.80:                               ;   in Loop: Header=BB94_72 Depth=1
	v_add_co_u32_e32 v2, vcc, v36, v28
	v_addc_co_u32_e32 v3, vcc, 0, v35, vcc
	global_load_dwordx2 v[68:69], v[2:3], off
.LBB94_81:                              ;   in Loop: Header=BB94_72 Depth=1
	s_or_b64 exec, exec, s[4:5]
	s_branch .LBB94_83
.LBB94_82:                              ;   in Loop: Header=BB94_72 Depth=1
	global_load_dwordx2 v[62:63], v[0:1], off
	v_add_co_u32_e32 v0, vcc, v34, v28
	v_addc_co_u32_e32 v1, vcc, 0, v33, vcc
	global_load_dwordx2 v[64:65], v[0:1], off
	v_add_co_u32_e32 v0, vcc, v32, v28
	v_addc_co_u32_e32 v1, vcc, 0, v31, vcc
	global_load_dwordx2 v[66:67], v[0:1], off
	v_add_co_u32_e32 v0, vcc, v36, v28
	v_addc_co_u32_e32 v1, vcc, 0, v35, vcc
	global_load_dwordx2 v[68:69], v[0:1], off
.LBB94_83:                              ;   in Loop: Header=BB94_72 Depth=1
	ds_read_b64 v[0:1], v131
	ds_read_b64 v[70:71], v127
	v_cndmask_b32_e64 v8, 0, 1, s[8:9]
	v_cmp_ne_u32_e64 s[4:5], 1, v8
	s_andn2_b64 vcc, exec, s[8:9]
	s_waitcnt vmcnt(0) lgkmcnt(1)
	v_mul_f64 v[2:3], v[62:63], v[0:1]
	v_mul_f64 v[4:5], v[64:65], v[0:1]
	ds_write_b64 v135, v[2:3]
	v_mul_f64 v[6:7], v[66:67], v[0:1]
	ds_read_b64 v[72:73], v127 offset:8
	ds_write_b64 v135, v[4:5] offset:536
	ds_read_b64 v[74:75], v127 offset:16
	ds_write_b64 v135, v[6:7] offset:1072
	v_mul_f64 v[0:1], v[68:69], v[0:1]
	ds_read_b64 v[76:77], v127 offset:24
	ds_write_b64 v135, v[0:1] offset:1608
	s_waitcnt lgkmcnt(0)
	s_barrier
	ds_read2_b64 v[4:7], v125 offset1:1
	ds_read2_b64 v[0:3], v125 offset0:2 offset1:3
	v_add_co_u32_e64 v8, s[8:9], v38, v28
	v_addc_co_u32_e64 v9, s[8:9], 0, v37, s[8:9]
	s_waitcnt lgkmcnt(0)
	s_barrier
	s_cbranch_vccnz .LBB94_121
; %bb.84:                               ;   in Loop: Header=BB94_72 Depth=1
	v_pk_mov_b32 v[80:81], 0, 0
	v_cmp_gt_i32_e32 vcc, s16, v136
	v_pk_mov_b32 v[78:79], v[80:81], v[80:81] op_sel:[0,1]
	s_and_saveexec_b64 s[8:9], vcc
	s_cbranch_execz .LBB94_86
; %bb.85:                               ;   in Loop: Header=BB94_72 Depth=1
	global_load_dwordx2 v[78:79], v[8:9], off
.LBB94_86:                              ;   in Loop: Header=BB94_72 Depth=1
	s_or_b64 exec, exec, s[8:9]
	v_cmp_gt_i32_e32 vcc, s16, v137
	s_and_saveexec_b64 s[8:9], vcc
	s_cbranch_execz .LBB94_88
; %bb.87:                               ;   in Loop: Header=BB94_72 Depth=1
	v_add_co_u32_e32 v10, vcc, v40, v28
	v_addc_co_u32_e32 v11, vcc, 0, v39, vcc
	global_load_dwordx2 v[80:81], v[10:11], off
.LBB94_88:                              ;   in Loop: Header=BB94_72 Depth=1
	s_or_b64 exec, exec, s[8:9]
	v_pk_mov_b32 v[84:85], 0, 0
	v_cmp_gt_i32_e32 vcc, s16, v138
	v_pk_mov_b32 v[82:83], v[84:85], v[84:85] op_sel:[0,1]
	s_and_saveexec_b64 s[8:9], vcc
	s_cbranch_execz .LBB94_90
; %bb.89:                               ;   in Loop: Header=BB94_72 Depth=1
	v_add_co_u32_e32 v10, vcc, v42, v28
	v_addc_co_u32_e32 v11, vcc, 0, v41, vcc
	global_load_dwordx2 v[82:83], v[10:11], off
.LBB94_90:                              ;   in Loop: Header=BB94_72 Depth=1
	s_or_b64 exec, exec, s[8:9]
	v_cmp_gt_i32_e32 vcc, s16, v139
	s_and_saveexec_b64 s[8:9], vcc
	s_cbranch_execz .LBB94_92
; %bb.91:                               ;   in Loop: Header=BB94_72 Depth=1
	v_add_co_u32_e32 v10, vcc, v44, v28
	v_addc_co_u32_e32 v11, vcc, 0, v43, vcc
	global_load_dwordx2 v[84:85], v[10:11], off
.LBB94_92:                              ;   in Loop: Header=BB94_72 Depth=1
	s_or_b64 exec, exec, s[8:9]
	s_branch .LBB94_94
.LBB94_93:                              ;   in Loop: Header=BB94_72 Depth=1
	global_load_dwordx2 v[78:79], v[8:9], off
	v_add_co_u32_e32 v8, vcc, v40, v28
	v_addc_co_u32_e32 v9, vcc, 0, v39, vcc
	global_load_dwordx2 v[80:81], v[8:9], off
	v_add_co_u32_e32 v8, vcc, v42, v28
	v_addc_co_u32_e32 v9, vcc, 0, v41, vcc
	;; [unrolled: 3-line block ×3, first 2 shown]
	global_load_dwordx2 v[84:85], v[8:9], off
.LBB94_94:                              ;   in Loop: Header=BB94_72 Depth=1
	ds_read_b64 v[8:9], v131
	ds_read_b64 v[86:87], v127 offset:128
	v_add_co_u32_e64 v16, s[8:9], v46, v28
	s_and_b64 vcc, exec, s[4:5]
	s_waitcnt vmcnt(0) lgkmcnt(1)
	v_mul_f64 v[10:11], v[78:79], v[8:9]
	v_mul_f64 v[12:13], v[80:81], v[8:9]
	ds_write_b64 v135, v[10:11]
	v_mul_f64 v[14:15], v[82:83], v[8:9]
	ds_read_b64 v[88:89], v127 offset:136
	ds_write_b64 v135, v[12:13] offset:536
	ds_read_b64 v[90:91], v127 offset:144
	ds_write_b64 v135, v[14:15] offset:1072
	v_mul_f64 v[8:9], v[84:85], v[8:9]
	ds_read_b64 v[92:93], v127 offset:152
	ds_write_b64 v135, v[8:9] offset:1608
	s_waitcnt lgkmcnt(0)
	s_barrier
	ds_read2_b64 v[12:15], v125 offset1:1
	ds_read2_b64 v[8:11], v125 offset0:2 offset1:3
	v_addc_co_u32_e64 v17, s[8:9], 0, v45, s[8:9]
	s_waitcnt lgkmcnt(0)
	s_barrier
	s_cbranch_vccnz .LBB94_122
; %bb.95:                               ;   in Loop: Header=BB94_72 Depth=1
	v_pk_mov_b32 v[96:97], 0, 0
	v_cmp_gt_i32_e32 vcc, s16, v140
	v_pk_mov_b32 v[94:95], v[96:97], v[96:97] op_sel:[0,1]
	s_and_saveexec_b64 s[8:9], vcc
	s_cbranch_execz .LBB94_97
; %bb.96:                               ;   in Loop: Header=BB94_72 Depth=1
	global_load_dwordx2 v[94:95], v[16:17], off
.LBB94_97:                              ;   in Loop: Header=BB94_72 Depth=1
	s_or_b64 exec, exec, s[8:9]
	v_cmp_gt_i32_e32 vcc, s16, v141
	s_and_saveexec_b64 s[8:9], vcc
	s_cbranch_execz .LBB94_99
; %bb.98:                               ;   in Loop: Header=BB94_72 Depth=1
	v_add_co_u32_e32 v18, vcc, v48, v28
	v_addc_co_u32_e32 v19, vcc, 0, v47, vcc
	global_load_dwordx2 v[96:97], v[18:19], off
.LBB94_99:                              ;   in Loop: Header=BB94_72 Depth=1
	s_or_b64 exec, exec, s[8:9]
	v_pk_mov_b32 v[100:101], 0, 0
	v_cmp_gt_i32_e32 vcc, s16, v142
	v_pk_mov_b32 v[98:99], v[100:101], v[100:101] op_sel:[0,1]
	s_and_saveexec_b64 s[8:9], vcc
	s_cbranch_execz .LBB94_101
; %bb.100:                              ;   in Loop: Header=BB94_72 Depth=1
	v_add_co_u32_e32 v18, vcc, v50, v28
	v_addc_co_u32_e32 v19, vcc, 0, v49, vcc
	global_load_dwordx2 v[98:99], v[18:19], off
.LBB94_101:                             ;   in Loop: Header=BB94_72 Depth=1
	s_or_b64 exec, exec, s[8:9]
	v_cmp_gt_i32_e32 vcc, s16, v143
	s_and_saveexec_b64 s[8:9], vcc
	s_cbranch_execz .LBB94_103
; %bb.102:                              ;   in Loop: Header=BB94_72 Depth=1
	v_add_co_u32_e32 v18, vcc, v52, v28
	v_addc_co_u32_e32 v19, vcc, 0, v51, vcc
	global_load_dwordx2 v[100:101], v[18:19], off
.LBB94_103:                             ;   in Loop: Header=BB94_72 Depth=1
	s_or_b64 exec, exec, s[8:9]
	s_branch .LBB94_105
.LBB94_104:                             ;   in Loop: Header=BB94_72 Depth=1
	global_load_dwordx2 v[94:95], v[16:17], off
	v_add_co_u32_e32 v16, vcc, v48, v28
	v_addc_co_u32_e32 v17, vcc, 0, v47, vcc
	global_load_dwordx2 v[96:97], v[16:17], off
	v_add_co_u32_e32 v16, vcc, v50, v28
	v_addc_co_u32_e32 v17, vcc, 0, v49, vcc
	;; [unrolled: 3-line block ×3, first 2 shown]
	global_load_dwordx2 v[100:101], v[16:17], off
.LBB94_105:                             ;   in Loop: Header=BB94_72 Depth=1
	ds_read_b64 v[16:17], v131
	ds_read_b64 v[102:103], v127 offset:256
	s_and_b64 vcc, exec, s[4:5]
	v_add_co_u32_e64 v118, s[4:5], v54, v28
	s_waitcnt vmcnt(0) lgkmcnt(1)
	v_mul_f64 v[18:19], v[94:95], v[16:17]
	v_mul_f64 v[20:21], v[96:97], v[16:17]
	ds_write_b64 v135, v[18:19]
	v_mul_f64 v[22:23], v[98:99], v[16:17]
	ds_read_b64 v[104:105], v127 offset:264
	ds_write_b64 v135, v[20:21] offset:536
	ds_read_b64 v[106:107], v127 offset:272
	ds_write_b64 v135, v[22:23] offset:1072
	v_mul_f64 v[16:17], v[100:101], v[16:17]
	ds_read_b64 v[108:109], v127 offset:280
	ds_write_b64 v135, v[16:17] offset:1608
	s_waitcnt lgkmcnt(0)
	s_barrier
	ds_read2_b64 v[20:23], v125 offset1:1
	ds_read2_b64 v[16:19], v125 offset0:2 offset1:3
	v_addc_co_u32_e64 v119, s[4:5], 0, v53, s[4:5]
	s_waitcnt lgkmcnt(0)
	s_barrier
	s_cbranch_vccnz .LBB94_123
; %bb.106:                              ;   in Loop: Header=BB94_72 Depth=1
	v_pk_mov_b32 v[112:113], 0, 0
	v_cmp_gt_i32_e32 vcc, s16, v144
	v_pk_mov_b32 v[110:111], v[112:113], v[112:113] op_sel:[0,1]
	s_and_saveexec_b64 s[4:5], vcc
	s_cbranch_execz .LBB94_108
; %bb.107:                              ;   in Loop: Header=BB94_72 Depth=1
	global_load_dwordx2 v[110:111], v[118:119], off
.LBB94_108:                             ;   in Loop: Header=BB94_72 Depth=1
	s_or_b64 exec, exec, s[4:5]
	v_cmp_gt_i32_e32 vcc, s16, v145
	s_and_saveexec_b64 s[4:5], vcc
	s_cbranch_execz .LBB94_110
; %bb.109:                              ;   in Loop: Header=BB94_72 Depth=1
	v_add_co_u32_e32 v112, vcc, v56, v28
	v_addc_co_u32_e32 v113, vcc, 0, v55, vcc
	global_load_dwordx2 v[112:113], v[112:113], off
.LBB94_110:                             ;   in Loop: Header=BB94_72 Depth=1
	s_or_b64 exec, exec, s[4:5]
	v_pk_mov_b32 v[116:117], 0, 0
	v_cmp_gt_i32_e32 vcc, s16, v146
	v_pk_mov_b32 v[114:115], v[116:117], v[116:117] op_sel:[0,1]
	s_and_saveexec_b64 s[4:5], vcc
	s_cbranch_execz .LBB94_112
; %bb.111:                              ;   in Loop: Header=BB94_72 Depth=1
	v_add_co_u32_e32 v114, vcc, v58, v28
	v_addc_co_u32_e32 v115, vcc, 0, v57, vcc
	global_load_dwordx2 v[114:115], v[114:115], off
.LBB94_112:                             ;   in Loop: Header=BB94_72 Depth=1
	s_or_b64 exec, exec, s[4:5]
	v_cmp_gt_i32_e32 vcc, s16, v147
	s_and_saveexec_b64 s[4:5], vcc
	s_cbranch_execz .LBB94_114
; %bb.113:                              ;   in Loop: Header=BB94_72 Depth=1
	v_add_co_u32_e32 v116, vcc, v60, v28
	v_addc_co_u32_e32 v117, vcc, 0, v59, vcc
	global_load_dwordx2 v[116:117], v[116:117], off
.LBB94_114:                             ;   in Loop: Header=BB94_72 Depth=1
	s_or_b64 exec, exec, s[4:5]
	s_branch .LBB94_116
.LBB94_115:                             ;   in Loop: Header=BB94_72 Depth=1
	s_waitcnt vmcnt(0)
	v_add_co_u32_e32 v112, vcc, v56, v28
	v_addc_co_u32_e32 v113, vcc, 0, v55, vcc
	v_add_co_u32_e32 v114, vcc, v58, v28
	v_addc_co_u32_e32 v115, vcc, 0, v57, vcc
	v_add_co_u32_e32 v116, vcc, v60, v28
	v_addc_co_u32_e32 v117, vcc, 0, v59, vcc
	global_load_dwordx2 v[110:111], v[118:119], off
	s_nop 0
	global_load_dwordx2 v[112:113], v[112:113], off
	s_nop 0
	;; [unrolled: 2-line block ×3, first 2 shown]
	global_load_dwordx2 v[116:117], v[116:117], off
.LBB94_116:                             ;   in Loop: Header=BB94_72 Depth=1
	v_add_f64 v[12:13], v[12:13], 0
	v_add_f64 v[12:13], v[12:13], v[14:15]
	ds_read_b64 v[14:15], v131
	v_add_f64 v[20:21], v[20:21], 0
	v_add_f64 v[20:21], v[20:21], v[22:23]
	;; [unrolled: 1-line block ×7, first 2 shown]
	ds_read_b64 v[4:5], v127 offset:384
	s_waitcnt vmcnt(0) lgkmcnt(1)
	v_mul_f64 v[8:9], v[110:111], v[14:15]
	ds_write_b64 v135, v[8:9]
	v_mul_f64 v[10:11], v[112:113], v[14:15]
	ds_read_b64 v[8:9], v127 offset:392
	ds_write_b64 v135, v[10:11] offset:536
	v_mul_f64 v[12:13], v[114:115], v[14:15]
	ds_read_b64 v[10:11], v127 offset:400
	ds_write_b64 v135, v[12:13] offset:1072
	;; [unrolled: 3-line block ×3, first 2 shown]
	s_waitcnt lgkmcnt(0)
	s_barrier
	ds_read2_b64 v[14:17], v125 offset1:1
	v_add_f64 v[6:7], v[18:19], v[6:7]
	ds_read2_b64 v[18:21], v125 offset0:2 offset1:3
	v_add_f64 v[0:1], v[6:7], v[0:1]
	v_add_f64 v[0:1], v[0:1], v[2:3]
	s_waitcnt lgkmcnt(1)
	v_add_f64 v[2:3], v[14:15], 0
	v_cmp_gt_i32_e32 vcc, s16, v61
	v_add_f64 v[2:3], v[2:3], v[16:17]
	s_or_b64 s[4:5], s[12:13], vcc
	s_waitcnt lgkmcnt(0)
	v_add_f64 v[2:3], v[2:3], v[18:19]
	s_and_b64 s[8:9], s[2:3], s[4:5]
	v_add_f64 v[2:3], v[2:3], v[20:21]
	s_barrier
	ds_write2_b64 v128, v[0:1], v[118:119] offset1:16
	ds_write2_b64 v128, v[22:23], v[2:3] offset0:32 offset1:48
	s_waitcnt lgkmcnt(0)
	s_barrier
	s_and_saveexec_b64 s[4:5], s[8:9]
	s_cbranch_execz .LBB94_118
; %bb.117:                              ;   in Loop: Header=BB94_72 Depth=1
	ds_read2_b64 v[0:3], v123 offset1:1
	ds_read2_b64 v[14:17], v123 offset0:2 offset1:3
	ds_read2_b64 v[18:21], v123 offset0:4 offset1:5
	;; [unrolled: 1-line block ×3, first 2 shown]
	s_waitcnt lgkmcnt(3)
	v_add_f64 v[0:1], v[0:1], v[2:3]
	s_waitcnt lgkmcnt(2)
	v_add_f64 v[0:1], v[0:1], v[14:15]
	v_add_f64 v[0:1], v[0:1], v[16:17]
	s_waitcnt lgkmcnt(1)
	v_add_f64 v[6:7], v[0:1], v[18:19]
	ds_read2_b64 v[0:3], v123 offset0:8 offset1:9
	ds_read2_b64 v[14:17], v123 offset0:10 offset1:11
	v_add_f64 v[6:7], v[6:7], v[20:21]
	s_waitcnt lgkmcnt(2)
	v_add_f64 v[6:7], v[6:7], v[148:149]
	v_add_f64 v[6:7], v[6:7], v[150:151]
	s_waitcnt lgkmcnt(1)
	v_add_f64 v[0:1], v[6:7], v[0:1]
	v_add_f64 v[6:7], v[0:1], v[2:3]
	ds_read2_b64 v[0:3], v123 offset0:12 offset1:13
	s_waitcnt lgkmcnt(1)
	v_add_f64 v[6:7], v[6:7], v[14:15]
	v_add_f64 v[6:7], v[6:7], v[16:17]
	ds_read_b64 v[14:15], v123 offset:112
	ds_read_b64 v[18:19], v124
	s_waitcnt lgkmcnt(2)
	v_add_f64 v[0:1], v[6:7], v[0:1]
	v_add_f64 v[0:1], v[0:1], v[2:3]
	v_add_u32_e32 v2, s21, v126
	v_ashrrev_i32_e32 v3, 31, v2
	v_lshlrev_b64 v[2:3], 3, v[2:3]
	s_waitcnt lgkmcnt(1)
	v_add_f64 v[0:1], v[0:1], v[14:15]
	v_mov_b32_e32 v6, s14
	v_add_co_u32_e32 v2, vcc, s7, v2
	s_waitcnt lgkmcnt(0)
	v_add_f64 v[0:1], v[0:1], v[18:19]
	v_addc_co_u32_e32 v3, vcc, v6, v3, vcc
	global_store_dwordx2 v[2:3], v[0:1], off
.LBB94_118:                             ;   in Loop: Header=BB94_72 Depth=1
	s_or_b64 exec, exec, s[4:5]
	v_mov_b32_e32 v0, s11
	v_add_co_u32_e32 v30, vcc, s10, v30
	v_addc_co_u32_e32 v29, vcc, v29, v0, vcc
	v_add_co_u32_e32 v32, vcc, s10, v32
	v_addc_co_u32_e32 v31, vcc, v31, v0, vcc
	;; [unrolled: 2-line block ×8, first 2 shown]
	v_fmac_f64_e32 v[26:27], v[62:63], v[70:71]
	v_add_co_u32_e32 v46, vcc, s10, v46
	v_fmac_f64_e32 v[26:27], v[64:65], v[72:73]
	v_addc_co_u32_e32 v45, vcc, v45, v0, vcc
	v_fmac_f64_e32 v[26:27], v[66:67], v[74:75]
	v_add_co_u32_e32 v48, vcc, s10, v48
	v_fmac_f64_e32 v[26:27], v[68:69], v[76:77]
	v_addc_co_u32_e32 v47, vcc, v47, v0, vcc
	;; [unrolled: 4-line block ×7, first 2 shown]
	v_fmac_f64_e32 v[26:27], v[114:115], v[10:11]
	s_add_i32 s4, s6, 1
	s_add_i32 s21, s21, 64
	;; [unrolled: 1-line block ×3, first 2 shown]
	v_add_co_u32_e32 v60, vcc, s10, v60
	v_fmac_f64_e32 v[26:27], v[116:117], v[12:13]
	s_cmp_ge_u32 s5, s33
	v_addc_co_u32_e32 v59, vcc, v59, v0, vcc
	s_barrier
	s_cbranch_scc1 .LBB94_124
; %bb.119:                              ;   in Loop: Header=BB94_72 Depth=1
	s_mov_b32 s6, s4
	s_cmp_eq_u32 s15, s6
	s_cselect_b32 s16, s36, 0
	s_and_saveexec_b64 s[4:5], s[0:1]
	s_cbranch_execnz .LBB94_69
	s_branch .LBB94_72
.LBB94_120:                             ;   in Loop: Header=BB94_72 Depth=1
                                        ; implicit-def: $vgpr68_vgpr69
                                        ; implicit-def: $vgpr66_vgpr67
                                        ; implicit-def: $vgpr64_vgpr65
                                        ; implicit-def: $vgpr62_vgpr63
	s_cbranch_execnz .LBB94_82
	s_branch .LBB94_83
.LBB94_121:                             ;   in Loop: Header=BB94_72 Depth=1
                                        ; implicit-def: $vgpr84_vgpr85
                                        ; implicit-def: $vgpr82_vgpr83
                                        ; implicit-def: $vgpr80_vgpr81
                                        ; implicit-def: $vgpr78_vgpr79
	s_cbranch_execnz .LBB94_93
	s_branch .LBB94_94
.LBB94_122:                             ;   in Loop: Header=BB94_72 Depth=1
                                        ; implicit-def: $vgpr100_vgpr101
                                        ; implicit-def: $vgpr98_vgpr99
                                        ; implicit-def: $vgpr96_vgpr97
                                        ; implicit-def: $vgpr94_vgpr95
	s_cbranch_execnz .LBB94_104
	s_branch .LBB94_105
.LBB94_123:                             ;   in Loop: Header=BB94_72 Depth=1
                                        ; implicit-def: $vgpr116_vgpr117
                                        ; implicit-def: $vgpr114_vgpr115
                                        ; implicit-def: $vgpr112_vgpr113
                                        ; implicit-def: $vgpr110_vgpr111
	s_cbranch_execnz .LBB94_115
	s_branch .LBB94_116
.LBB94_124:
	s_movk_i32 s2, 0x218
	v_cmp_gt_i32_e32 vcc, s20, v61
	v_mad_u32_u24 v0, v120, s2, v28
	s_or_b64 s[2:3], s[18:19], vcc
	s_and_b64 s[0:1], s[0:1], s[2:3]
	ds_write_b64 v0, v[26:27]
	s_waitcnt lgkmcnt(0)
	s_barrier
	s_and_saveexec_b64 s[2:3], s[0:1]
	s_cbranch_execz .LBB94_126
; %bb.125:
	ds_read2_b64 v[0:3], v28 offset1:67
	ds_read2_b64 v[4:7], v28 offset0:134 offset1:201
	v_lshlrev_b64 v[8:9], 3, v[24:25]
	v_mov_b32_e32 v10, s14
	s_waitcnt lgkmcnt(1)
	v_add_f64 v[0:1], v[0:1], v[2:3]
	s_waitcnt lgkmcnt(0)
	v_add_f64 v[0:1], v[0:1], v[4:5]
	v_add_co_u32_e32 v2, vcc, s7, v8
	v_add_f64 v[0:1], v[0:1], v[6:7]
	v_addc_co_u32_e32 v3, vcc, v10, v9, vcc
	global_store_dwordx2 v[2:3], v[0:1], off
.LBB94_126:
	s_endpgm
	.section	.rodata,"a",@progbits
	.p2align	6, 0x0
	.amdhsa_kernel _ZL26rocblas_hemvn_kernel_upperILb0ELi64ELi4ELi33ELi32ELi16ElPKdS1_PdEviT6_lT7_lT5_lS4_lS5_lS3_lT8_i
		.amdhsa_group_segment_fixed_size 9600
		.amdhsa_private_segment_fixed_size 0
		.amdhsa_kernarg_size 376
		.amdhsa_user_sgpr_count 6
		.amdhsa_user_sgpr_private_segment_buffer 1
		.amdhsa_user_sgpr_dispatch_ptr 0
		.amdhsa_user_sgpr_queue_ptr 0
		.amdhsa_user_sgpr_kernarg_segment_ptr 1
		.amdhsa_user_sgpr_dispatch_id 0
		.amdhsa_user_sgpr_flat_scratch_init 0
		.amdhsa_user_sgpr_kernarg_preload_length 0
		.amdhsa_user_sgpr_kernarg_preload_offset 0
		.amdhsa_user_sgpr_private_segment_size 0
		.amdhsa_uses_dynamic_stack 0
		.amdhsa_system_sgpr_private_segment_wavefront_offset 0
		.amdhsa_system_sgpr_workgroup_id_x 1
		.amdhsa_system_sgpr_workgroup_id_y 0
		.amdhsa_system_sgpr_workgroup_id_z 1
		.amdhsa_system_sgpr_workgroup_info 0
		.amdhsa_system_vgpr_workitem_id 1
		.amdhsa_next_free_vgpr 152
		.amdhsa_next_free_sgpr 42
		.amdhsa_accum_offset 152
		.amdhsa_reserve_vcc 1
		.amdhsa_reserve_flat_scratch 0
		.amdhsa_float_round_mode_32 0
		.amdhsa_float_round_mode_16_64 0
		.amdhsa_float_denorm_mode_32 3
		.amdhsa_float_denorm_mode_16_64 3
		.amdhsa_dx10_clamp 1
		.amdhsa_ieee_mode 1
		.amdhsa_fp16_overflow 0
		.amdhsa_tg_split 0
		.amdhsa_exception_fp_ieee_invalid_op 0
		.amdhsa_exception_fp_denorm_src 0
		.amdhsa_exception_fp_ieee_div_zero 0
		.amdhsa_exception_fp_ieee_overflow 0
		.amdhsa_exception_fp_ieee_underflow 0
		.amdhsa_exception_fp_ieee_inexact 0
		.amdhsa_exception_int_div_zero 0
	.end_amdhsa_kernel
	.section	.text._ZL26rocblas_hemvn_kernel_upperILb0ELi64ELi4ELi33ELi32ELi16ElPKdS1_PdEviT6_lT7_lT5_lS4_lS5_lS3_lT8_i,"axG",@progbits,_ZL26rocblas_hemvn_kernel_upperILb0ELi64ELi4ELi33ELi32ELi16ElPKdS1_PdEviT6_lT7_lT5_lS4_lS5_lS3_lT8_i,comdat
.Lfunc_end94:
	.size	_ZL26rocblas_hemvn_kernel_upperILb0ELi64ELi4ELi33ELi32ELi16ElPKdS1_PdEviT6_lT7_lT5_lS4_lS5_lS3_lT8_i, .Lfunc_end94-_ZL26rocblas_hemvn_kernel_upperILb0ELi64ELi4ELi33ELi32ELi16ElPKdS1_PdEviT6_lT7_lT5_lS4_lS5_lS3_lT8_i
                                        ; -- End function
	.section	.AMDGPU.csdata,"",@progbits
; Kernel info:
; codeLenInByte = 7336
; NumSgprs: 46
; NumVgprs: 152
; NumAgprs: 0
; TotalNumVgprs: 152
; ScratchSize: 0
; MemoryBound: 0
; FloatMode: 240
; IeeeMode: 1
; LDSByteSize: 9600 bytes/workgroup (compile time only)
; SGPRBlocks: 5
; VGPRBlocks: 18
; NumSGPRsForWavesPerEU: 46
; NumVGPRsForWavesPerEU: 152
; AccumOffset: 152
; Occupancy: 3
; WaveLimiterHint : 0
; COMPUTE_PGM_RSRC2:SCRATCH_EN: 0
; COMPUTE_PGM_RSRC2:USER_SGPR: 6
; COMPUTE_PGM_RSRC2:TRAP_HANDLER: 0
; COMPUTE_PGM_RSRC2:TGID_X_EN: 1
; COMPUTE_PGM_RSRC2:TGID_Y_EN: 0
; COMPUTE_PGM_RSRC2:TGID_Z_EN: 1
; COMPUTE_PGM_RSRC2:TIDIG_COMP_CNT: 1
; COMPUTE_PGM_RSRC3_GFX90A:ACCUM_OFFSET: 37
; COMPUTE_PGM_RSRC3_GFX90A:TG_SPLIT: 0
	.section	.text._ZL36rocblas_hemvn_kernel_upper_block_sumILi64ElPKdPddEviT1_lS3_lT2_lT0_lPT3_i,"axG",@progbits,_ZL36rocblas_hemvn_kernel_upper_block_sumILi64ElPKdPddEviT1_lS3_lT2_lT0_lPT3_i,comdat
	.globl	_ZL36rocblas_hemvn_kernel_upper_block_sumILi64ElPKdPddEviT1_lS3_lT2_lT0_lPT3_i ; -- Begin function _ZL36rocblas_hemvn_kernel_upper_block_sumILi64ElPKdPddEviT1_lS3_lT2_lT0_lPT3_i
	.p2align	8
	.type	_ZL36rocblas_hemvn_kernel_upper_block_sumILi64ElPKdPddEviT1_lS3_lT2_lT0_lPT3_i,@function
_ZL36rocblas_hemvn_kernel_upper_block_sumILi64ElPKdPddEviT1_lS3_lT2_lT0_lPT3_i: ; @_ZL36rocblas_hemvn_kernel_upper_block_sumILi64ElPKdPddEviT1_lS3_lT2_lT0_lPT3_i
; %bb.0:
	s_load_dwordx8 s[8:15], s[4:5], 0x8
	s_waitcnt lgkmcnt(0)
	s_mul_i32 s0, s7, s11
	s_mul_hi_u32 s1, s7, s10
	s_add_i32 s1, s1, s0
	s_mul_i32 s0, s7, s10
	s_lshl_b64 s[0:1], s[0:1], 3
	s_add_u32 s0, s8, s0
	s_addc_u32 s1, s9, s1
	s_load_dwordx2 s[2:3], s[0:1], 0x0
	s_mul_i32 s0, s7, s15
	s_mul_hi_u32 s1, s7, s14
	s_add_i32 s1, s1, s0
	s_mul_i32 s0, s7, s14
	s_lshl_b64 s[0:1], s[0:1], 3
	s_add_u32 s0, s12, s0
	s_addc_u32 s1, s13, s1
	s_load_dwordx2 s[16:17], s[0:1], 0x0
	s_waitcnt lgkmcnt(0)
	v_cmp_eq_f64_e64 s[0:1], s[2:3], 0
	v_cmp_eq_f64_e64 s[8:9], s[16:17], 1.0
	s_and_b64 s[0:1], s[0:1], s[8:9]
	s_and_b64 vcc, exec, s[0:1]
	s_cbranch_vccnz .LBB95_19
; %bb.1:
	s_load_dwordx8 s[8:15], s[4:5], 0x30
	s_load_dwordx2 s[0:1], s[4:5], 0x28
	s_load_dword s18, s[4:5], 0x0
	v_lshl_or_b32 v0, s6, 6, v0
	s_waitcnt lgkmcnt(0)
	s_mul_i32 s13, s7, s13
	s_mul_hi_u32 s19, s7, s12
	s_mul_i32 s12, s7, s12
	s_add_i32 s13, s19, s13
	s_lshl_b64 s[12:13], s[12:13], 3
	s_add_u32 s12, s0, s12
	s_addc_u32 s13, s1, s13
	s_lshl_b64 s[0:1], s[8:9], 3
	s_add_u32 s22, s12, s0
	s_addc_u32 s23, s13, s1
	v_cmp_neq_f64_e64 s[0:1], s[2:3], 0
	s_mov_b64 s[8:9], 0
	s_and_b64 vcc, exec, s[0:1]
	v_cmp_gt_i32_e64 s[0:1], s18, v0
	s_cbranch_vccnz .LBB95_6
; %bb.2:
	s_mov_b64 s[12:13], 0
                                        ; implicit-def: $vgpr4_vgpr5
                                        ; implicit-def: $vgpr2_vgpr3
	s_and_saveexec_b64 s[20:21], s[0:1]
	s_cbranch_execz .LBB95_7
; %bb.3:
	v_ashrrev_i32_e32 v1, 31, v0
	v_cmp_eq_f64_e64 s[0:1], s[16:17], 0
	v_mul_lo_u32 v6, v0, s11
	v_mul_lo_u32 v1, v1, s10
	v_mad_u64_u32 v[2:3], s[8:9], v0, s10, 0
	v_pk_mov_b32 v[4:5], 0, 0
	v_add3_u32 v3, v3, v6, v1
	s_and_b64 vcc, exec, s[0:1]
	s_cbranch_vccnz .LBB95_5
; %bb.4:
	v_lshlrev_b64 v[4:5], 3, v[2:3]
	v_mov_b32_e32 v1, s23
	v_add_co_u32_e32 v4, vcc, s22, v4
	v_addc_co_u32_e32 v5, vcc, v1, v5, vcc
	global_load_dwordx2 v[4:5], v[4:5], off
	s_waitcnt vmcnt(0)
	v_mul_f64 v[4:5], s[16:17], v[4:5]
.LBB95_5:
	s_mov_b64 s[8:9], exec
	s_or_b64 exec, exec, s[20:21]
	s_and_b64 vcc, exec, s[12:13]
	s_cbranch_vccnz .LBB95_8
	s_branch .LBB95_17
.LBB95_6:
                                        ; implicit-def: $vgpr4_vgpr5
                                        ; implicit-def: $vgpr2_vgpr3
	s_cbranch_execnz .LBB95_8
	s_branch .LBB95_17
.LBB95_7:
	s_or_b64 exec, exec, s[20:21]
	s_and_b64 vcc, exec, s[12:13]
	s_cbranch_vccz .LBB95_17
.LBB95_8:
	v_cmp_gt_i32_e32 vcc, s18, v0
                                        ; implicit-def: $vgpr4_vgpr5
                                        ; implicit-def: $vgpr2_vgpr3
	s_and_saveexec_b64 s[0:1], vcc
	s_cbranch_execz .LBB95_16
; %bb.9:
	v_ashrrev_i32_e32 v1, 31, v0
	s_cmp_lt_i32 s6, 0
	v_pk_mov_b32 v[6:7], 0, 0
	s_cbranch_scc1 .LBB95_12
; %bb.10:
	s_load_dword s4, s[4:5], 0x58
	s_ashr_i32 s19, s18, 31
	s_mul_hi_u32 s5, s18, s7
	s_mul_i32 s12, s19, s7
	s_add_i32 s5, s5, s12
	s_mul_i32 s7, s18, s7
	s_waitcnt lgkmcnt(0)
	s_mul_i32 s5, s5, s4
	s_mul_hi_u32 s12, s7, s4
	s_add_i32 s5, s12, s5
	s_mul_i32 s4, s7, s4
	s_lshl_b64 s[4:5], s[4:5], 3
	s_add_u32 s4, s14, s4
	s_addc_u32 s5, s15, s5
	v_lshlrev_b64 v[2:3], 3, v[0:1]
	v_mov_b32_e32 v4, s5
	v_add_co_u32_e32 v2, vcc, s4, v2
	s_lshl_b64 s[4:5], s[18:19], 3
	v_addc_co_u32_e32 v3, vcc, v4, v3, vcc
	s_add_i32 s6, s6, 1
	v_pk_mov_b32 v[6:7], 0, 0
	v_mov_b32_e32 v4, s5
.LBB95_11:                              ; =>This Inner Loop Header: Depth=1
	global_load_dwordx2 v[8:9], v[2:3], off
	s_add_i32 s6, s6, -1
	v_add_co_u32_e32 v2, vcc, s4, v2
	v_addc_co_u32_e32 v3, vcc, v3, v4, vcc
	s_cmp_eq_u32 s6, 0
	s_waitcnt vmcnt(0)
	v_add_f64 v[6:7], v[6:7], v[8:9]
	s_cbranch_scc0 .LBB95_11
.LBB95_12:
	v_cmp_eq_f64_e64 s[6:7], s[16:17], 0
	s_mov_b64 s[4:5], 0
	s_and_b64 vcc, exec, s[6:7]
	v_mul_lo_u32 v1, v1, s10
	v_mul_lo_u32 v8, v0, s11
	s_cbranch_vccz .LBB95_20
; %bb.13:
	v_mad_u64_u32 v[2:3], s[6:7], v0, s10, 0
	v_mul_f64 v[4:5], s[2:3], v[6:7]
	v_add3_u32 v3, v3, v8, v1
	s_andn2_b64 vcc, exec, s[4:5]
	s_cbranch_vccnz .LBB95_15
.LBB95_14:
	v_mad_u64_u32 v[2:3], s[4:5], v0, s10, 0
	v_add3_u32 v3, v3, v8, v1
	v_lshlrev_b64 v[0:1], 3, v[2:3]
	v_mov_b32_e32 v4, s23
	v_add_co_u32_e32 v0, vcc, s22, v0
	v_addc_co_u32_e32 v1, vcc, v4, v1, vcc
	global_load_dwordx2 v[0:1], v[0:1], off
	s_waitcnt vmcnt(0)
	v_mul_f64 v[4:5], s[16:17], v[0:1]
	v_fmac_f64_e32 v[4:5], s[2:3], v[6:7]
.LBB95_15:
	s_or_b64 s[8:9], s[8:9], exec
.LBB95_16:
	s_or_b64 exec, exec, s[0:1]
.LBB95_17:
	s_and_saveexec_b64 s[0:1], s[8:9]
	s_cbranch_execz .LBB95_19
; %bb.18:
	v_lshlrev_b64 v[0:1], 3, v[2:3]
	v_mov_b32_e32 v2, s23
	v_add_co_u32_e32 v0, vcc, s22, v0
	v_addc_co_u32_e32 v1, vcc, v2, v1, vcc
	global_store_dwordx2 v[0:1], v[4:5], off
.LBB95_19:
	s_endpgm
.LBB95_20:
                                        ; implicit-def: $vgpr4_vgpr5
                                        ; implicit-def: $vgpr2_vgpr3
	s_branch .LBB95_14
	.section	.rodata,"a",@progbits
	.p2align	6, 0x0
	.amdhsa_kernel _ZL36rocblas_hemvn_kernel_upper_block_sumILi64ElPKdPddEviT1_lS3_lT2_lT0_lPT3_i
		.amdhsa_group_segment_fixed_size 0
		.amdhsa_private_segment_fixed_size 0
		.amdhsa_kernarg_size 344
		.amdhsa_user_sgpr_count 6
		.amdhsa_user_sgpr_private_segment_buffer 1
		.amdhsa_user_sgpr_dispatch_ptr 0
		.amdhsa_user_sgpr_queue_ptr 0
		.amdhsa_user_sgpr_kernarg_segment_ptr 1
		.amdhsa_user_sgpr_dispatch_id 0
		.amdhsa_user_sgpr_flat_scratch_init 0
		.amdhsa_user_sgpr_kernarg_preload_length 0
		.amdhsa_user_sgpr_kernarg_preload_offset 0
		.amdhsa_user_sgpr_private_segment_size 0
		.amdhsa_uses_dynamic_stack 0
		.amdhsa_system_sgpr_private_segment_wavefront_offset 0
		.amdhsa_system_sgpr_workgroup_id_x 1
		.amdhsa_system_sgpr_workgroup_id_y 0
		.amdhsa_system_sgpr_workgroup_id_z 1
		.amdhsa_system_sgpr_workgroup_info 0
		.amdhsa_system_vgpr_workitem_id 0
		.amdhsa_next_free_vgpr 10
		.amdhsa_next_free_sgpr 24
		.amdhsa_accum_offset 12
		.amdhsa_reserve_vcc 1
		.amdhsa_reserve_flat_scratch 0
		.amdhsa_float_round_mode_32 0
		.amdhsa_float_round_mode_16_64 0
		.amdhsa_float_denorm_mode_32 3
		.amdhsa_float_denorm_mode_16_64 3
		.amdhsa_dx10_clamp 1
		.amdhsa_ieee_mode 1
		.amdhsa_fp16_overflow 0
		.amdhsa_tg_split 0
		.amdhsa_exception_fp_ieee_invalid_op 0
		.amdhsa_exception_fp_denorm_src 0
		.amdhsa_exception_fp_ieee_div_zero 0
		.amdhsa_exception_fp_ieee_overflow 0
		.amdhsa_exception_fp_ieee_underflow 0
		.amdhsa_exception_fp_ieee_inexact 0
		.amdhsa_exception_int_div_zero 0
	.end_amdhsa_kernel
	.section	.text._ZL36rocblas_hemvn_kernel_upper_block_sumILi64ElPKdPddEviT1_lS3_lT2_lT0_lPT3_i,"axG",@progbits,_ZL36rocblas_hemvn_kernel_upper_block_sumILi64ElPKdPddEviT1_lS3_lT2_lT0_lPT3_i,comdat
.Lfunc_end95:
	.size	_ZL36rocblas_hemvn_kernel_upper_block_sumILi64ElPKdPddEviT1_lS3_lT2_lT0_lPT3_i, .Lfunc_end95-_ZL36rocblas_hemvn_kernel_upper_block_sumILi64ElPKdPddEviT1_lS3_lT2_lT0_lPT3_i
                                        ; -- End function
	.section	.AMDGPU.csdata,"",@progbits
; Kernel info:
; codeLenInByte = 724
; NumSgprs: 28
; NumVgprs: 10
; NumAgprs: 0
; TotalNumVgprs: 10
; ScratchSize: 0
; MemoryBound: 0
; FloatMode: 240
; IeeeMode: 1
; LDSByteSize: 0 bytes/workgroup (compile time only)
; SGPRBlocks: 3
; VGPRBlocks: 1
; NumSGPRsForWavesPerEU: 28
; NumVGPRsForWavesPerEU: 10
; AccumOffset: 12
; Occupancy: 8
; WaveLimiterHint : 0
; COMPUTE_PGM_RSRC2:SCRATCH_EN: 0
; COMPUTE_PGM_RSRC2:USER_SGPR: 6
; COMPUTE_PGM_RSRC2:TRAP_HANDLER: 0
; COMPUTE_PGM_RSRC2:TGID_X_EN: 1
; COMPUTE_PGM_RSRC2:TGID_Y_EN: 0
; COMPUTE_PGM_RSRC2:TGID_Z_EN: 1
; COMPUTE_PGM_RSRC2:TIDIG_COMP_CNT: 0
; COMPUTE_PGM_RSRC3_GFX90A:ACCUM_OFFSET: 2
; COMPUTE_PGM_RSRC3_GFX90A:TG_SPLIT: 0
	.section	.text._ZL26rocblas_hemvn_kernel_upperILb0ELi64ELi4ELi33ELi32ELi16EiPKdS1_PdEviT6_lT7_lT5_lS4_lS5_lS3_lT8_i,"axG",@progbits,_ZL26rocblas_hemvn_kernel_upperILb0ELi64ELi4ELi33ELi32ELi16EiPKdS1_PdEviT6_lT7_lT5_lS4_lS5_lS3_lT8_i,comdat
	.globl	_ZL26rocblas_hemvn_kernel_upperILb0ELi64ELi4ELi33ELi32ELi16EiPKdS1_PdEviT6_lT7_lT5_lS4_lS5_lS3_lT8_i ; -- Begin function _ZL26rocblas_hemvn_kernel_upperILb0ELi64ELi4ELi33ELi32ELi16EiPKdS1_PdEviT6_lT7_lT5_lS4_lS5_lS3_lT8_i
	.p2align	8
	.type	_ZL26rocblas_hemvn_kernel_upperILb0ELi64ELi4ELi33ELi32ELi16EiPKdS1_PdEviT6_lT7_lT5_lS4_lS5_lS3_lT8_i,@function
_ZL26rocblas_hemvn_kernel_upperILb0ELi64ELi4ELi33ELi32ELi16EiPKdS1_PdEviT6_lT7_lT5_lS4_lS5_lS3_lT8_i: ; @_ZL26rocblas_hemvn_kernel_upperILb0ELi64ELi4ELi33ELi32ELi16EiPKdS1_PdEviT6_lT7_lT5_lS4_lS5_lS3_lT8_i
; %bb.0:
	s_load_dwordx2 s[2:3], s[4:5], 0x84
	s_add_u32 s0, s4, 0x78
	s_addc_u32 s1, s5, 0
	s_waitcnt lgkmcnt(0)
	s_lshr_b32 s8, s2, 16
	s_and_b32 s2, s2, 0xffff
	s_and_b32 s3, s3, 0xffff
	s_mul_i32 s2, s8, s2
	s_mul_i32 s2, s2, s3
	s_cmpk_lg_i32 s2, 0x100
	s_cbranch_scc1 .LBB96_126
; %bb.1:
	s_load_dwordx8 s[20:27], s[4:5], 0x8
	s_load_dwordx8 s[12:19], s[4:5], 0x50
	s_waitcnt lgkmcnt(0)
	s_mul_i32 s3, s7, s23
	s_mul_hi_u32 s8, s7, s22
	s_mul_i32 s2, s7, s22
	s_add_i32 s3, s8, s3
	s_lshl_b64 s[2:3], s[2:3], 3
	s_mul_i32 s9, s7, s17
	s_add_u32 s2, s20, s2
	s_mul_hi_u32 s8, s7, s16
	s_addc_u32 s3, s21, s3
	s_add_i32 s9, s8, s9
	s_mul_i32 s8, s7, s16
	s_lshl_b64 s[8:9], s[8:9], 3
	s_add_u32 s8, s14, s8
	s_addc_u32 s9, s15, s9
	s_load_dwordx2 s[2:3], s[2:3], 0x0
	s_waitcnt lgkmcnt(0)
	v_cmp_eq_f64_e64 s[2:3], s[2:3], 0
	s_load_dwordx2 s[8:9], s[8:9], 0x0
	s_waitcnt lgkmcnt(0)
	v_cmp_eq_f64_e64 s[8:9], s[8:9], 1.0
	s_and_b64 s[8:9], s[2:3], s[8:9]
	s_and_b64 vcc, exec, s[8:9]
	s_cbranch_vccnz .LBB96_126
; %bb.2:
	s_and_b64 vcc, exec, s[2:3]
	s_cbranch_vccnz .LBB96_126
; %bb.3:
	s_load_dword s33, s[0:1], 0x0
	s_load_dword s40, s[4:5], 0x0
	s_load_dwordx4 s[8:11], s[4:5], 0x30
	s_load_dwordx2 s[2:3], s[4:5], 0x40
	s_load_dword s39, s[4:5], 0x48
	s_mul_i32 s0, s7, s13
	s_mul_hi_u32 s1, s7, s12
	s_add_i32 s1, s1, s0
	s_mul_i32 s0, s7, s12
	s_lshl_b64 s[0:1], s[0:1], 3
	s_waitcnt lgkmcnt(0)
	s_add_u32 s10, s10, s0
	s_addc_u32 s11, s11, s1
	s_lshl_b64 s[0:1], s[2:3], 3
	s_add_u32 s0, s10, s0
	s_addc_u32 s1, s11, s1
	v_and_b32_e32 v26, 0x3ff, v0
	s_lshl_b32 s22, s6, 6
	s_ashr_i32 s41, s40, 31
	s_lshr_b32 s3, s41, 26
	v_add_u32_e32 v24, s22, v26
	v_bfe_u32 v77, v0, 10, 10
	s_add_i32 s3, s40, s3
	v_mul_lo_u32 v0, v24, s39
	s_andn2_b32 s3, s3, 63
	v_ashrrev_i32_e32 v1, 31, v0
	s_add_i32 s2, s33, -1
	s_sub_i32 s38, s40, s3
	v_lshlrev_b64 v[0:1], 3, v[0:1]
	s_cmp_eq_u32 s6, s2
	v_mov_b32_e32 v2, s1
	v_add_co_u32_e32 v16, vcc, s0, v0
	s_cselect_b32 s16, s38, 0
	v_addc_co_u32_e32 v17, vcc, v2, v1, vcc
	v_cmp_eq_u32_e64 s[0:1], 0, v77
	s_and_saveexec_b64 s[2:3], s[0:1]
	s_cbranch_execz .LBB96_7
; %bb.4:
	s_cmp_eq_u32 s16, 0
	s_cselect_b64 s[10:11], -1, 0
	v_cmp_gt_i32_e32 vcc, s16, v26
	s_or_b64 s[12:13], s[10:11], vcc
	v_pk_mov_b32 v[0:1], 0, 0
	s_and_saveexec_b64 s[10:11], s[12:13]
	s_cbranch_execz .LBB96_6
; %bb.5:
	global_load_dwordx2 v[0:1], v[16:17], off
.LBB96_6:
	s_or_b64 exec, exec, s[10:11]
	v_lshlrev_b32_e32 v2, 3, v26
	s_waitcnt vmcnt(0)
	ds_write_b64 v2, v[0:1] offset:9088
.LBB96_7:
	s_or_b64 exec, exec, s[2:3]
	s_mul_i32 s2, s7, s9
	s_mul_hi_u32 s3, s7, s8
	s_add_i32 s3, s3, s2
	s_mul_i32 s2, s7, s8
	s_lshl_b64 s[2:3], s[2:3], 3
	s_add_u32 s8, s24, s2
	s_addc_u32 s9, s25, s3
	s_lshl_b64 s[2:3], s[26:27], 3
	s_load_dword s24, s[4:5], 0x28
	s_add_u32 s8, s8, s2
	s_addc_u32 s9, s9, s3
	s_ashr_i32 s23, s22, 31
	v_lshl_add_u32 v79, v77, 6, v26
	s_lshl_b64 s[2:3], s[22:23], 3
	v_and_b32_e32 v0, 31, v26
	v_lshrrev_b32_e32 v1, 5, v79
	s_add_u32 s4, s8, s2
	s_addc_u32 s5, s9, s3
	s_waitcnt lgkmcnt(0)
	v_mad_u64_u32 v[12:13], s[2:3], v1, s24, v[0:1]
	s_mul_i32 s2, s22, s24
	s_ashr_i32 s3, s2, 31
	s_lshl_b64 s[2:3], s[2:3], 3
	s_add_u32 s2, s2, s4
	v_ashrrev_i32_e32 v13, 31, v12
	s_addc_u32 s3, s3, s5
	v_lshlrev_b64 v[14:15], 3, v[12:13]
	s_cmp_eq_u32 s16, 0
	v_mov_b32_e32 v2, s3
	v_add_co_u32_e32 v4, vcc, s2, v14
	s_cselect_b64 s[20:21], -1, 0
	s_cmp_lg_u32 s16, 0
	v_addc_co_u32_e32 v5, vcc, v2, v15, vcc
	s_cselect_b64 s[30:31], -1, 0
	s_and_b64 vcc, exec, s[30:31]
	v_cmp_gt_i32_e64 s[2:3], s16, v0
	v_lshlrev_b32_e32 v13, 3, v0
	s_cbranch_vccz .LBB96_17
; %bb.8:
	v_sub_co_u32_e32 v2, vcc, v4, v13
	s_ashr_i32 s17, s16, 31
	v_subbrev_co_u32_e32 v3, vcc, 0, v5, vcc
	s_lshl_b64 s[4:5], s[16:17], 3
	v_mov_b32_e32 v6, s5
	v_add_co_u32_e32 v2, vcc, s4, v2
	v_addc_co_u32_e32 v3, vcc, v3, v6, vcc
	v_add_co_u32_e32 v2, vcc, -8, v2
	v_addc_co_u32_e32 v3, vcc, -1, v3, vcc
	v_pk_mov_b32 v[6:7], 0, 0
	v_cndmask_b32_e64 v3, v3, v5, s[2:3]
	v_cndmask_b32_e64 v2, v2, v4, s[2:3]
	v_cmp_gt_i32_e32 vcc, s16, v1
	v_pk_mov_b32 v[8:9], v[6:7], v[6:7] op_sel:[0,1]
	s_and_saveexec_b64 s[8:9], vcc
	s_cbranch_execz .LBB96_10
; %bb.9:
	global_load_dwordx2 v[8:9], v[2:3], off
.LBB96_10:
	s_or_b64 exec, exec, s[8:9]
	v_mul_u32_u24_e32 v10, 33, v1
	v_add_lshl_u32 v10, v10, v0, 3
	s_waitcnt vmcnt(0)
	ds_write_b64 v10, v[8:9]
	v_add_u32_e32 v8, 8, v1
	v_cmp_gt_i32_e32 vcc, s16, v8
	s_and_saveexec_b64 s[8:9], vcc
	s_cbranch_execz .LBB96_12
; %bb.11:
	s_lshl_b32 s10, s24, 3
	s_ashr_i32 s11, s10, 31
	s_lshl_b64 s[10:11], s[10:11], 3
	v_mov_b32_e32 v7, s11
	v_add_co_u32_e32 v6, vcc, s10, v2
	v_addc_co_u32_e32 v7, vcc, v3, v7, vcc
	global_load_dwordx2 v[6:7], v[6:7], off
.LBB96_12:
	s_or_b64 exec, exec, s[8:9]
	s_waitcnt vmcnt(0)
	ds_write_b64 v10, v[6:7] offset:2112
	v_add_u32_e32 v6, 16, v1
	v_cmp_gt_i32_e32 vcc, s16, v6
	v_pk_mov_b32 v[6:7], 0, 0
	v_pk_mov_b32 v[8:9], v[6:7], v[6:7] op_sel:[0,1]
	s_and_saveexec_b64 s[8:9], vcc
	s_cbranch_execz .LBB96_14
; %bb.13:
	s_lshl_b32 s10, s24, 4
	s_ashr_i32 s11, s10, 31
	s_lshl_b64 s[10:11], s[10:11], 3
	v_mov_b32_e32 v9, s11
	v_add_co_u32_e32 v8, vcc, s10, v2
	v_addc_co_u32_e32 v9, vcc, v3, v9, vcc
	global_load_dwordx2 v[8:9], v[8:9], off
.LBB96_14:
	s_or_b64 exec, exec, s[8:9]
	s_waitcnt vmcnt(0)
	ds_write_b64 v10, v[8:9] offset:4224
	v_add_u32_e32 v8, 24, v1
	v_cmp_gt_i32_e32 vcc, s16, v8
	s_and_saveexec_b64 s[8:9], vcc
	s_cbranch_execz .LBB96_16
; %bb.15:
	s_mul_i32 s10, s24, 24
	s_ashr_i32 s11, s10, 31
	s_lshl_b64 s[10:11], s[10:11], 3
	v_mov_b32_e32 v7, s11
	v_add_co_u32_e32 v6, vcc, s10, v2
	v_addc_co_u32_e32 v7, vcc, v3, v7, vcc
	global_load_dwordx2 v[6:7], v[6:7], off
.LBB96_16:
	s_or_b64 exec, exec, s[8:9]
	v_add_co_u32_e32 v2, vcc, v2, v13
	v_addc_co_u32_e32 v3, vcc, 0, v3, vcc
	s_waitcnt vmcnt(0)
	ds_write_b64 v10, v[6:7] offset:6336
	v_mov_b32_e32 v6, s5
	v_subrev_co_u32_e32 v2, vcc, s4, v2
	v_subb_co_u32_e32 v3, vcc, v3, v6, vcc
	v_add_co_u32_e32 v2, vcc, 8, v2
	v_addc_co_u32_e32 v3, vcc, 0, v3, vcc
	v_cndmask_b32_e64 v3, v3, v5, s[2:3]
	v_cndmask_b32_e64 v2, v2, v4, s[2:3]
	v_mul_u32_u24_e32 v20, 33, v1
	s_branch .LBB96_19
.LBB96_17:
                                        ; implicit-def: $vgpr2_vgpr3
	v_mul_u32_u24_e32 v20, 33, v1
	s_cbranch_execz .LBB96_19
; %bb.18:
	s_lshl_b32 s2, s24, 3
	s_ashr_i32 s3, s2, 31
	s_lshl_b64 s[2:3], s[2:3], 3
	v_mov_b32_e32 v3, s3
	v_add_co_u32_e32 v2, vcc, s2, v4
	s_ashr_i32 s25, s24, 31
	v_addc_co_u32_e32 v3, vcc, v5, v3, vcc
	s_lshl_b64 s[2:3], s[24:25], 6
	global_load_dwordx2 v[6:7], v[4:5], off
	global_load_dwordx2 v[8:9], v[2:3], off
	v_mov_b32_e32 v18, s3
	v_add_co_u32_e32 v2, vcc, s2, v2
	v_addc_co_u32_e32 v3, vcc, v3, v18, vcc
	global_load_dwordx2 v[10:11], v[2:3], off
	v_add_co_u32_e32 v2, vcc, s2, v2
	v_addc_co_u32_e32 v3, vcc, v3, v18, vcc
	global_load_dwordx2 v[2:3], v[2:3], off
	v_add_lshl_u32 v18, v20, v0, 3
	s_waitcnt vmcnt(3)
	ds_write_b64 v18, v[6:7]
	s_waitcnt vmcnt(2)
	ds_write_b64 v18, v[8:9] offset:2112
	s_waitcnt vmcnt(1)
	ds_write_b64 v18, v[10:11] offset:4224
	;; [unrolled: 2-line block ×3, first 2 shown]
	v_pk_mov_b32 v[2:3], v[4:5], v[4:5] op_sel:[0,1]
.LBB96_19:
	v_lshlrev_b32_e32 v4, 2, v1
	v_mul_u32_u24_e32 v21, 33, v0
	v_cmp_gt_u32_e64 s[4:5], v4, v0
	v_add_lshl_u32 v18, v4, v21, 3
	s_waitcnt lgkmcnt(0)
	s_barrier
	s_and_saveexec_b64 s[2:3], s[4:5]
	s_cbranch_execz .LBB96_21
; %bb.20:
	v_mul_u32_u24_e32 v5, 0x84, v1
	v_add_lshl_u32 v5, v5, v0, 3
	ds_read_b64 v[6:7], v5
	s_waitcnt lgkmcnt(0)
	ds_write_b64 v18, v[6:7]
.LBB96_21:
	s_or_b64 exec, exec, s[2:3]
	v_cmp_ge_u32_e64 s[14:15], v4, v0
	s_and_saveexec_b64 s[2:3], s[14:15]
	s_cbranch_execz .LBB96_23
; %bb.22:
	v_or_b32_e32 v5, 1, v4
	v_mul_u32_u24_e32 v5, 33, v5
	v_add_lshl_u32 v5, v5, v0, 3
	ds_read_b64 v[6:7], v5
	s_waitcnt lgkmcnt(0)
	ds_write_b64 v18, v[6:7] offset:8
.LBB96_23:
	s_or_b64 exec, exec, s[2:3]
	v_or_b32_e32 v5, 2, v4
	v_cmp_gt_u32_e64 s[8:9], v5, v0
	s_and_saveexec_b64 s[2:3], s[8:9]
	s_cbranch_execz .LBB96_25
; %bb.24:
	v_mul_u32_u24_e32 v5, 33, v5
	v_add_lshl_u32 v5, v5, v0, 3
	ds_read_b64 v[6:7], v5
	s_waitcnt lgkmcnt(0)
	ds_write_b64 v18, v[6:7] offset:16
.LBB96_25:
	s_or_b64 exec, exec, s[2:3]
	v_or_b32_e32 v5, 3, v4
	v_cmp_gt_u32_e64 s[10:11], v5, v0
	v_mad_u32_u24 v5, v5, 33, v0
	v_lshlrev_b32_e32 v30, 3, v5
	s_and_saveexec_b64 s[2:3], s[10:11]
	s_cbranch_execz .LBB96_27
; %bb.26:
	ds_read_b64 v[6:7], v30
	s_waitcnt lgkmcnt(0)
	ds_write_b64 v18, v[6:7] offset:24
.LBB96_27:
	s_or_b64 exec, exec, s[2:3]
	v_mul_u32_u24_e32 v5, 0x84, v1
	v_add_lshl_u32 v22, v5, v0, 3
	s_waitcnt lgkmcnt(0)
	s_barrier
	v_lshlrev_b32_e32 v19, 3, v4
	ds_read_b64 v[36:37], v22
	ds_read_b128 v[4:7], v19 offset:9088
	v_add_u32_e32 v31, 0xfffffdf0, v30
	ds_read2_b64 v[8:11], v31 offset1:33
	ds_read_b128 v[32:35], v19 offset:9104
	ds_read_b64 v[38:39], v30
	v_pk_mov_b32 v[28:29], 0, 0
	v_add_lshl_u32 v27, v1, v21, 3
	s_waitcnt lgkmcnt(3)
	v_fma_f64 v[4:5], v[36:37], v[4:5], 0
	s_waitcnt lgkmcnt(2)
	v_fmac_f64_e32 v[4:5], v[8:9], v[6:7]
	s_waitcnt lgkmcnt(1)
	v_fmac_f64_e32 v[4:5], v[10:11], v[32:33]
	;; [unrolled: 2-line block ×3, first 2 shown]
	v_cmp_gt_u32_e64 s[2:3], 32, v79
	v_lshlrev_b32_e32 v25, 3, v21
	s_barrier
	ds_write_b64 v27, v[4:5]
	s_waitcnt lgkmcnt(0)
	s_barrier
	s_and_saveexec_b64 s[12:13], s[2:3]
	s_cbranch_execz .LBB96_29
; %bb.28:
	ds_read2_b64 v[4:7], v25 offset1:1
	ds_read2_b64 v[8:11], v25 offset0:2 offset1:3
	ds_read2_b64 v[32:35], v25 offset0:4 offset1:5
	s_waitcnt lgkmcnt(2)
	v_add_f64 v[28:29], v[4:5], v[6:7]
	ds_read2_b64 v[4:7], v25 offset0:6 offset1:7
	s_waitcnt lgkmcnt(2)
	v_add_f64 v[8:9], v[28:29], v[8:9]
	v_add_f64 v[8:9], v[8:9], v[10:11]
	s_waitcnt lgkmcnt(1)
	v_add_f64 v[8:9], v[8:9], v[32:33]
	v_add_f64 v[8:9], v[8:9], v[34:35]
	;; [unrolled: 3-line block ×3, first 2 shown]
.LBB96_29:
	s_or_b64 exec, exec, s[12:13]
	s_lshl_b32 s28, s24, 5
	s_ashr_i32 s29, s28, 31
	s_lshl_b64 s[26:27], s[28:29], 3
	v_mov_b32_e32 v4, s27
	v_add_co_u32_e32 v6, vcc, s26, v2
	v_addc_co_u32_e32 v7, vcc, v3, v4, vcc
	v_add_co_u32_e32 v4, vcc, 0x100, v6
	v_addc_co_u32_e32 v5, vcc, 0, v7, vcc
	s_and_b64 vcc, exec, s[30:31]
	s_barrier
	s_cbranch_vccz .LBB96_39
; %bb.30:
	v_sub_co_u32_e32 v3, vcc, v4, v13
	s_ashr_i32 s17, s16, 31
	v_subbrev_co_u32_e32 v8, vcc, 0, v5, vcc
	s_lshl_b64 s[34:35], s[16:17], 3
	v_mov_b32_e32 v9, s35
	v_add_co_u32_e32 v3, vcc, s34, v3
	v_or_b32_e32 v2, 32, v0
	v_addc_co_u32_e32 v8, vcc, v8, v9, vcc
	v_add_co_u32_e32 v9, vcc, 0xfffffef8, v3
	v_cmp_gt_i32_e64 s[12:13], s16, v2
	v_addc_co_u32_e32 v3, vcc, -1, v8, vcc
	v_cndmask_b32_e64 v2, v9, v4, s[12:13]
	s_sub_i32 s17, s16, 32
	v_pk_mov_b32 v[8:9], 0, 0
	v_cndmask_b32_e64 v3, v3, v5, s[12:13]
	v_cmp_gt_i32_e32 vcc, s17, v1
	v_pk_mov_b32 v[10:11], v[8:9], v[8:9] op_sel:[0,1]
	s_and_saveexec_b64 s[36:37], vcc
	s_cbranch_execz .LBB96_32
; %bb.31:
	global_load_dwordx2 v[10:11], v[2:3], off
.LBB96_32:
	s_or_b64 exec, exec, s[36:37]
	v_add_lshl_u32 v23, v20, v0, 3
	s_waitcnt vmcnt(0)
	ds_write_b64 v23, v[10:11]
	v_add_u32_e32 v10, 8, v1
	v_cmp_gt_i32_e32 vcc, s17, v10
	s_and_saveexec_b64 s[36:37], vcc
	s_cbranch_execz .LBB96_34
; %bb.33:
	s_lshl_b32 s42, s24, 3
	s_ashr_i32 s43, s42, 31
	s_lshl_b64 s[42:43], s[42:43], 3
	v_mov_b32_e32 v9, s43
	v_add_co_u32_e32 v8, vcc, s42, v2
	v_addc_co_u32_e32 v9, vcc, v3, v9, vcc
	global_load_dwordx2 v[8:9], v[8:9], off
.LBB96_34:
	s_or_b64 exec, exec, s[36:37]
	s_waitcnt vmcnt(0)
	ds_write_b64 v23, v[8:9] offset:2112
	v_add_u32_e32 v8, 16, v1
	v_cmp_gt_i32_e32 vcc, s17, v8
	v_pk_mov_b32 v[8:9], 0, 0
	v_pk_mov_b32 v[10:11], v[8:9], v[8:9] op_sel:[0,1]
	s_and_saveexec_b64 s[36:37], vcc
	s_cbranch_execz .LBB96_36
; %bb.35:
	s_lshl_b32 s42, s24, 4
	s_ashr_i32 s43, s42, 31
	s_lshl_b64 s[42:43], s[42:43], 3
	v_mov_b32_e32 v11, s43
	v_add_co_u32_e32 v10, vcc, s42, v2
	v_addc_co_u32_e32 v11, vcc, v3, v11, vcc
	global_load_dwordx2 v[10:11], v[10:11], off
.LBB96_36:
	s_or_b64 exec, exec, s[36:37]
	s_waitcnt vmcnt(0)
	ds_write_b64 v23, v[10:11] offset:4224
	v_add_u32_e32 v10, 24, v1
	v_cmp_gt_i32_e32 vcc, s17, v10
	s_and_saveexec_b64 s[36:37], vcc
	s_cbranch_execz .LBB96_38
; %bb.37:
	s_mul_i32 s42, s24, 24
	s_ashr_i32 s43, s42, 31
	s_lshl_b64 s[42:43], s[42:43], 3
	v_mov_b32_e32 v9, s43
	v_add_co_u32_e32 v8, vcc, s42, v2
	v_addc_co_u32_e32 v9, vcc, v3, v9, vcc
	global_load_dwordx2 v[8:9], v[8:9], off
.LBB96_38:
	s_or_b64 exec, exec, s[36:37]
	v_add_co_u32_e32 v2, vcc, v2, v13
	v_addc_co_u32_e32 v3, vcc, 0, v3, vcc
	s_waitcnt vmcnt(0)
	ds_write_b64 v23, v[8:9] offset:6336
	v_mov_b32_e32 v8, s35
	v_subrev_co_u32_e32 v2, vcc, s34, v2
	v_subb_co_u32_e32 v3, vcc, v3, v8, vcc
	v_add_co_u32_e32 v2, vcc, 0x108, v2
	v_addc_co_u32_e32 v3, vcc, 0, v3, vcc
	v_cndmask_b32_e64 v3, v3, v5, s[12:13]
	v_cndmask_b32_e64 v2, v2, v4, s[12:13]
	s_branch .LBB96_41
.LBB96_39:
                                        ; implicit-def: $vgpr2_vgpr3
	s_cbranch_execz .LBB96_41
; %bb.40:
	s_lshl_b32 s12, s24, 3
	s_ashr_i32 s13, s12, 31
	s_lshl_b64 s[12:13], s[12:13], 3
	v_mov_b32_e32 v3, s13
	v_add_co_u32_e32 v2, vcc, s12, v6
	s_ashr_i32 s25, s24, 31
	v_addc_co_u32_e32 v3, vcc, v7, v3, vcc
	s_lshl_b64 s[12:13], s[24:25], 6
	v_mov_b32_e32 v11, s13
	v_add_co_u32_e32 v8, vcc, s12, v2
	v_addc_co_u32_e32 v9, vcc, v3, v11, vcc
	v_add_co_u32_e32 v10, vcc, s12, v8
	v_addc_co_u32_e32 v11, vcc, v9, v11, vcc
	global_load_dwordx2 v[32:33], v[6:7], off offset:256
	global_load_dwordx2 v[34:35], v[2:3], off offset:256
	;; [unrolled: 1-line block ×4, first 2 shown]
	v_add_lshl_u32 v2, v20, v0, 3
	s_waitcnt vmcnt(3)
	ds_write_b64 v2, v[32:33]
	s_waitcnt vmcnt(2)
	ds_write_b64 v2, v[34:35] offset:2112
	s_waitcnt vmcnt(1)
	ds_write_b64 v2, v[36:37] offset:4224
	;; [unrolled: 2-line block ×3, first 2 shown]
	v_pk_mov_b32 v[2:3], v[4:5], v[4:5] op_sel:[0,1]
.LBB96_41:
	s_waitcnt lgkmcnt(0)
	s_barrier
	s_and_saveexec_b64 s[12:13], s[4:5]
	s_cbranch_execnz .LBB96_58
; %bb.42:
	s_or_b64 exec, exec, s[12:13]
	s_and_saveexec_b64 s[4:5], s[14:15]
	s_cbranch_execnz .LBB96_59
.LBB96_43:
	s_or_b64 exec, exec, s[4:5]
	s_and_saveexec_b64 s[4:5], s[8:9]
	s_cbranch_execnz .LBB96_60
.LBB96_44:
	s_or_b64 exec, exec, s[4:5]
	v_add_u32_e32 v32, 0x2380, v19
	s_and_saveexec_b64 s[4:5], s[10:11]
	s_cbranch_execz .LBB96_46
.LBB96_45:
	ds_read_b64 v[4:5], v30
	s_waitcnt lgkmcnt(0)
	ds_write_b64 v18, v[4:5] offset:24
.LBB96_46:
	s_or_b64 exec, exec, s[4:5]
	s_waitcnt lgkmcnt(0)
	s_barrier
	ds_read_b64 v[18:19], v22
	ds_read_b128 v[4:7], v32 offset:256
	ds_read2_b64 v[8:11], v31 offset1:33
	ds_read_b128 v[34:37], v32 offset:272
	ds_read_b64 v[38:39], v30
	v_cmp_eq_u32_e64 s[4:5], 1, v1
	s_waitcnt lgkmcnt(3)
	v_fma_f64 v[4:5], v[18:19], v[4:5], 0
	s_waitcnt lgkmcnt(2)
	v_fmac_f64_e32 v[4:5], v[8:9], v[6:7]
	s_waitcnt lgkmcnt(1)
	v_fmac_f64_e32 v[4:5], v[10:11], v[34:35]
	;; [unrolled: 2-line block ×3, first 2 shown]
	s_barrier
	ds_write_b64 v27, v[4:5]
	s_waitcnt lgkmcnt(0)
	s_barrier
	s_and_saveexec_b64 s[8:9], s[4:5]
	s_cbranch_execz .LBB96_48
; %bb.47:
	ds_read2_b64 v[4:7], v25 offset1:1
	ds_read2_b64 v[8:11], v25 offset0:2 offset1:3
	ds_read2_b64 v[34:37], v25 offset0:4 offset1:5
	s_waitcnt lgkmcnt(2)
	v_add_f64 v[18:19], v[4:5], v[6:7]
	ds_read2_b64 v[4:7], v25 offset0:6 offset1:7
	s_waitcnt lgkmcnt(2)
	v_add_f64 v[8:9], v[18:19], v[8:9]
	v_add_f64 v[8:9], v[8:9], v[10:11]
	s_waitcnt lgkmcnt(1)
	v_add_f64 v[8:9], v[8:9], v[34:35]
	v_add_f64 v[8:9], v[8:9], v[36:37]
	s_waitcnt lgkmcnt(0)
	v_add_f64 v[4:5], v[8:9], v[4:5]
	v_add_f64 v[28:29], v[4:5], v[6:7]
.LBB96_48:
	s_or_b64 exec, exec, s[8:9]
	v_add_co_u32_e32 v4, vcc, 0xffffff00, v2
	v_addc_co_u32_e32 v5, vcc, -1, v3, vcc
	s_and_b64 vcc, exec, s[30:31]
	s_barrier
	s_cbranch_vccz .LBB96_61
; %bb.49:
	v_sub_co_u32_e32 v6, vcc, v2, v13
	s_ashr_i32 s17, s16, 31
	v_subbrev_co_u32_e32 v7, vcc, 0, v3, vcc
	s_lshl_b64 s[10:11], s[16:17], 3
	v_mov_b32_e32 v8, s11
	v_add_co_u32_e32 v6, vcc, s10, v6
	v_addc_co_u32_e32 v7, vcc, v7, v8, vcc
	v_add_co_u32_e32 v6, vcc, 0xfffffef8, v6
	v_addc_co_u32_e32 v7, vcc, -1, v7, vcc
	v_cmp_gt_i32_e32 vcc, s16, v0
	s_sub_i32 s14, s16, 32
	v_pk_mov_b32 v[8:9], 0, 0
	v_cndmask_b32_e32 v7, v7, v5, vcc
	v_cndmask_b32_e32 v6, v6, v4, vcc
	v_cmp_gt_i32_e64 s[8:9], s14, v1
	v_pk_mov_b32 v[10:11], v[8:9], v[8:9] op_sel:[0,1]
	s_and_saveexec_b64 s[12:13], s[8:9]
	s_cbranch_execz .LBB96_51
; %bb.50:
	global_load_dwordx2 v[10:11], v[6:7], off
.LBB96_51:
	s_or_b64 exec, exec, s[12:13]
	v_add_u32_e32 v23, 8, v1
	v_add_lshl_u32 v18, v20, v0, 3
	v_cmp_gt_i32_e64 s[8:9], s14, v23
	s_waitcnt vmcnt(0)
	ds_write_b64 v18, v[10:11]
	s_and_saveexec_b64 s[12:13], s[8:9]
	s_cbranch_execz .LBB96_53
; %bb.52:
	s_lshl_b32 s8, s24, 3
	s_ashr_i32 s9, s8, 31
	s_lshl_b64 s[8:9], s[8:9], 3
	v_mov_b32_e32 v9, s9
	v_add_co_u32_e64 v8, s[8:9], s8, v6
	v_addc_co_u32_e64 v9, s[8:9], v7, v9, s[8:9]
	global_load_dwordx2 v[8:9], v[8:9], off
.LBB96_53:
	s_or_b64 exec, exec, s[12:13]
	s_waitcnt vmcnt(0)
	ds_write_b64 v18, v[8:9] offset:2112
	v_add_u32_e32 v33, 16, v1
	v_pk_mov_b32 v[8:9], 0, 0
	v_cmp_gt_i32_e64 s[8:9], s14, v33
	v_pk_mov_b32 v[10:11], v[8:9], v[8:9] op_sel:[0,1]
	s_and_saveexec_b64 s[12:13], s[8:9]
	s_cbranch_execz .LBB96_55
; %bb.54:
	s_lshl_b32 s8, s24, 4
	s_ashr_i32 s9, s8, 31
	s_lshl_b64 s[8:9], s[8:9], 3
	v_mov_b32_e32 v11, s9
	v_add_co_u32_e64 v10, s[8:9], s8, v6
	v_addc_co_u32_e64 v11, s[8:9], v7, v11, s[8:9]
	global_load_dwordx2 v[10:11], v[10:11], off
.LBB96_55:
	s_or_b64 exec, exec, s[12:13]
	s_waitcnt vmcnt(0)
	ds_write_b64 v18, v[10:11] offset:4224
	v_add_u32_e32 v10, 24, v1
	v_cmp_gt_i32_e64 s[8:9], s14, v10
	s_and_saveexec_b64 s[12:13], s[8:9]
	s_cbranch_execz .LBB96_57
; %bb.56:
	s_mul_i32 s8, s24, 24
	s_ashr_i32 s9, s8, 31
	s_lshl_b64 s[8:9], s[8:9], 3
	v_mov_b32_e32 v9, s9
	v_add_co_u32_e64 v8, s[8:9], s8, v6
	v_addc_co_u32_e64 v9, s[8:9], v7, v9, s[8:9]
	global_load_dwordx2 v[8:9], v[8:9], off
.LBB96_57:
	s_or_b64 exec, exec, s[12:13]
	v_add_co_u32_e64 v6, s[8:9], v6, v13
	v_addc_co_u32_e64 v7, s[8:9], 0, v7, s[8:9]
	s_waitcnt vmcnt(0)
	ds_write_b64 v18, v[8:9] offset:6336
	v_mov_b32_e32 v8, s11
	v_subrev_co_u32_e64 v6, s[8:9], s10, v6
	v_subb_co_u32_e64 v7, s[8:9], v7, v8, s[8:9]
	v_add_co_u32_e64 v6, s[8:9], 8, v6
	v_addc_co_u32_e64 v7, s[8:9], 0, v7, s[8:9]
	v_cndmask_b32_e32 v19, v7, v5, vcc
	v_cndmask_b32_e32 v18, v6, v4, vcc
	s_branch .LBB96_63
.LBB96_58:
	ds_read_b64 v[4:5], v22
	s_waitcnt lgkmcnt(0)
	ds_write_b64 v18, v[4:5]
	s_or_b64 exec, exec, s[12:13]
	s_and_saveexec_b64 s[4:5], s[14:15]
	s_cbranch_execz .LBB96_43
.LBB96_59:
	ds_read_b64 v[4:5], v31
	s_waitcnt lgkmcnt(0)
	ds_write_b64 v18, v[4:5] offset:8
	s_or_b64 exec, exec, s[4:5]
	s_and_saveexec_b64 s[4:5], s[8:9]
	s_cbranch_execz .LBB96_44
.LBB96_60:
	ds_read_b64 v[4:5], v31 offset:264
	s_waitcnt lgkmcnt(0)
	ds_write_b64 v18, v[4:5] offset:16
	s_or_b64 exec, exec, s[4:5]
	v_add_u32_e32 v32, 0x2380, v19
	s_and_saveexec_b64 s[4:5], s[10:11]
	s_cbranch_execnz .LBB96_45
	s_branch .LBB96_46
.LBB96_61:
                                        ; implicit-def: $vgpr18_vgpr19
                                        ; implicit-def: $vgpr23
                                        ; implicit-def: $vgpr33
                                        ; implicit-def: $vgpr10
	s_cbranch_execz .LBB96_63
; %bb.62:
	s_lshl_b32 s8, s24, 3
	s_ashr_i32 s9, s8, 31
	s_lshl_b64 s[8:9], s[8:9], 3
	global_load_dwordx2 v[6:7], v[2:3], off offset:-256
	v_mov_b32_e32 v8, s9
	v_add_co_u32_e32 v2, vcc, s8, v2
	s_ashr_i32 s25, s24, 31
	v_addc_co_u32_e32 v3, vcc, v3, v8, vcc
	s_lshl_b64 s[8:9], s[24:25], 6
	v_mov_b32_e32 v10, s9
	v_add_co_u32_e32 v8, vcc, s8, v2
	v_addc_co_u32_e32 v9, vcc, v3, v10, vcc
	global_load_dwordx2 v[18:19], v[2:3], off offset:-256
	global_load_dwordx2 v[34:35], v[8:9], off offset:-256
	v_add_co_u32_e32 v2, vcc, s8, v8
	v_addc_co_u32_e32 v3, vcc, v9, v10, vcc
	global_load_dwordx2 v[2:3], v[2:3], off offset:-256
	v_add_lshl_u32 v0, v20, v0, 3
	v_add_u32_e32 v23, 8, v1
	v_add_u32_e32 v33, 16, v1
	;; [unrolled: 1-line block ×3, first 2 shown]
	s_waitcnt vmcnt(3)
	ds_write_b64 v0, v[6:7]
	s_waitcnt vmcnt(2)
	ds_write_b64 v0, v[18:19] offset:2112
	s_waitcnt vmcnt(1)
	ds_write_b64 v0, v[34:35] offset:4224
	;; [unrolled: 2-line block ×3, first 2 shown]
	v_pk_mov_b32 v[18:19], v[4:5], v[4:5] op_sel:[0,1]
.LBB96_63:
	v_lshlrev_b32_e32 v0, 3, v1
	s_waitcnt lgkmcnt(0)
	s_barrier
	v_add_lshl_u32 v1, v23, v21, 3
	v_lshlrev_b32_e32 v2, 3, v23
	v_add_lshl_u32 v3, v33, v21, 3
	ds_read_b64 v[34:35], v0 offset:9088
	ds_read_b64 v[36:37], v1
	ds_read_b64 v[38:39], v2 offset:9088
	ds_read_b64 v[40:41], v3
	v_add_lshl_u32 v20, v10, v21, 3
	v_lshlrev_b32_e32 v21, 3, v10
	v_lshlrev_b32_e32 v13, 3, v33
	ds_read_b64 v[22:23], v22
	ds_read_b128 v[8:11], v32 offset:256
	ds_read_b64 v[42:43], v27
	ds_read_b128 v[0:3], v32 offset:272
	ds_read2_b64 v[4:7], v31 offset1:33
	ds_read_b64 v[32:33], v13 offset:9088
	ds_read_b64 v[44:45], v20
	ds_read_b64 v[46:47], v21 offset:9088
	ds_read_b64 v[20:21], v30
	s_waitcnt lgkmcnt(6)
	v_fma_f64 v[30:31], v[42:43], v[34:35], 0
	v_fmac_f64_e32 v[30:31], v[36:37], v[38:39]
	s_waitcnt lgkmcnt(3)
	v_fmac_f64_e32 v[30:31], v[40:41], v[32:33]
	s_waitcnt lgkmcnt(1)
	;; [unrolled: 2-line block ×3, first 2 shown]
	s_barrier
	ds_write_b64 v27, v[30:31]
	s_waitcnt lgkmcnt(0)
	s_barrier
	s_and_saveexec_b64 s[8:9], s[4:5]
	s_cbranch_execz .LBB96_65
; %bb.64:
	ds_read2_b64 v[30:33], v25 offset1:1
	ds_read2_b64 v[34:37], v25 offset0:2 offset1:3
	s_waitcnt lgkmcnt(1)
	v_add_f64 v[38:39], v[28:29], v[30:31]
	ds_read2_b64 v[28:31], v25 offset0:4 offset1:5
	v_add_f64 v[32:33], v[38:39], v[32:33]
	ds_read2_b64 v[38:41], v25 offset0:6 offset1:7
	s_waitcnt lgkmcnt(2)
	v_add_f64 v[32:33], v[32:33], v[34:35]
	v_add_f64 v[32:33], v[32:33], v[36:37]
	s_waitcnt lgkmcnt(1)
	v_add_f64 v[28:29], v[32:33], v[28:29]
	v_add_f64 v[28:29], v[28:29], v[30:31]
	;; [unrolled: 3-line block ×3, first 2 shown]
.LBB96_65:
	s_or_b64 exec, exec, s[8:9]
	v_fma_f64 v[8:9], v[22:23], v[8:9], 0
	v_fmac_f64_e32 v[8:9], v[4:5], v[10:11]
	v_fmac_f64_e32 v[8:9], v[6:7], v[0:1]
	;; [unrolled: 1-line block ×3, first 2 shown]
	s_barrier
	ds_write_b64 v27, v[8:9]
	s_waitcnt lgkmcnt(0)
	s_barrier
	s_and_saveexec_b64 s[4:5], s[2:3]
	s_cbranch_execz .LBB96_67
; %bb.66:
	ds_read2_b64 v[0:3], v25 offset1:1
	ds_read2_b64 v[4:7], v25 offset0:2 offset1:3
	ds_read2_b64 v[8:11], v25 offset0:4 offset1:5
	s_waitcnt lgkmcnt(2)
	v_add_f64 v[0:1], v[28:29], v[0:1]
	v_add_f64 v[20:21], v[0:1], v[2:3]
	ds_read2_b64 v[0:3], v25 offset0:6 offset1:7
	s_waitcnt lgkmcnt(2)
	v_add_f64 v[4:5], v[20:21], v[4:5]
	v_add_f64 v[4:5], v[4:5], v[6:7]
	s_waitcnt lgkmcnt(1)
	v_add_f64 v[4:5], v[4:5], v[8:9]
	v_add_f64 v[4:5], v[4:5], v[10:11]
	s_waitcnt lgkmcnt(0)
	v_add_f64 v[0:1], v[4:5], v[0:1]
	v_add_f64 v[28:29], v[0:1], v[2:3]
.LBB96_67:
	s_or_b64 exec, exec, s[4:5]
	s_mul_hi_u32 s2, s40, s7
	s_mul_i32 s41, s41, s7
	s_add_i32 s2, s2, s41
	s_mul_i32 s4, s40, s7
	s_mul_i32 s2, s2, s33
	s_mul_hi_u32 s3, s4, s33
	s_add_i32 s3, s3, s2
	s_mul_i32 s2, s4, s33
	s_lshl_b64 s[2:3], s[2:3], 3
	s_add_u32 s4, s18, s2
	s_addc_u32 s5, s19, s3
	s_mul_hi_i32 s3, s40, s6
	s_mul_i32 s2, s40, s6
	s_lshl_b64 s[2:3], s[2:3], 3
	s_add_u32 s7, s4, s2
	s_addc_u32 s17, s5, s3
	s_add_i32 s4, s6, 1
	s_cmp_ge_u32 s4, s33
	v_lshlrev_b32_e32 v140, 3, v26
	s_barrier
	s_cbranch_scc1 .LBB96_124
; %bb.68:
	s_mul_i32 s2, s22, s39
	s_ashr_i32 s3, s2, 31
	s_lshl_b64 s[2:3], s[2:3], 3
	v_mov_b32_e32 v0, s3
	v_subrev_co_u32_e32 v142, vcc, s2, v16
	v_subb_co_u32_e32 v143, vcc, v17, v0, vcc
	v_lshlrev_b32_e32 v141, 2, v77
	v_mov_b32_e32 v0, s27
	v_add_co_u32_e32 v30, vcc, s26, v18
	v_addc_co_u32_e32 v25, vcc, v19, v0, vcc
	v_mad_u64_u32 v[0:1], s[2:3], v141, s24, v[26:27]
	v_ashrrev_i32_e32 v1, 31, v0
	s_lshl_b32 s2, s24, 4
	v_lshlrev_b64 v[2:3], 3, v[0:1]
	s_lshl_b32 s30, s39, 6
	s_ashr_i32 s3, s2, 31
	s_ashr_i32 s25, s24, 31
	s_lshl_b32 s14, s24, 1
	s_mul_i32 s18, s24, 3
	s_mul_i32 s39, s39, s4
	v_mad_i64_i32 v[32:33], s[4:5], v12, -8, v[2:3]
	s_add_i32 s23, s33, -2
	s_ashr_i32 s15, s14, 31
	s_ashr_i32 s19, s18, 31
	s_lshl_b64 s[8:9], s[24:25], 3
	s_lshl_b32 s10, s39, 6
	s_lshl_b64 s[12:13], s[2:3], 5
	s_lshl_b64 s[4:5], s[24:25], 4
	v_sub_co_u32_e32 v144, vcc, 0, v14
	s_add_u32 s11, s4, s26
	v_subb_co_u32_e32 v145, vcc, 0, v15, vcc
	s_addc_u32 s31, s5, s27
	v_mov_b32_e32 v2, s31
	v_add_co_u32_e32 v34, vcc, s11, v18
	v_addc_co_u32_e32 v27, vcc, v19, v2, vcc
	v_mov_b32_e32 v3, s29
	v_add_co_u32_e32 v2, vcc, s28, v0
	v_addc_co_u32_e32 v3, vcc, v3, v1, vcc
	v_lshlrev_b64 v[2:3], 3, v[2:3]
	v_mad_i64_i32 v[4:5], s[34:35], s24, 24, v[2:3]
	v_add_co_u32_e32 v36, vcc, v18, v4
	s_add_u32 s39, s8, s26
	v_addc_co_u32_e32 v31, vcc, v19, v5, vcc
	s_addc_u32 s40, s9, s27
	s_lshl_b64 s[14:15], s[14:15], 3
	v_mov_b32_e32 v4, s40
	v_add_co_u32_e32 v38, vcc, s39, v18
	s_add_u32 s34, s26, s14
	v_addc_co_u32_e32 v35, vcc, v19, v4, vcc
	s_addc_u32 s35, s27, s15
	s_lshl_b64 s[18:19], s[18:19], 3
	v_mov_b32_e32 v4, s35
	v_add_co_u32_e32 v40, vcc, s34, v18
	s_add_u32 s34, s26, s18
	v_addc_co_u32_e32 v37, vcc, v19, v4, vcc
	s_addc_u32 s35, s27, s19
	v_mov_b32_e32 v4, s35
	v_add_co_u32_e32 v42, vcc, s34, v18
	s_lshl_b64 s[34:35], s[2:3], 3
	s_add_u32 s41, s26, s34
	v_addc_co_u32_e32 v39, vcc, v19, v4, vcc
	s_addc_u32 s42, s27, s35
	v_mov_b32_e32 v4, s42
	v_add_co_u32_e32 v44, vcc, s41, v18
	s_add_u32 s39, s39, s34
	v_addc_co_u32_e32 v41, vcc, v19, v4, vcc
	s_addc_u32 s40, s40, s35
	v_mov_b32_e32 v4, s40
	v_add_co_u32_e32 v46, vcc, s39, v18
	s_add_u32 s39, s41, s14
	v_addc_co_u32_e32 v43, vcc, v19, v4, vcc
	s_addc_u32 s40, s42, s15
	v_add_co_u32_e32 v48, vcc, s39, v18
	s_add_u32 s39, s41, s18
	v_mov_b32_e32 v4, s40
	s_addc_u32 s40, s42, s19
	s_add_u32 s34, s11, s34
	v_addc_co_u32_e32 v45, vcc, v19, v4, vcc
	s_addc_u32 s35, s31, s35
	v_mov_b32_e32 v4, s40
	v_add_co_u32_e32 v50, vcc, s39, v18
	s_add_u32 s28, s28, s2
	v_addc_co_u32_e32 v47, vcc, v19, v4, vcc
	s_addc_u32 s29, s29, s3
	v_mov_b32_e32 v4, s29
	v_add_co_u32_e32 v0, vcc, s28, v0
	v_addc_co_u32_e32 v1, vcc, v4, v1, vcc
	v_lshlrev_b64 v[0:1], 3, v[0:1]
	v_mad_i64_i32 v[0:1], s[28:29], s24, 24, v[0:1]
	s_lshl_b64 s[28:29], s[2:3], 4
	s_add_u32 s39, s28, s26
	s_addc_u32 s40, s29, s27
	s_add_u32 s41, s39, s8
	s_addc_u32 s42, s40, s9
	;; [unrolled: 2-line block ×4, first 2 shown]
	s_add_u32 s11, s11, s28
	s_mul_i32 s37, s24, 24
	s_addc_u32 s31, s31, s29
	s_mul_hi_i32 s36, s24, 24
	v_add_co_u32_e32 v52, vcc, v18, v0
	s_add_u32 s26, s37, s28
	v_addc_co_u32_e32 v49, vcc, v19, v1, vcc
	s_addc_u32 s27, s36, s29
	v_mov_b32_e32 v0, s27
	v_add_co_u32_e32 v4, vcc, s26, v2
	v_addc_co_u32_e32 v5, vcc, v0, v3, vcc
	v_mad_i64_i32 v[0:1], s[26:27], s2, 24, v[2:3]
	v_add_co_u32_e32 v54, vcc, v18, v0
	v_addc_co_u32_e32 v51, vcc, v19, v1, vcc
	v_mov_b32_e32 v6, s9
	v_add_co_u32_e32 v7, vcc, s8, v0
	v_addc_co_u32_e32 v6, vcc, v1, v6, vcc
	v_mov_b32_e32 v8, s15
	v_add_co_u32_e32 v9, vcc, s14, v0
	s_mul_i32 s28, s24, 0x180
	v_addc_co_u32_e32 v8, vcc, v1, v8, vcc
	s_mul_hi_i32 s29, s2, 24
	v_mov_b32_e32 v10, s19
	v_add_co_u32_e32 v11, vcc, s18, v0
	s_add_u32 s4, s28, s4
	v_addc_co_u32_e32 v10, vcc, v1, v10, vcc
	s_addc_u32 s5, s29, s5
	v_mov_b32_e32 v0, s5
	v_add_co_u32_e32 v12, vcc, s4, v2
	s_add_u32 s2, s24, s2
	v_addc_co_u32_e32 v13, vcc, v0, v3, vcc
	s_addc_u32 s4, s25, s3
	v_mad_u64_u32 v[0:1], s[2:3], s2, 24, v[2:3]
	v_mov_b32_e32 v2, v1
	v_mad_u64_u32 v[2:3], s[2:3], s4, 24, v[2:3]
	v_mov_b32_e32 v1, v2
	v_add_co_u32_e32 v56, vcc, v18, v0
	v_addc_co_u32_e32 v53, vcc, v19, v1, vcc
	v_mov_b32_e32 v0, s35
	v_add_co_u32_e32 v58, vcc, s34, v18
	v_addc_co_u32_e32 v55, vcc, v19, v0, vcc
	;; [unrolled: 3-line block ×7, first 2 shown]
	v_add_co_u32_e32 v70, vcc, v18, v4
	v_addc_co_u32_e32 v67, vcc, v19, v5, vcc
	v_add_co_u32_e32 v72, vcc, v18, v7
	v_addc_co_u32_e32 v69, vcc, v19, v6, vcc
	v_add_co_u32_e32 v74, vcc, v18, v9
	v_and_b32_e32 v2, 48, v26
	v_addc_co_u32_e32 v71, vcc, v19, v8, vcc
	s_movk_i32 s4, 0x218
	v_and_b32_e32 v1, 15, v26
	v_lshlrev_b32_e32 v3, 3, v2
	v_add_co_u32_e32 v76, vcc, v18, v11
	v_cmp_gt_u32_e64 s[2:3], 64, v79
	v_lshrrev_b32_e32 v0, 4, v79
	v_mad_u32_u24 v79, v1, s4, v3
	v_or_b32_e32 v3, 0x78, v140
	v_addc_co_u32_e32 v73, vcc, v19, v10, vcc
	v_mad_u32_u24 v146, v1, s4, v3
	v_lshlrev_b32_e32 v3, 5, v0
	v_add_co_u32_e32 v78, vcc, v18, v12
	v_mad_u32_u24 v147, v1, s4, v3
	v_mov_b32_e32 v3, 0x2180
	s_movk_i32 s4, 0x860
	v_mul_i32_i24_e32 v0, 0xffffffe8, v0
	v_add_u32_e32 v2, s22, v2
	v_addc_co_u32_e32 v75, vcc, v19, v13, vcc
	v_lshl_add_u32 v148, v77, 5, v3
	v_add3_u32 v80, v2, v1, 64
	v_add_u32_e32 v149, v147, v0
	v_add_u32_e32 v150, 0x2180, v140
	;; [unrolled: 1-line block ×3, first 2 shown]
	v_or_b32_e32 v152, 1, v141
	v_or_b32_e32 v153, 2, v141
	;; [unrolled: 1-line block ×3, first 2 shown]
	v_mad_u32_u24 v155, v77, s4, v140
	v_add_u32_e32 v156, 16, v141
	v_add_u32_e32 v157, 17, v141
	;; [unrolled: 1-line block ×12, first 2 shown]
	s_cmp_eq_u32 s23, s6
	s_cselect_b32 s18, s38, 0
	s_and_saveexec_b64 s[4:5], s[0:1]
	s_cbranch_execz .LBB96_72
.LBB96_69:
	s_cmp_eq_u32 s18, 0
	s_cselect_b64 s[8:9], -1, 0
	v_cmp_gt_i32_e32 vcc, s18, v26
	s_or_b64 s[14:15], s[8:9], vcc
	v_pk_mov_b32 v[0:1], 0, 0
	s_and_saveexec_b64 s[8:9], s[14:15]
	s_cbranch_execz .LBB96_71
; %bb.70:
	s_ashr_i32 s11, s10, 31
	s_lshl_b64 s[14:15], s[10:11], 3
	v_mov_b32_e32 v1, s15
	v_add_co_u32_e32 v0, vcc, s14, v142
	v_addc_co_u32_e32 v1, vcc, v143, v1, vcc
	global_load_dwordx2 v[0:1], v[0:1], off
.LBB96_71:
	s_or_b64 exec, exec, s[8:9]
	s_waitcnt vmcnt(0)
	ds_write_b64 v150, v[0:1]
.LBB96_72:                              ; =>This Inner Loop Header: Depth=1
	s_or_b64 exec, exec, s[4:5]
	s_cmp_eq_u32 s18, 0
	v_add_co_u32_e32 v0, vcc, v30, v32
	s_cselect_b64 s[14:15], -1, 0
	s_cmp_lg_u32 s18, 0
	v_addc_co_u32_e32 v1, vcc, v25, v33, vcc
	s_cselect_b64 s[8:9], -1, 0
	s_and_b64 vcc, exec, s[8:9]
	s_waitcnt lgkmcnt(0)
	s_barrier
	s_cbranch_vccz .LBB96_120
; %bb.73:                               ;   in Loop: Header=BB96_72 Depth=1
	v_pk_mov_b32 v[84:85], 0, 0
	v_cmp_gt_i32_e32 vcc, s18, v141
	v_pk_mov_b32 v[82:83], v[84:85], v[84:85] op_sel:[0,1]
	s_and_saveexec_b64 s[4:5], vcc
	s_cbranch_execz .LBB96_75
; %bb.74:                               ;   in Loop: Header=BB96_72 Depth=1
	global_load_dwordx2 v[82:83], v[0:1], off
.LBB96_75:                              ;   in Loop: Header=BB96_72 Depth=1
	s_or_b64 exec, exec, s[4:5]
	v_cmp_gt_i32_e32 vcc, s18, v152
	s_and_saveexec_b64 s[4:5], vcc
	s_cbranch_execz .LBB96_77
; %bb.76:                               ;   in Loop: Header=BB96_72 Depth=1
	v_add_co_u32_e32 v2, vcc, v38, v32
	v_addc_co_u32_e32 v3, vcc, v35, v33, vcc
	global_load_dwordx2 v[84:85], v[2:3], off
.LBB96_77:                              ;   in Loop: Header=BB96_72 Depth=1
	s_or_b64 exec, exec, s[4:5]
	v_pk_mov_b32 v[88:89], 0, 0
	v_cmp_gt_i32_e32 vcc, s18, v153
	v_pk_mov_b32 v[86:87], v[88:89], v[88:89] op_sel:[0,1]
	s_and_saveexec_b64 s[4:5], vcc
	s_cbranch_execz .LBB96_79
; %bb.78:                               ;   in Loop: Header=BB96_72 Depth=1
	v_add_co_u32_e32 v2, vcc, v40, v32
	v_addc_co_u32_e32 v3, vcc, v37, v33, vcc
	global_load_dwordx2 v[86:87], v[2:3], off
.LBB96_79:                              ;   in Loop: Header=BB96_72 Depth=1
	s_or_b64 exec, exec, s[4:5]
	v_cmp_gt_i32_e32 vcc, s18, v154
	s_and_saveexec_b64 s[4:5], vcc
	s_cbranch_execz .LBB96_81
; %bb.80:                               ;   in Loop: Header=BB96_72 Depth=1
	v_add_co_u32_e32 v2, vcc, v42, v32
	v_addc_co_u32_e32 v3, vcc, v39, v33, vcc
	global_load_dwordx2 v[88:89], v[2:3], off
.LBB96_81:                              ;   in Loop: Header=BB96_72 Depth=1
	s_or_b64 exec, exec, s[4:5]
	s_branch .LBB96_83
.LBB96_82:                              ;   in Loop: Header=BB96_72 Depth=1
	global_load_dwordx2 v[82:83], v[0:1], off
	v_add_co_u32_e32 v0, vcc, v38, v32
	v_addc_co_u32_e32 v1, vcc, v35, v33, vcc
	global_load_dwordx2 v[84:85], v[0:1], off
	v_add_co_u32_e32 v0, vcc, v34, v32
	v_addc_co_u32_e32 v1, vcc, v27, v33, vcc
	;; [unrolled: 3-line block ×3, first 2 shown]
	global_load_dwordx2 v[88:89], v[0:1], off
.LBB96_83:                              ;   in Loop: Header=BB96_72 Depth=1
	ds_read_b64 v[0:1], v151
	ds_read_b64 v[90:91], v148
	v_cndmask_b32_e64 v8, 0, 1, s[8:9]
	v_cmp_ne_u32_e64 s[4:5], 1, v8
	s_andn2_b64 vcc, exec, s[8:9]
	s_waitcnt vmcnt(0) lgkmcnt(1)
	v_mul_f64 v[2:3], v[82:83], v[0:1]
	v_mul_f64 v[4:5], v[84:85], v[0:1]
	ds_write_b64 v155, v[2:3]
	v_mul_f64 v[6:7], v[86:87], v[0:1]
	ds_read_b64 v[92:93], v148 offset:8
	ds_write_b64 v155, v[4:5] offset:536
	ds_read_b64 v[94:95], v148 offset:16
	ds_write_b64 v155, v[6:7] offset:1072
	v_mul_f64 v[0:1], v[88:89], v[0:1]
	ds_read_b64 v[96:97], v148 offset:24
	ds_write_b64 v155, v[0:1] offset:1608
	s_waitcnt lgkmcnt(0)
	s_barrier
	ds_read2_b64 v[4:7], v147 offset1:1
	ds_read2_b64 v[0:3], v147 offset0:2 offset1:3
	v_add_co_u32_e64 v8, s[8:9], v44, v32
	v_addc_co_u32_e64 v9, s[8:9], v41, v33, s[8:9]
	s_waitcnt lgkmcnt(0)
	s_barrier
	s_cbranch_vccnz .LBB96_121
; %bb.84:                               ;   in Loop: Header=BB96_72 Depth=1
	v_pk_mov_b32 v[100:101], 0, 0
	v_cmp_gt_i32_e32 vcc, s18, v156
	v_pk_mov_b32 v[98:99], v[100:101], v[100:101] op_sel:[0,1]
	s_and_saveexec_b64 s[8:9], vcc
	s_cbranch_execz .LBB96_86
; %bb.85:                               ;   in Loop: Header=BB96_72 Depth=1
	global_load_dwordx2 v[98:99], v[8:9], off
.LBB96_86:                              ;   in Loop: Header=BB96_72 Depth=1
	s_or_b64 exec, exec, s[8:9]
	v_cmp_gt_i32_e32 vcc, s18, v157
	s_and_saveexec_b64 s[8:9], vcc
	s_cbranch_execz .LBB96_88
; %bb.87:                               ;   in Loop: Header=BB96_72 Depth=1
	v_add_co_u32_e32 v10, vcc, v46, v32
	v_addc_co_u32_e32 v11, vcc, v43, v33, vcc
	global_load_dwordx2 v[100:101], v[10:11], off
.LBB96_88:                              ;   in Loop: Header=BB96_72 Depth=1
	s_or_b64 exec, exec, s[8:9]
	v_pk_mov_b32 v[104:105], 0, 0
	v_cmp_gt_i32_e32 vcc, s18, v158
	v_pk_mov_b32 v[102:103], v[104:105], v[104:105] op_sel:[0,1]
	s_and_saveexec_b64 s[8:9], vcc
	s_cbranch_execz .LBB96_90
; %bb.89:                               ;   in Loop: Header=BB96_72 Depth=1
	v_add_co_u32_e32 v10, vcc, v48, v32
	v_addc_co_u32_e32 v11, vcc, v45, v33, vcc
	global_load_dwordx2 v[102:103], v[10:11], off
.LBB96_90:                              ;   in Loop: Header=BB96_72 Depth=1
	s_or_b64 exec, exec, s[8:9]
	v_cmp_gt_i32_e32 vcc, s18, v159
	s_and_saveexec_b64 s[8:9], vcc
	s_cbranch_execz .LBB96_92
; %bb.91:                               ;   in Loop: Header=BB96_72 Depth=1
	v_add_co_u32_e32 v10, vcc, v50, v32
	v_addc_co_u32_e32 v11, vcc, v47, v33, vcc
	global_load_dwordx2 v[104:105], v[10:11], off
.LBB96_92:                              ;   in Loop: Header=BB96_72 Depth=1
	s_or_b64 exec, exec, s[8:9]
	s_branch .LBB96_94
.LBB96_93:                              ;   in Loop: Header=BB96_72 Depth=1
	global_load_dwordx2 v[98:99], v[8:9], off
	v_add_co_u32_e32 v8, vcc, v46, v32
	v_addc_co_u32_e32 v9, vcc, v43, v33, vcc
	global_load_dwordx2 v[100:101], v[8:9], off
	v_add_co_u32_e32 v8, vcc, v58, v32
	v_addc_co_u32_e32 v9, vcc, v55, v33, vcc
	;; [unrolled: 3-line block ×3, first 2 shown]
	global_load_dwordx2 v[104:105], v[8:9], off
.LBB96_94:                              ;   in Loop: Header=BB96_72 Depth=1
	ds_read_b64 v[8:9], v151
	ds_read_b64 v[106:107], v148 offset:128
	v_add_co_u32_e64 v16, s[8:9], v60, v32
	s_and_b64 vcc, exec, s[4:5]
	s_waitcnt vmcnt(0) lgkmcnt(1)
	v_mul_f64 v[10:11], v[98:99], v[8:9]
	v_mul_f64 v[12:13], v[100:101], v[8:9]
	ds_write_b64 v155, v[10:11]
	v_mul_f64 v[14:15], v[102:103], v[8:9]
	ds_read_b64 v[108:109], v148 offset:136
	ds_write_b64 v155, v[12:13] offset:536
	ds_read_b64 v[110:111], v148 offset:144
	ds_write_b64 v155, v[14:15] offset:1072
	v_mul_f64 v[8:9], v[104:105], v[8:9]
	ds_read_b64 v[112:113], v148 offset:152
	ds_write_b64 v155, v[8:9] offset:1608
	s_waitcnt lgkmcnt(0)
	s_barrier
	ds_read2_b64 v[12:15], v147 offset1:1
	ds_read2_b64 v[8:11], v147 offset0:2 offset1:3
	v_addc_co_u32_e64 v17, s[8:9], v57, v33, s[8:9]
	s_waitcnt lgkmcnt(0)
	s_barrier
	s_cbranch_vccnz .LBB96_122
; %bb.95:                               ;   in Loop: Header=BB96_72 Depth=1
	v_pk_mov_b32 v[116:117], 0, 0
	v_cmp_gt_i32_e32 vcc, s18, v160
	v_pk_mov_b32 v[114:115], v[116:117], v[116:117] op_sel:[0,1]
	s_and_saveexec_b64 s[8:9], vcc
	s_cbranch_execz .LBB96_97
; %bb.96:                               ;   in Loop: Header=BB96_72 Depth=1
	global_load_dwordx2 v[114:115], v[16:17], off
.LBB96_97:                              ;   in Loop: Header=BB96_72 Depth=1
	s_or_b64 exec, exec, s[8:9]
	v_cmp_gt_i32_e32 vcc, s18, v161
	s_and_saveexec_b64 s[8:9], vcc
	s_cbranch_execz .LBB96_99
; %bb.98:                               ;   in Loop: Header=BB96_72 Depth=1
	v_add_co_u32_e32 v18, vcc, v62, v32
	v_addc_co_u32_e32 v19, vcc, v59, v33, vcc
	global_load_dwordx2 v[116:117], v[18:19], off
.LBB96_99:                              ;   in Loop: Header=BB96_72 Depth=1
	s_or_b64 exec, exec, s[8:9]
	v_pk_mov_b32 v[120:121], 0, 0
	v_cmp_gt_i32_e32 vcc, s18, v162
	v_pk_mov_b32 v[118:119], v[120:121], v[120:121] op_sel:[0,1]
	s_and_saveexec_b64 s[8:9], vcc
	s_cbranch_execz .LBB96_101
; %bb.100:                              ;   in Loop: Header=BB96_72 Depth=1
	v_add_co_u32_e32 v18, vcc, v64, v32
	v_addc_co_u32_e32 v19, vcc, v61, v33, vcc
	global_load_dwordx2 v[118:119], v[18:19], off
.LBB96_101:                             ;   in Loop: Header=BB96_72 Depth=1
	s_or_b64 exec, exec, s[8:9]
	v_cmp_gt_i32_e32 vcc, s18, v163
	s_and_saveexec_b64 s[8:9], vcc
	s_cbranch_execz .LBB96_103
; %bb.102:                              ;   in Loop: Header=BB96_72 Depth=1
	v_add_co_u32_e32 v18, vcc, v66, v32
	v_addc_co_u32_e32 v19, vcc, v63, v33, vcc
	global_load_dwordx2 v[120:121], v[18:19], off
.LBB96_103:                             ;   in Loop: Header=BB96_72 Depth=1
	s_or_b64 exec, exec, s[8:9]
	s_branch .LBB96_105
.LBB96_104:                             ;   in Loop: Header=BB96_72 Depth=1
	global_load_dwordx2 v[114:115], v[16:17], off
	v_add_co_u32_e32 v16, vcc, v62, v32
	v_addc_co_u32_e32 v17, vcc, v59, v33, vcc
	global_load_dwordx2 v[116:117], v[16:17], off
	v_add_co_u32_e32 v16, vcc, v68, v32
	v_addc_co_u32_e32 v17, vcc, v65, v33, vcc
	;; [unrolled: 3-line block ×3, first 2 shown]
	global_load_dwordx2 v[120:121], v[16:17], off
.LBB96_105:                             ;   in Loop: Header=BB96_72 Depth=1
	ds_read_b64 v[16:17], v151
	ds_read_b64 v[122:123], v148 offset:256
	s_and_b64 vcc, exec, s[4:5]
	v_add_co_u32_e64 v138, s[4:5], v54, v144
	s_waitcnt vmcnt(0) lgkmcnt(1)
	v_mul_f64 v[18:19], v[114:115], v[16:17]
	v_mul_f64 v[20:21], v[116:117], v[16:17]
	ds_write_b64 v155, v[18:19]
	v_mul_f64 v[22:23], v[118:119], v[16:17]
	ds_read_b64 v[124:125], v148 offset:264
	ds_write_b64 v155, v[20:21] offset:536
	ds_read_b64 v[126:127], v148 offset:272
	ds_write_b64 v155, v[22:23] offset:1072
	v_mul_f64 v[16:17], v[120:121], v[16:17]
	ds_read_b64 v[128:129], v148 offset:280
	ds_write_b64 v155, v[16:17] offset:1608
	s_waitcnt lgkmcnt(0)
	s_barrier
	ds_read2_b64 v[20:23], v147 offset1:1
	ds_read2_b64 v[16:19], v147 offset0:2 offset1:3
	v_addc_co_u32_e64 v139, s[4:5], v51, v145, s[4:5]
	s_waitcnt lgkmcnt(0)
	s_barrier
	s_cbranch_vccnz .LBB96_123
; %bb.106:                              ;   in Loop: Header=BB96_72 Depth=1
	v_pk_mov_b32 v[132:133], 0, 0
	v_cmp_gt_i32_e32 vcc, s18, v164
	v_pk_mov_b32 v[130:131], v[132:133], v[132:133] op_sel:[0,1]
	s_and_saveexec_b64 s[4:5], vcc
	s_cbranch_execz .LBB96_108
; %bb.107:                              ;   in Loop: Header=BB96_72 Depth=1
	global_load_dwordx2 v[130:131], v[138:139], off
.LBB96_108:                             ;   in Loop: Header=BB96_72 Depth=1
	s_or_b64 exec, exec, s[4:5]
	v_cmp_gt_i32_e32 vcc, s18, v165
	s_and_saveexec_b64 s[4:5], vcc
	s_cbranch_execz .LBB96_110
; %bb.109:                              ;   in Loop: Header=BB96_72 Depth=1
	v_add_co_u32_e32 v132, vcc, v72, v144
	v_addc_co_u32_e32 v133, vcc, v69, v145, vcc
	global_load_dwordx2 v[132:133], v[132:133], off
.LBB96_110:                             ;   in Loop: Header=BB96_72 Depth=1
	s_or_b64 exec, exec, s[4:5]
	v_pk_mov_b32 v[136:137], 0, 0
	v_cmp_gt_i32_e32 vcc, s18, v166
	v_pk_mov_b32 v[134:135], v[136:137], v[136:137] op_sel:[0,1]
	s_and_saveexec_b64 s[4:5], vcc
	s_cbranch_execz .LBB96_112
; %bb.111:                              ;   in Loop: Header=BB96_72 Depth=1
	v_add_co_u32_e32 v134, vcc, v74, v144
	v_addc_co_u32_e32 v135, vcc, v71, v145, vcc
	global_load_dwordx2 v[134:135], v[134:135], off
.LBB96_112:                             ;   in Loop: Header=BB96_72 Depth=1
	s_or_b64 exec, exec, s[4:5]
	v_cmp_gt_i32_e32 vcc, s18, v167
	s_and_saveexec_b64 s[4:5], vcc
	s_cbranch_execz .LBB96_114
; %bb.113:                              ;   in Loop: Header=BB96_72 Depth=1
	v_add_co_u32_e32 v136, vcc, v76, v144
	v_addc_co_u32_e32 v137, vcc, v73, v145, vcc
	global_load_dwordx2 v[136:137], v[136:137], off
.LBB96_114:                             ;   in Loop: Header=BB96_72 Depth=1
	s_or_b64 exec, exec, s[4:5]
	s_branch .LBB96_116
.LBB96_115:                             ;   in Loop: Header=BB96_72 Depth=1
	s_waitcnt vmcnt(0)
	v_add_co_u32_e32 v132, vcc, v72, v144
	v_addc_co_u32_e32 v133, vcc, v69, v145, vcc
	v_add_co_u32_e32 v134, vcc, v78, v144
	v_addc_co_u32_e32 v135, vcc, v75, v145, vcc
	;; [unrolled: 2-line block ×3, first 2 shown]
	global_load_dwordx2 v[130:131], v[138:139], off
	s_nop 0
	global_load_dwordx2 v[132:133], v[132:133], off
	s_nop 0
	;; [unrolled: 2-line block ×3, first 2 shown]
	global_load_dwordx2 v[136:137], v[136:137], off
.LBB96_116:                             ;   in Loop: Header=BB96_72 Depth=1
	v_add_f64 v[12:13], v[12:13], 0
	v_add_f64 v[12:13], v[12:13], v[14:15]
	ds_read_b64 v[14:15], v151
	v_add_f64 v[20:21], v[20:21], 0
	v_add_f64 v[20:21], v[20:21], v[22:23]
	;; [unrolled: 1-line block ×7, first 2 shown]
	ds_read_b64 v[4:5], v148 offset:384
	s_waitcnt vmcnt(0) lgkmcnt(1)
	v_mul_f64 v[8:9], v[130:131], v[14:15]
	ds_write_b64 v155, v[8:9]
	v_mul_f64 v[10:11], v[132:133], v[14:15]
	ds_read_b64 v[8:9], v148 offset:392
	ds_write_b64 v155, v[10:11] offset:536
	v_mul_f64 v[12:13], v[134:135], v[14:15]
	ds_read_b64 v[10:11], v148 offset:400
	ds_write_b64 v155, v[12:13] offset:1072
	;; [unrolled: 3-line block ×3, first 2 shown]
	s_waitcnt lgkmcnt(0)
	s_barrier
	ds_read2_b64 v[14:17], v147 offset1:1
	v_add_f64 v[6:7], v[18:19], v[6:7]
	ds_read2_b64 v[18:21], v147 offset0:2 offset1:3
	v_add_f64 v[0:1], v[6:7], v[0:1]
	v_add_f64 v[0:1], v[0:1], v[2:3]
	s_waitcnt lgkmcnt(1)
	v_add_f64 v[2:3], v[14:15], 0
	v_cmp_gt_i32_e32 vcc, s18, v26
	v_add_f64 v[2:3], v[2:3], v[16:17]
	s_or_b64 s[4:5], s[14:15], vcc
	s_waitcnt lgkmcnt(0)
	v_add_f64 v[2:3], v[2:3], v[18:19]
	s_and_b64 s[8:9], s[2:3], s[4:5]
	v_add_f64 v[2:3], v[2:3], v[20:21]
	s_barrier
	ds_write2_b64 v149, v[0:1], v[138:139] offset1:16
	ds_write2_b64 v149, v[22:23], v[2:3] offset0:32 offset1:48
	s_waitcnt lgkmcnt(0)
	s_barrier
	s_and_saveexec_b64 s[4:5], s[8:9]
	s_cbranch_execz .LBB96_118
; %bb.117:                              ;   in Loop: Header=BB96_72 Depth=1
	ds_read2_b64 v[0:3], v79 offset1:1
	ds_read2_b64 v[14:17], v79 offset0:2 offset1:3
	ds_read2_b64 v[18:21], v79 offset0:4 offset1:5
	;; [unrolled: 1-line block ×3, first 2 shown]
	v_ashrrev_i32_e32 v81, 31, v80
	s_waitcnt lgkmcnt(3)
	v_add_f64 v[0:1], v[0:1], v[2:3]
	s_waitcnt lgkmcnt(2)
	v_add_f64 v[0:1], v[0:1], v[14:15]
	v_add_f64 v[0:1], v[0:1], v[16:17]
	s_waitcnt lgkmcnt(1)
	v_add_f64 v[6:7], v[0:1], v[18:19]
	ds_read2_b64 v[0:3], v79 offset0:8 offset1:9
	ds_read2_b64 v[14:17], v79 offset0:10 offset1:11
	v_add_f64 v[6:7], v[6:7], v[20:21]
	s_waitcnt lgkmcnt(2)
	v_add_f64 v[6:7], v[6:7], v[168:169]
	v_add_f64 v[6:7], v[6:7], v[170:171]
	s_waitcnt lgkmcnt(1)
	v_add_f64 v[0:1], v[6:7], v[0:1]
	v_add_f64 v[6:7], v[0:1], v[2:3]
	ds_read2_b64 v[0:3], v79 offset0:12 offset1:13
	s_waitcnt lgkmcnt(1)
	v_add_f64 v[6:7], v[6:7], v[14:15]
	ds_read_b64 v[14:15], v79 offset:112
	ds_read_b64 v[18:19], v146
	v_add_f64 v[6:7], v[6:7], v[16:17]
	s_waitcnt lgkmcnt(2)
	v_add_f64 v[0:1], v[6:7], v[0:1]
	v_add_f64 v[0:1], v[0:1], v[2:3]
	v_lshlrev_b64 v[2:3], 3, v[80:81]
	s_waitcnt lgkmcnt(1)
	v_add_f64 v[0:1], v[0:1], v[14:15]
	v_mov_b32_e32 v6, s17
	v_add_co_u32_e32 v2, vcc, s7, v2
	s_waitcnt lgkmcnt(0)
	v_add_f64 v[0:1], v[0:1], v[18:19]
	v_addc_co_u32_e32 v3, vcc, v6, v3, vcc
	global_store_dwordx2 v[2:3], v[0:1], off
.LBB96_118:                             ;   in Loop: Header=BB96_72 Depth=1
	s_or_b64 exec, exec, s[4:5]
	v_mov_b32_e32 v0, s13
	v_add_co_u32_e32 v30, vcc, s12, v30
	v_addc_co_u32_e32 v25, vcc, v25, v0, vcc
	v_add_co_u32_e32 v34, vcc, s12, v34
	v_addc_co_u32_e32 v27, vcc, v27, v0, vcc
	;; [unrolled: 2-line block ×16, first 2 shown]
	v_fmac_f64_e32 v[28:29], v[82:83], v[90:91]
	v_add_co_u32_e32 v68, vcc, s12, v68
	v_fmac_f64_e32 v[28:29], v[84:85], v[92:93]
	v_addc_co_u32_e32 v65, vcc, v65, v0, vcc
	v_fmac_f64_e32 v[28:29], v[86:87], v[94:95]
	v_add_co_u32_e32 v70, vcc, s12, v70
	v_fmac_f64_e32 v[28:29], v[88:89], v[96:97]
	v_addc_co_u32_e32 v67, vcc, v67, v0, vcc
	;; [unrolled: 4-line block ×7, first 2 shown]
	v_fmac_f64_e32 v[28:29], v[134:135], v[10:11]
	s_add_i32 s4, s6, 1
	s_add_i32 s10, s10, s30
	;; [unrolled: 1-line block ×3, first 2 shown]
	v_add_co_u32_e32 v56, vcc, s12, v56
	v_fmac_f64_e32 v[28:29], v[136:137], v[12:13]
	v_add_u32_e32 v80, 64, v80
	s_cmp_ge_u32 s5, s33
	v_addc_co_u32_e32 v53, vcc, v53, v0, vcc
	s_barrier
	s_cbranch_scc1 .LBB96_124
; %bb.119:                              ;   in Loop: Header=BB96_72 Depth=1
	s_mov_b32 s6, s4
	s_cmp_eq_u32 s23, s6
	s_cselect_b32 s18, s38, 0
	s_and_saveexec_b64 s[4:5], s[0:1]
	s_cbranch_execnz .LBB96_69
	s_branch .LBB96_72
.LBB96_120:                             ;   in Loop: Header=BB96_72 Depth=1
                                        ; implicit-def: $vgpr88_vgpr89
                                        ; implicit-def: $vgpr86_vgpr87
                                        ; implicit-def: $vgpr84_vgpr85
                                        ; implicit-def: $vgpr82_vgpr83
	s_cbranch_execnz .LBB96_82
	s_branch .LBB96_83
.LBB96_121:                             ;   in Loop: Header=BB96_72 Depth=1
                                        ; implicit-def: $vgpr104_vgpr105
                                        ; implicit-def: $vgpr102_vgpr103
                                        ; implicit-def: $vgpr100_vgpr101
                                        ; implicit-def: $vgpr98_vgpr99
	s_cbranch_execnz .LBB96_93
	s_branch .LBB96_94
.LBB96_122:                             ;   in Loop: Header=BB96_72 Depth=1
                                        ; implicit-def: $vgpr120_vgpr121
                                        ; implicit-def: $vgpr118_vgpr119
                                        ; implicit-def: $vgpr116_vgpr117
                                        ; implicit-def: $vgpr114_vgpr115
	s_cbranch_execnz .LBB96_104
	s_branch .LBB96_105
.LBB96_123:                             ;   in Loop: Header=BB96_72 Depth=1
                                        ; implicit-def: $vgpr136_vgpr137
                                        ; implicit-def: $vgpr134_vgpr135
                                        ; implicit-def: $vgpr132_vgpr133
                                        ; implicit-def: $vgpr130_vgpr131
	s_cbranch_execnz .LBB96_115
	s_branch .LBB96_116
.LBB96_124:
	s_movk_i32 s2, 0x218
	v_cmp_gt_i32_e32 vcc, s16, v26
	v_mad_u32_u24 v0, v77, s2, v140
	s_or_b64 s[2:3], s[20:21], vcc
	s_and_b64 s[0:1], s[0:1], s[2:3]
	ds_write_b64 v0, v[28:29]
	s_waitcnt lgkmcnt(0)
	s_barrier
	s_and_saveexec_b64 s[2:3], s[0:1]
	s_cbranch_execz .LBB96_126
; %bb.125:
	ds_read2_b64 v[0:3], v140 offset1:67
	ds_read2_b64 v[4:7], v140 offset0:134 offset1:201
	v_ashrrev_i32_e32 v25, 31, v24
	v_lshlrev_b64 v[8:9], 3, v[24:25]
	v_mov_b32_e32 v10, s17
	s_waitcnt lgkmcnt(1)
	v_add_f64 v[0:1], v[0:1], v[2:3]
	s_waitcnt lgkmcnt(0)
	v_add_f64 v[0:1], v[0:1], v[4:5]
	v_add_co_u32_e32 v2, vcc, s7, v8
	v_add_f64 v[0:1], v[0:1], v[6:7]
	v_addc_co_u32_e32 v3, vcc, v10, v9, vcc
	global_store_dwordx2 v[2:3], v[0:1], off
.LBB96_126:
	s_endpgm
	.section	.rodata,"a",@progbits
	.p2align	6, 0x0
	.amdhsa_kernel _ZL26rocblas_hemvn_kernel_upperILb0ELi64ELi4ELi33ELi32ELi16EiPKdS1_PdEviT6_lT7_lT5_lS4_lS5_lS3_lT8_i
		.amdhsa_group_segment_fixed_size 9600
		.amdhsa_private_segment_fixed_size 0
		.amdhsa_kernarg_size 376
		.amdhsa_user_sgpr_count 6
		.amdhsa_user_sgpr_private_segment_buffer 1
		.amdhsa_user_sgpr_dispatch_ptr 0
		.amdhsa_user_sgpr_queue_ptr 0
		.amdhsa_user_sgpr_kernarg_segment_ptr 1
		.amdhsa_user_sgpr_dispatch_id 0
		.amdhsa_user_sgpr_flat_scratch_init 0
		.amdhsa_user_sgpr_kernarg_preload_length 0
		.amdhsa_user_sgpr_kernarg_preload_offset 0
		.amdhsa_user_sgpr_private_segment_size 0
		.amdhsa_uses_dynamic_stack 0
		.amdhsa_system_sgpr_private_segment_wavefront_offset 0
		.amdhsa_system_sgpr_workgroup_id_x 1
		.amdhsa_system_sgpr_workgroup_id_y 0
		.amdhsa_system_sgpr_workgroup_id_z 1
		.amdhsa_system_sgpr_workgroup_info 0
		.amdhsa_system_vgpr_workitem_id 1
		.amdhsa_next_free_vgpr 172
		.amdhsa_next_free_sgpr 47
		.amdhsa_accum_offset 172
		.amdhsa_reserve_vcc 1
		.amdhsa_reserve_flat_scratch 0
		.amdhsa_float_round_mode_32 0
		.amdhsa_float_round_mode_16_64 0
		.amdhsa_float_denorm_mode_32 3
		.amdhsa_float_denorm_mode_16_64 3
		.amdhsa_dx10_clamp 1
		.amdhsa_ieee_mode 1
		.amdhsa_fp16_overflow 0
		.amdhsa_tg_split 0
		.amdhsa_exception_fp_ieee_invalid_op 0
		.amdhsa_exception_fp_denorm_src 0
		.amdhsa_exception_fp_ieee_div_zero 0
		.amdhsa_exception_fp_ieee_overflow 0
		.amdhsa_exception_fp_ieee_underflow 0
		.amdhsa_exception_fp_ieee_inexact 0
		.amdhsa_exception_int_div_zero 0
	.end_amdhsa_kernel
	.section	.text._ZL26rocblas_hemvn_kernel_upperILb0ELi64ELi4ELi33ELi32ELi16EiPKdS1_PdEviT6_lT7_lT5_lS4_lS5_lS3_lT8_i,"axG",@progbits,_ZL26rocblas_hemvn_kernel_upperILb0ELi64ELi4ELi33ELi32ELi16EiPKdS1_PdEviT6_lT7_lT5_lS4_lS5_lS3_lT8_i,comdat
.Lfunc_end96:
	.size	_ZL26rocblas_hemvn_kernel_upperILb0ELi64ELi4ELi33ELi32ELi16EiPKdS1_PdEviT6_lT7_lT5_lS4_lS5_lS3_lT8_i, .Lfunc_end96-_ZL26rocblas_hemvn_kernel_upperILb0ELi64ELi4ELi33ELi32ELi16EiPKdS1_PdEviT6_lT7_lT5_lS4_lS5_lS3_lT8_i
                                        ; -- End function
	.section	.AMDGPU.csdata,"",@progbits
; Kernel info:
; codeLenInByte = 7340
; NumSgprs: 51
; NumVgprs: 172
; NumAgprs: 0
; TotalNumVgprs: 172
; ScratchSize: 0
; MemoryBound: 0
; FloatMode: 240
; IeeeMode: 1
; LDSByteSize: 9600 bytes/workgroup (compile time only)
; SGPRBlocks: 6
; VGPRBlocks: 21
; NumSGPRsForWavesPerEU: 51
; NumVGPRsForWavesPerEU: 172
; AccumOffset: 172
; Occupancy: 2
; WaveLimiterHint : 1
; COMPUTE_PGM_RSRC2:SCRATCH_EN: 0
; COMPUTE_PGM_RSRC2:USER_SGPR: 6
; COMPUTE_PGM_RSRC2:TRAP_HANDLER: 0
; COMPUTE_PGM_RSRC2:TGID_X_EN: 1
; COMPUTE_PGM_RSRC2:TGID_Y_EN: 0
; COMPUTE_PGM_RSRC2:TGID_Z_EN: 1
; COMPUTE_PGM_RSRC2:TIDIG_COMP_CNT: 1
; COMPUTE_PGM_RSRC3_GFX90A:ACCUM_OFFSET: 42
; COMPUTE_PGM_RSRC3_GFX90A:TG_SPLIT: 0
	.section	.text._ZL36rocblas_hemvn_kernel_upper_block_sumILi64EiPKdPddEviT1_lS3_lT2_lT0_lPT3_i,"axG",@progbits,_ZL36rocblas_hemvn_kernel_upper_block_sumILi64EiPKdPddEviT1_lS3_lT2_lT0_lPT3_i,comdat
	.globl	_ZL36rocblas_hemvn_kernel_upper_block_sumILi64EiPKdPddEviT1_lS3_lT2_lT0_lPT3_i ; -- Begin function _ZL36rocblas_hemvn_kernel_upper_block_sumILi64EiPKdPddEviT1_lS3_lT2_lT0_lPT3_i
	.p2align	8
	.type	_ZL36rocblas_hemvn_kernel_upper_block_sumILi64EiPKdPddEviT1_lS3_lT2_lT0_lPT3_i,@function
_ZL36rocblas_hemvn_kernel_upper_block_sumILi64EiPKdPddEviT1_lS3_lT2_lT0_lPT3_i: ; @_ZL36rocblas_hemvn_kernel_upper_block_sumILi64EiPKdPddEviT1_lS3_lT2_lT0_lPT3_i
; %bb.0:
	s_load_dwordx8 s[8:15], s[4:5], 0x8
	s_waitcnt lgkmcnt(0)
	s_mul_i32 s0, s7, s11
	s_mul_hi_u32 s1, s7, s10
	s_add_i32 s1, s1, s0
	s_mul_i32 s0, s7, s10
	s_lshl_b64 s[0:1], s[0:1], 3
	s_add_u32 s0, s8, s0
	s_addc_u32 s1, s9, s1
	s_load_dwordx2 s[8:9], s[0:1], 0x0
	s_mul_i32 s0, s7, s15
	s_mul_hi_u32 s1, s7, s14
	s_add_i32 s1, s1, s0
	s_mul_i32 s0, s7, s14
	s_lshl_b64 s[0:1], s[0:1], 3
	s_add_u32 s0, s12, s0
	s_addc_u32 s1, s13, s1
	s_load_dwordx2 s[10:11], s[0:1], 0x0
	s_waitcnt lgkmcnt(0)
	v_cmp_eq_f64_e64 s[0:1], s[8:9], 0
	v_cmp_eq_f64_e64 s[2:3], s[10:11], 1.0
	s_and_b64 s[0:1], s[0:1], s[2:3]
	s_and_b64 vcc, exec, s[0:1]
	s_cbranch_vccnz .LBB97_19
; %bb.1:
	s_load_dwordx4 s[0:3], s[4:5], 0x40
	s_load_dword s22, s[4:5], 0x38
	s_load_dwordx4 s[16:19], s[4:5], 0x28
	s_load_dword s14, s[4:5], 0x0
	v_lshl_or_b32 v0, s6, 6, v0
	s_waitcnt lgkmcnt(0)
	s_mul_i32 s1, s7, s1
	s_mul_hi_u32 s12, s7, s0
	s_add_i32 s1, s12, s1
	s_mul_i32 s0, s7, s0
	s_lshl_b64 s[0:1], s[0:1], 3
	s_add_u32 s12, s16, s0
	s_addc_u32 s13, s17, s1
	s_lshl_b64 s[0:1], s[18:19], 3
	s_add_u32 s20, s12, s0
	s_addc_u32 s21, s13, s1
	v_cmp_neq_f64_e64 s[0:1], s[8:9], 0
	s_mov_b64 s[12:13], 0
	s_and_b64 vcc, exec, s[0:1]
	v_cmp_gt_i32_e64 s[0:1], s14, v0
	s_cbranch_vccnz .LBB97_6
; %bb.2:
	s_mov_b64 s[16:17], 0
                                        ; implicit-def: $vgpr4_vgpr5
                                        ; implicit-def: $vgpr2_vgpr3
	s_and_saveexec_b64 s[18:19], s[0:1]
	s_cbranch_execz .LBB97_7
; %bb.3:
	v_cmp_eq_f64_e64 s[0:1], s[10:11], 0
	v_mul_lo_u32 v2, v0, s22
	v_pk_mov_b32 v[4:5], 0, 0
	v_ashrrev_i32_e32 v3, 31, v2
	s_and_b64 vcc, exec, s[0:1]
	s_cbranch_vccnz .LBB97_5
; %bb.4:
	v_lshlrev_b64 v[4:5], 3, v[2:3]
	v_mov_b32_e32 v1, s21
	v_add_co_u32_e32 v4, vcc, s20, v4
	v_addc_co_u32_e32 v5, vcc, v1, v5, vcc
	global_load_dwordx2 v[4:5], v[4:5], off
	s_waitcnt vmcnt(0)
	v_mul_f64 v[4:5], s[10:11], v[4:5]
.LBB97_5:
	s_mov_b64 s[12:13], exec
	s_or_b64 exec, exec, s[18:19]
	s_and_b64 vcc, exec, s[16:17]
	s_cbranch_vccnz .LBB97_8
	s_branch .LBB97_17
.LBB97_6:
                                        ; implicit-def: $vgpr4_vgpr5
                                        ; implicit-def: $vgpr2_vgpr3
	s_cbranch_execnz .LBB97_8
	s_branch .LBB97_17
.LBB97_7:
	s_or_b64 exec, exec, s[18:19]
	s_and_b64 vcc, exec, s[16:17]
	s_cbranch_vccz .LBB97_17
.LBB97_8:
	v_cmp_gt_i32_e32 vcc, s14, v0
                                        ; implicit-def: $vgpr4_vgpr5
                                        ; implicit-def: $vgpr2_vgpr3
	s_and_saveexec_b64 s[0:1], vcc
	s_cbranch_execz .LBB97_16
; %bb.9:
	s_cmp_lt_i32 s6, 0
	v_pk_mov_b32 v[6:7], 0, 0
	s_cbranch_scc1 .LBB97_12
; %bb.10:
	s_load_dword s4, s[4:5], 0x58
	s_ashr_i32 s15, s14, 31
	s_mul_hi_u32 s5, s14, s7
	s_mul_i32 s16, s15, s7
	s_add_i32 s5, s5, s16
	s_mul_i32 s7, s14, s7
	s_waitcnt lgkmcnt(0)
	s_mul_i32 s5, s5, s4
	s_mul_hi_u32 s16, s7, s4
	s_add_i32 s5, s16, s5
	s_mul_i32 s4, s7, s4
	s_lshl_b64 s[4:5], s[4:5], 3
	s_add_u32 s2, s2, s4
	v_mov_b32_e32 v1, 0
	s_addc_u32 s3, s3, s5
	v_lshlrev_b64 v[2:3], 3, v[0:1]
	v_mov_b32_e32 v1, s3
	v_add_co_u32_e32 v2, vcc, s2, v2
	s_lshl_b64 s[2:3], s[14:15], 3
	v_addc_co_u32_e32 v3, vcc, v1, v3, vcc
	s_add_i32 s4, s6, 1
	v_pk_mov_b32 v[6:7], 0, 0
	v_mov_b32_e32 v1, s3
.LBB97_11:                              ; =>This Inner Loop Header: Depth=1
	global_load_dwordx2 v[4:5], v[2:3], off
	s_add_i32 s4, s4, -1
	v_add_co_u32_e32 v2, vcc, s2, v2
	v_addc_co_u32_e32 v3, vcc, v3, v1, vcc
	s_cmp_eq_u32 s4, 0
	s_waitcnt vmcnt(0)
	v_add_f64 v[6:7], v[6:7], v[4:5]
	s_cbranch_scc0 .LBB97_11
.LBB97_12:
	v_cmp_eq_f64_e64 s[4:5], s[10:11], 0
	v_mul_lo_u32 v2, v0, s22
	s_mov_b64 s[2:3], 0
	s_and_b64 vcc, exec, s[4:5]
	v_ashrrev_i32_e32 v3, 31, v2
	s_cbranch_vccz .LBB97_20
; %bb.13:
	v_mul_f64 v[4:5], s[8:9], v[6:7]
	s_andn2_b64 vcc, exec, s[2:3]
	s_cbranch_vccnz .LBB97_15
.LBB97_14:
	v_lshlrev_b64 v[0:1], 3, v[2:3]
	v_mov_b32_e32 v4, s21
	v_add_co_u32_e32 v0, vcc, s20, v0
	v_addc_co_u32_e32 v1, vcc, v4, v1, vcc
	global_load_dwordx2 v[0:1], v[0:1], off
	s_waitcnt vmcnt(0)
	v_mul_f64 v[4:5], s[10:11], v[0:1]
	v_fmac_f64_e32 v[4:5], s[8:9], v[6:7]
.LBB97_15:
	s_or_b64 s[12:13], s[12:13], exec
.LBB97_16:
	s_or_b64 exec, exec, s[0:1]
.LBB97_17:
	s_and_saveexec_b64 s[0:1], s[12:13]
	s_cbranch_execz .LBB97_19
; %bb.18:
	v_lshlrev_b64 v[0:1], 3, v[2:3]
	v_mov_b32_e32 v2, s21
	v_add_co_u32_e32 v0, vcc, s20, v0
	v_addc_co_u32_e32 v1, vcc, v2, v1, vcc
	global_store_dwordx2 v[0:1], v[4:5], off
.LBB97_19:
	s_endpgm
.LBB97_20:
                                        ; implicit-def: $vgpr4_vgpr5
	s_branch .LBB97_14
	.section	.rodata,"a",@progbits
	.p2align	6, 0x0
	.amdhsa_kernel _ZL36rocblas_hemvn_kernel_upper_block_sumILi64EiPKdPddEviT1_lS3_lT2_lT0_lPT3_i
		.amdhsa_group_segment_fixed_size 0
		.amdhsa_private_segment_fixed_size 0
		.amdhsa_kernarg_size 344
		.amdhsa_user_sgpr_count 6
		.amdhsa_user_sgpr_private_segment_buffer 1
		.amdhsa_user_sgpr_dispatch_ptr 0
		.amdhsa_user_sgpr_queue_ptr 0
		.amdhsa_user_sgpr_kernarg_segment_ptr 1
		.amdhsa_user_sgpr_dispatch_id 0
		.amdhsa_user_sgpr_flat_scratch_init 0
		.amdhsa_user_sgpr_kernarg_preload_length 0
		.amdhsa_user_sgpr_kernarg_preload_offset 0
		.amdhsa_user_sgpr_private_segment_size 0
		.amdhsa_uses_dynamic_stack 0
		.amdhsa_system_sgpr_private_segment_wavefront_offset 0
		.amdhsa_system_sgpr_workgroup_id_x 1
		.amdhsa_system_sgpr_workgroup_id_y 0
		.amdhsa_system_sgpr_workgroup_id_z 1
		.amdhsa_system_sgpr_workgroup_info 0
		.amdhsa_system_vgpr_workitem_id 0
		.amdhsa_next_free_vgpr 8
		.amdhsa_next_free_sgpr 23
		.amdhsa_accum_offset 8
		.amdhsa_reserve_vcc 1
		.amdhsa_reserve_flat_scratch 0
		.amdhsa_float_round_mode_32 0
		.amdhsa_float_round_mode_16_64 0
		.amdhsa_float_denorm_mode_32 3
		.amdhsa_float_denorm_mode_16_64 3
		.amdhsa_dx10_clamp 1
		.amdhsa_ieee_mode 1
		.amdhsa_fp16_overflow 0
		.amdhsa_tg_split 0
		.amdhsa_exception_fp_ieee_invalid_op 0
		.amdhsa_exception_fp_denorm_src 0
		.amdhsa_exception_fp_ieee_div_zero 0
		.amdhsa_exception_fp_ieee_overflow 0
		.amdhsa_exception_fp_ieee_underflow 0
		.amdhsa_exception_fp_ieee_inexact 0
		.amdhsa_exception_int_div_zero 0
	.end_amdhsa_kernel
	.section	.text._ZL36rocblas_hemvn_kernel_upper_block_sumILi64EiPKdPddEviT1_lS3_lT2_lT0_lPT3_i,"axG",@progbits,_ZL36rocblas_hemvn_kernel_upper_block_sumILi64EiPKdPddEviT1_lS3_lT2_lT0_lPT3_i,comdat
.Lfunc_end97:
	.size	_ZL36rocblas_hemvn_kernel_upper_block_sumILi64EiPKdPddEviT1_lS3_lT2_lT0_lPT3_i, .Lfunc_end97-_ZL36rocblas_hemvn_kernel_upper_block_sumILi64EiPKdPddEviT1_lS3_lT2_lT0_lPT3_i
                                        ; -- End function
	.section	.AMDGPU.csdata,"",@progbits
; Kernel info:
; codeLenInByte = 672
; NumSgprs: 27
; NumVgprs: 8
; NumAgprs: 0
; TotalNumVgprs: 8
; ScratchSize: 0
; MemoryBound: 0
; FloatMode: 240
; IeeeMode: 1
; LDSByteSize: 0 bytes/workgroup (compile time only)
; SGPRBlocks: 3
; VGPRBlocks: 0
; NumSGPRsForWavesPerEU: 27
; NumVGPRsForWavesPerEU: 8
; AccumOffset: 8
; Occupancy: 8
; WaveLimiterHint : 0
; COMPUTE_PGM_RSRC2:SCRATCH_EN: 0
; COMPUTE_PGM_RSRC2:USER_SGPR: 6
; COMPUTE_PGM_RSRC2:TRAP_HANDLER: 0
; COMPUTE_PGM_RSRC2:TGID_X_EN: 1
; COMPUTE_PGM_RSRC2:TGID_Y_EN: 0
; COMPUTE_PGM_RSRC2:TGID_Z_EN: 1
; COMPUTE_PGM_RSRC2:TIDIG_COMP_CNT: 0
; COMPUTE_PGM_RSRC3_GFX90A:ACCUM_OFFSET: 1
; COMPUTE_PGM_RSRC3_GFX90A:TG_SPLIT: 0
	.section	.text._ZL26rocblas_hemvn_kernel_upperILb0ELi64ELi4ELi33ELi32ELi16EldPKdPdEviT6_lT7_lT5_lS4_lS5_lS3_lT8_i,"axG",@progbits,_ZL26rocblas_hemvn_kernel_upperILb0ELi64ELi4ELi33ELi32ELi16EldPKdPdEviT6_lT7_lT5_lS4_lS5_lS3_lT8_i,comdat
	.globl	_ZL26rocblas_hemvn_kernel_upperILb0ELi64ELi4ELi33ELi32ELi16EldPKdPdEviT6_lT7_lT5_lS4_lS5_lS3_lT8_i ; -- Begin function _ZL26rocblas_hemvn_kernel_upperILb0ELi64ELi4ELi33ELi32ELi16EldPKdPdEviT6_lT7_lT5_lS4_lS5_lS3_lT8_i
	.p2align	8
	.type	_ZL26rocblas_hemvn_kernel_upperILb0ELi64ELi4ELi33ELi32ELi16EldPKdPdEviT6_lT7_lT5_lS4_lS5_lS3_lT8_i,@function
_ZL26rocblas_hemvn_kernel_upperILb0ELi64ELi4ELi33ELi32ELi16EldPKdPdEviT6_lT7_lT5_lS4_lS5_lS3_lT8_i: ; @_ZL26rocblas_hemvn_kernel_upperILb0ELi64ELi4ELi33ELi32ELi16EldPKdPdEviT6_lT7_lT5_lS4_lS5_lS3_lT8_i
; %bb.0:
	s_load_dwordx2 s[2:3], s[4:5], 0x84
	s_add_u32 s0, s4, 0x78
	s_addc_u32 s1, s5, 0
	s_waitcnt lgkmcnt(0)
	s_lshr_b32 s8, s2, 16
	s_and_b32 s2, s2, 0xffff
	s_and_b32 s3, s3, 0xffff
	s_mul_i32 s2, s8, s2
	s_mul_i32 s2, s2, s3
	s_cmpk_lg_i32 s2, 0x100
	s_cbranch_scc1 .LBB98_126
; %bb.1:
	s_load_dwordx2 s[2:3], s[4:5], 0x8
	s_load_dwordx2 s[8:9], s[4:5], 0x58
	s_waitcnt lgkmcnt(0)
	v_cmp_eq_f64_e64 s[2:3], s[2:3], 0
	v_cmp_eq_f64_e64 s[8:9], s[8:9], 1.0
	s_and_b64 s[8:9], s[2:3], s[8:9]
	s_and_b64 vcc, exec, s[8:9]
	s_cbranch_vccnz .LBB98_126
; %bb.2:
	s_and_b64 vcc, exec, s[2:3]
	s_cbranch_vccnz .LBB98_126
; %bb.3:
	s_load_dwordx16 s[16:31], s[4:5], 0x18
	s_load_dword s33, s[0:1], 0x0
	s_load_dword s37, s[4:5], 0x0
	v_and_b32_e32 v61, 0x3ff, v0
	v_bfe_u32 v120, v0, 10, 10
	s_waitcnt lgkmcnt(0)
	s_mul_i32 s1, s7, s31
	s_mul_hi_u32 s2, s7, s30
	s_mul_i32 s0, s7, s30
	s_add_i32 s1, s2, s1
	s_lshl_b64 s[0:1], s[0:1], 3
	s_add_u32 s2, s24, s0
	s_addc_u32 s3, s25, s1
	s_lshl_b64 s[0:1], s[26:27], 3
	s_add_u32 s2, s2, s0
	s_addc_u32 s3, s3, s1
	s_ashr_i32 s38, s37, 31
	s_lshr_b32 s1, s38, 26
	s_lshl_b32 s26, s6, 6
	s_add_i32 s1, s37, s1
	s_andn2_b32 s1, s1, 63
	v_add_u32_e32 v24, s26, v61
	s_add_i32 s0, s33, -1
	s_sub_i32 s36, s37, s1
	v_ashrrev_i32_e32 v25, 31, v24
	s_cmp_eq_u32 s6, s0
	v_mul_lo_u32 v2, v25, s28
	v_mul_lo_u32 v3, v24, s29
	v_mad_u64_u32 v[0:1], s[0:1], v24, s28, 0
	v_add3_u32 v1, v1, v3, v2
	v_lshlrev_b64 v[0:1], 3, v[0:1]
	v_mov_b32_e32 v2, s3
	v_add_co_u32_e32 v14, vcc, s2, v0
	s_cselect_b32 s24, s36, 0
	v_addc_co_u32_e32 v15, vcc, v2, v1, vcc
	v_cmp_eq_u32_e64 s[0:1], 0, v120
	s_and_saveexec_b64 s[2:3], s[0:1]
	s_cbranch_execz .LBB98_7
; %bb.4:
	s_cmp_eq_u32 s24, 0
	s_cselect_b64 s[8:9], -1, 0
	v_cmp_gt_i32_e32 vcc, s24, v61
	s_or_b64 s[10:11], s[8:9], vcc
	v_pk_mov_b32 v[0:1], 0, 0
	s_and_saveexec_b64 s[8:9], s[10:11]
	s_cbranch_execz .LBB98_6
; %bb.5:
	global_load_dwordx2 v[0:1], v[14:15], off
.LBB98_6:
	s_or_b64 exec, exec, s[8:9]
	v_lshlrev_b32_e32 v2, 3, v61
	s_waitcnt vmcnt(0)
	ds_write_b64 v2, v[0:1] offset:9088
.LBB98_7:
	s_or_b64 exec, exec, s[2:3]
	s_mul_i32 s2, s7, s23
	s_mul_hi_u32 s3, s7, s22
	s_add_i32 s3, s3, s2
	s_mul_i32 s2, s7, s22
	s_lshl_b64 s[2:3], s[2:3], 3
	s_add_u32 s8, s16, s2
	s_addc_u32 s9, s17, s3
	s_lshl_b64 s[2:3], s[18:19], 3
	s_add_u32 s8, s8, s2
	s_addc_u32 s9, s9, s3
	s_ashr_i32 s27, s26, 31
	v_lshl_add_u32 v22, v120, 6, v61
	s_lshl_b64 s[2:3], s[26:27], 3
	v_and_b32_e32 v0, 31, v61
	v_lshrrev_b32_e32 v18, 5, v22
	s_add_u32 s8, s8, s2
	v_mov_b32_e32 v1, 0
	s_addc_u32 s9, s9, s3
	v_mad_u64_u32 v[2:3], s[2:3], v18, s20, v[0:1]
	v_mov_b32_e32 v4, v3
	v_mad_u64_u32 v[4:5], s[2:3], v18, s21, v[4:5]
	s_mul_i32 s2, s26, s21
	s_mul_hi_u32 s3, s26, s20
	s_add_i32 s2, s3, s2
	s_mul_i32 s3, s27, s20
	s_add_i32 s3, s2, s3
	s_mul_i32 s2, s26, s20
	s_lshl_b64 s[2:3], s[2:3], 3
	s_add_u32 s2, s2, s8
	v_mov_b32_e32 v3, v4
	s_addc_u32 s3, s3, s9
	v_lshlrev_b64 v[12:13], 3, v[2:3]
	s_cmp_eq_u32 s24, 0
	v_mov_b32_e32 v1, s3
	v_add_co_u32_e32 v4, vcc, s2, v12
	s_cselect_b64 s[18:19], -1, 0
	s_cmp_lg_u32 s24, 0
	v_addc_co_u32_e32 v5, vcc, v1, v13, vcc
	s_cselect_b64 s[22:23], -1, 0
	s_and_b64 vcc, exec, s[22:23]
	v_cmp_gt_i32_e64 s[2:3], s24, v0
	v_lshlrev_b32_e32 v1, 3, v0
	s_mul_i32 s39, s21, 0xc0
	s_cbranch_vccz .LBB98_17
; %bb.8:
	v_sub_co_u32_e32 v2, vcc, v4, v1
	s_ashr_i32 s25, s24, 31
	v_subbrev_co_u32_e32 v3, vcc, 0, v5, vcc
	s_lshl_b64 s[8:9], s[24:25], 3
	v_mov_b32_e32 v6, s9
	v_add_co_u32_e32 v2, vcc, s8, v2
	v_addc_co_u32_e32 v3, vcc, v3, v6, vcc
	v_add_co_u32_e32 v2, vcc, -8, v2
	v_addc_co_u32_e32 v3, vcc, -1, v3, vcc
	v_pk_mov_b32 v[6:7], 0, 0
	v_cndmask_b32_e64 v3, v3, v5, s[2:3]
	v_cndmask_b32_e64 v2, v2, v4, s[2:3]
	v_cmp_gt_i32_e32 vcc, s24, v18
	v_pk_mov_b32 v[8:9], v[6:7], v[6:7] op_sel:[0,1]
	s_and_saveexec_b64 s[10:11], vcc
	s_cbranch_execz .LBB98_10
; %bb.9:
	global_load_dwordx2 v[8:9], v[2:3], off
.LBB98_10:
	s_or_b64 exec, exec, s[10:11]
	v_mul_u32_u24_e32 v10, 33, v18
	v_add_lshl_u32 v10, v10, v0, 3
	s_waitcnt vmcnt(0)
	ds_write_b64 v10, v[8:9]
	v_add_u32_e32 v8, 8, v18
	v_cmp_gt_i32_e32 vcc, s24, v8
	s_and_saveexec_b64 s[10:11], vcc
	s_cbranch_execz .LBB98_12
; %bb.11:
	s_lshl_b64 s[12:13], s[20:21], 6
	v_mov_b32_e32 v7, s13
	v_add_co_u32_e32 v6, vcc, s12, v2
	v_addc_co_u32_e32 v7, vcc, v3, v7, vcc
	global_load_dwordx2 v[6:7], v[6:7], off
.LBB98_12:
	s_or_b64 exec, exec, s[10:11]
	s_waitcnt vmcnt(0)
	ds_write_b64 v10, v[6:7] offset:2112
	v_add_u32_e32 v6, 16, v18
	v_cmp_gt_i32_e32 vcc, s24, v6
	v_pk_mov_b32 v[6:7], 0, 0
	v_pk_mov_b32 v[8:9], v[6:7], v[6:7] op_sel:[0,1]
	s_and_saveexec_b64 s[10:11], vcc
	s_cbranch_execz .LBB98_14
; %bb.13:
	s_lshl_b64 s[12:13], s[20:21], 7
	v_mov_b32_e32 v9, s13
	v_add_co_u32_e32 v8, vcc, s12, v2
	v_addc_co_u32_e32 v9, vcc, v3, v9, vcc
	global_load_dwordx2 v[8:9], v[8:9], off
.LBB98_14:
	s_or_b64 exec, exec, s[10:11]
	s_waitcnt vmcnt(0)
	ds_write_b64 v10, v[8:9] offset:4224
	v_add_u32_e32 v8, 24, v18
	v_cmp_gt_i32_e32 vcc, s24, v8
	s_and_saveexec_b64 s[10:11], vcc
	s_cbranch_execz .LBB98_16
; %bb.15:
	v_mov_b32_e32 v6, 0xc0
	v_mad_u64_u32 v[6:7], s[12:13], s20, v6, v[2:3]
	v_add_u32_e32 v7, s39, v7
	global_load_dwordx2 v[6:7], v[6:7], off
.LBB98_16:
	s_or_b64 exec, exec, s[10:11]
	v_add_co_u32_e32 v2, vcc, v2, v1
	v_addc_co_u32_e32 v3, vcc, 0, v3, vcc
	s_waitcnt vmcnt(0)
	ds_write_b64 v10, v[6:7] offset:6336
	v_mov_b32_e32 v6, s9
	v_subrev_co_u32_e32 v2, vcc, s8, v2
	v_subb_co_u32_e32 v3, vcc, v3, v6, vcc
	v_add_co_u32_e32 v2, vcc, 8, v2
	v_addc_co_u32_e32 v3, vcc, 0, v3, vcc
	v_cndmask_b32_e64 v3, v3, v5, s[2:3]
	v_cndmask_b32_e64 v2, v2, v4, s[2:3]
	v_mul_u32_u24_e32 v19, 33, v18
	s_branch .LBB98_19
.LBB98_17:
                                        ; implicit-def: $vgpr2_vgpr3
	v_mul_u32_u24_e32 v19, 33, v18
	s_cbranch_execz .LBB98_19
; %bb.18:
	s_lshl_b64 s[2:3], s[20:21], 6
	v_mov_b32_e32 v10, s3
	v_add_co_u32_e32 v2, vcc, s2, v4
	v_addc_co_u32_e32 v3, vcc, v5, v10, vcc
	global_load_dwordx2 v[6:7], v[4:5], off
	global_load_dwordx2 v[8:9], v[2:3], off
	v_add_co_u32_e32 v2, vcc, s2, v2
	v_addc_co_u32_e32 v3, vcc, v3, v10, vcc
	v_mov_b32_e32 v10, 0xc0
	v_mad_u64_u32 v[10:11], s[2:3], s20, v10, v[4:5]
	v_add_u32_e32 v11, s39, v11
	global_load_dwordx2 v[16:17], v[10:11], off
	global_load_dwordx2 v[20:21], v[2:3], off
	v_add_lshl_u32 v2, v19, v0, 3
	s_waitcnt vmcnt(3)
	ds_write_b64 v2, v[6:7]
	s_waitcnt vmcnt(2)
	ds_write_b64 v2, v[8:9] offset:2112
	s_waitcnt vmcnt(1)
	ds_write_b64 v2, v[16:17] offset:6336
	;; [unrolled: 2-line block ×3, first 2 shown]
	v_pk_mov_b32 v[2:3], v[4:5], v[4:5] op_sel:[0,1]
.LBB98_19:
	v_lshlrev_b32_e32 v4, 2, v18
	v_mul_u32_u24_e32 v20, 33, v0
	v_cmp_gt_u32_e64 s[16:17], v4, v0
	v_add_lshl_u32 v16, v4, v20, 3
	s_waitcnt lgkmcnt(0)
	s_barrier
	s_and_saveexec_b64 s[2:3], s[16:17]
	s_cbranch_execz .LBB98_21
; %bb.20:
	v_mul_u32_u24_e32 v5, 0x84, v18
	v_add_lshl_u32 v5, v5, v0, 3
	ds_read_b64 v[6:7], v5
	s_waitcnt lgkmcnt(0)
	ds_write_b64 v16, v[6:7]
.LBB98_21:
	s_or_b64 exec, exec, s[2:3]
	v_cmp_ge_u32_e64 s[8:9], v4, v0
	s_and_saveexec_b64 s[2:3], s[8:9]
	s_cbranch_execz .LBB98_23
; %bb.22:
	v_or_b32_e32 v5, 1, v4
	v_mul_u32_u24_e32 v5, 33, v5
	v_add_lshl_u32 v5, v5, v0, 3
	ds_read_b64 v[6:7], v5
	s_waitcnt lgkmcnt(0)
	ds_write_b64 v16, v[6:7] offset:8
.LBB98_23:
	s_or_b64 exec, exec, s[2:3]
	v_or_b32_e32 v5, 2, v4
	v_cmp_gt_u32_e64 s[10:11], v5, v0
	s_and_saveexec_b64 s[2:3], s[10:11]
	s_cbranch_execz .LBB98_25
; %bb.24:
	v_mul_u32_u24_e32 v5, 33, v5
	v_add_lshl_u32 v5, v5, v0, 3
	ds_read_b64 v[6:7], v5
	s_waitcnt lgkmcnt(0)
	ds_write_b64 v16, v[6:7] offset:16
.LBB98_25:
	s_or_b64 exec, exec, s[2:3]
	v_or_b32_e32 v5, 3, v4
	v_cmp_gt_u32_e64 s[12:13], v5, v0
	v_mad_u32_u24 v5, v5, 33, v0
	v_lshlrev_b32_e32 v29, 3, v5
	s_and_saveexec_b64 s[2:3], s[12:13]
	s_cbranch_execz .LBB98_27
; %bb.26:
	ds_read_b64 v[6:7], v29
	s_waitcnt lgkmcnt(0)
	ds_write_b64 v16, v[6:7] offset:24
.LBB98_27:
	s_or_b64 exec, exec, s[2:3]
	v_mul_u32_u24_e32 v5, 0x84, v18
	v_add_lshl_u32 v21, v5, v0, 3
	s_waitcnt lgkmcnt(0)
	s_barrier
	v_lshlrev_b32_e32 v17, 3, v4
	ds_read_b64 v[36:37], v21
	ds_read_b128 v[4:7], v17 offset:9088
	v_add_u32_e32 v30, 0xfffffdf0, v29
	ds_read2_b64 v[8:11], v30 offset1:33
	ds_read_b128 v[32:35], v17 offset:9104
	ds_read_b64 v[38:39], v29
	v_pk_mov_b32 v[26:27], 0, 0
	v_add_lshl_u32 v28, v18, v20, 3
	s_waitcnt lgkmcnt(3)
	v_fma_f64 v[4:5], v[36:37], v[4:5], 0
	s_waitcnt lgkmcnt(2)
	v_fmac_f64_e32 v[4:5], v[8:9], v[6:7]
	s_waitcnt lgkmcnt(1)
	v_fmac_f64_e32 v[4:5], v[10:11], v[32:33]
	s_waitcnt lgkmcnt(0)
	v_fmac_f64_e32 v[4:5], v[38:39], v[34:35]
	v_cmp_gt_u32_e64 s[2:3], 32, v22
	v_lshlrev_b32_e32 v23, 3, v20
	s_barrier
	ds_write_b64 v28, v[4:5]
	s_waitcnt lgkmcnt(0)
	s_barrier
	s_and_saveexec_b64 s[14:15], s[2:3]
	s_cbranch_execz .LBB98_29
; %bb.28:
	ds_read2_b64 v[4:7], v23 offset1:1
	ds_read2_b64 v[8:11], v23 offset0:2 offset1:3
	ds_read2_b64 v[32:35], v23 offset0:4 offset1:5
	s_waitcnt lgkmcnt(2)
	v_add_f64 v[26:27], v[4:5], v[6:7]
	ds_read2_b64 v[4:7], v23 offset0:6 offset1:7
	s_waitcnt lgkmcnt(2)
	v_add_f64 v[8:9], v[26:27], v[8:9]
	v_add_f64 v[8:9], v[8:9], v[10:11]
	s_waitcnt lgkmcnt(1)
	v_add_f64 v[8:9], v[8:9], v[32:33]
	v_add_f64 v[8:9], v[8:9], v[34:35]
	;; [unrolled: 3-line block ×3, first 2 shown]
.LBB98_29:
	s_or_b64 exec, exec, s[14:15]
	s_lshl_b64 s[14:15], s[20:21], 8
	v_mov_b32_e32 v4, s15
	v_add_co_u32_e32 v6, vcc, s14, v2
	v_addc_co_u32_e32 v7, vcc, v3, v4, vcc
	v_add_co_u32_e32 v4, vcc, 0x100, v6
	v_addc_co_u32_e32 v5, vcc, 0, v7, vcc
	s_and_b64 vcc, exec, s[22:23]
	s_barrier
	s_cbranch_vccz .LBB98_39
; %bb.30:
	v_sub_co_u32_e32 v3, vcc, v4, v1
	s_ashr_i32 s25, s24, 31
	v_subbrev_co_u32_e32 v8, vcc, 0, v5, vcc
	s_lshl_b64 s[30:31], s[24:25], 3
	v_mov_b32_e32 v9, s31
	v_add_co_u32_e32 v3, vcc, s30, v3
	v_or_b32_e32 v2, 32, v0
	v_addc_co_u32_e32 v8, vcc, v8, v9, vcc
	v_add_co_u32_e32 v9, vcc, 0xfffffef8, v3
	v_cmp_gt_i32_e64 s[14:15], s24, v2
	v_addc_co_u32_e32 v3, vcc, -1, v8, vcc
	v_cndmask_b32_e64 v2, v9, v4, s[14:15]
	s_sub_i32 s25, s24, 32
	v_pk_mov_b32 v[8:9], 0, 0
	v_cndmask_b32_e64 v3, v3, v5, s[14:15]
	v_cmp_gt_i32_e32 vcc, s25, v18
	v_pk_mov_b32 v[10:11], v[8:9], v[8:9] op_sel:[0,1]
	s_and_saveexec_b64 s[34:35], vcc
	s_cbranch_execz .LBB98_32
; %bb.31:
	global_load_dwordx2 v[10:11], v[2:3], off
.LBB98_32:
	s_or_b64 exec, exec, s[34:35]
	v_add_lshl_u32 v31, v19, v0, 3
	s_waitcnt vmcnt(0)
	ds_write_b64 v31, v[10:11]
	v_add_u32_e32 v10, 8, v18
	v_cmp_gt_i32_e32 vcc, s25, v10
	s_and_saveexec_b64 s[34:35], vcc
	s_cbranch_execz .LBB98_34
; %bb.33:
	s_lshl_b64 s[40:41], s[20:21], 6
	v_mov_b32_e32 v9, s41
	v_add_co_u32_e32 v8, vcc, s40, v2
	v_addc_co_u32_e32 v9, vcc, v3, v9, vcc
	global_load_dwordx2 v[8:9], v[8:9], off
.LBB98_34:
	s_or_b64 exec, exec, s[34:35]
	s_waitcnt vmcnt(0)
	ds_write_b64 v31, v[8:9] offset:2112
	v_add_u32_e32 v8, 16, v18
	v_cmp_gt_i32_e32 vcc, s25, v8
	v_pk_mov_b32 v[8:9], 0, 0
	v_pk_mov_b32 v[10:11], v[8:9], v[8:9] op_sel:[0,1]
	s_and_saveexec_b64 s[34:35], vcc
	s_cbranch_execz .LBB98_36
; %bb.35:
	s_lshl_b64 s[40:41], s[20:21], 7
	v_mov_b32_e32 v11, s41
	v_add_co_u32_e32 v10, vcc, s40, v2
	v_addc_co_u32_e32 v11, vcc, v3, v11, vcc
	global_load_dwordx2 v[10:11], v[10:11], off
.LBB98_36:
	s_or_b64 exec, exec, s[34:35]
	s_waitcnt vmcnt(0)
	ds_write_b64 v31, v[10:11] offset:4224
	v_add_u32_e32 v10, 24, v18
	v_cmp_gt_i32_e32 vcc, s25, v10
	s_and_saveexec_b64 s[34:35], vcc
	s_cbranch_execz .LBB98_38
; %bb.37:
	v_mov_b32_e32 v8, 0xc0
	v_mad_u64_u32 v[8:9], s[40:41], s20, v8, v[2:3]
	v_add_u32_e32 v9, s39, v9
	global_load_dwordx2 v[8:9], v[8:9], off
.LBB98_38:
	s_or_b64 exec, exec, s[34:35]
	v_add_co_u32_e32 v2, vcc, v2, v1
	v_addc_co_u32_e32 v3, vcc, 0, v3, vcc
	s_waitcnt vmcnt(0)
	ds_write_b64 v31, v[8:9] offset:6336
	v_mov_b32_e32 v8, s31
	v_subrev_co_u32_e32 v2, vcc, s30, v2
	v_subb_co_u32_e32 v3, vcc, v3, v8, vcc
	v_add_co_u32_e32 v2, vcc, 0x108, v2
	v_addc_co_u32_e32 v3, vcc, 0, v3, vcc
	v_cndmask_b32_e64 v3, v3, v5, s[14:15]
	v_cndmask_b32_e64 v2, v2, v4, s[14:15]
	s_branch .LBB98_41
.LBB98_39:
                                        ; implicit-def: $vgpr2_vgpr3
	s_cbranch_execz .LBB98_41
; %bb.40:
	s_lshl_b64 s[14:15], s[20:21], 6
	v_mov_b32_e32 v9, s15
	v_add_co_u32_e32 v2, vcc, s14, v6
	v_addc_co_u32_e32 v3, vcc, v7, v9, vcc
	v_mov_b32_e32 v10, 0xc0
	v_add_co_u32_e32 v8, vcc, s14, v2
	v_mad_u64_u32 v[10:11], s[14:15], s20, v10, v[6:7]
	v_addc_co_u32_e32 v9, vcc, v3, v9, vcc
	v_add_u32_e32 v11, s39, v11
	global_load_dwordx2 v[32:33], v[6:7], off offset:256
	global_load_dwordx2 v[34:35], v[2:3], off offset:256
	;; [unrolled: 1-line block ×4, first 2 shown]
	v_add_lshl_u32 v2, v19, v0, 3
	s_waitcnt vmcnt(3)
	ds_write_b64 v2, v[32:33]
	s_waitcnt vmcnt(2)
	ds_write_b64 v2, v[34:35] offset:2112
	s_waitcnt vmcnt(1)
	ds_write_b64 v2, v[36:37] offset:4224
	;; [unrolled: 2-line block ×3, first 2 shown]
	v_pk_mov_b32 v[2:3], v[4:5], v[4:5] op_sel:[0,1]
.LBB98_41:
	s_waitcnt lgkmcnt(0)
	s_barrier
	s_and_saveexec_b64 s[14:15], s[16:17]
	s_cbranch_execnz .LBB98_58
; %bb.42:
	s_or_b64 exec, exec, s[14:15]
	s_and_saveexec_b64 s[14:15], s[8:9]
	s_cbranch_execnz .LBB98_59
.LBB98_43:
	s_or_b64 exec, exec, s[14:15]
	s_and_saveexec_b64 s[8:9], s[10:11]
	s_cbranch_execnz .LBB98_60
.LBB98_44:
	s_or_b64 exec, exec, s[8:9]
	v_add_u32_e32 v31, 0x2380, v17
	s_and_saveexec_b64 s[8:9], s[12:13]
	s_cbranch_execz .LBB98_46
.LBB98_45:
	ds_read_b64 v[4:5], v29
	s_waitcnt lgkmcnt(0)
	ds_write_b64 v16, v[4:5] offset:24
.LBB98_46:
	s_or_b64 exec, exec, s[8:9]
	s_waitcnt lgkmcnt(0)
	s_barrier
	ds_read_b64 v[16:17], v21
	ds_read_b128 v[4:7], v31 offset:256
	ds_read2_b64 v[8:11], v30 offset1:33
	ds_read_b128 v[32:35], v31 offset:272
	ds_read_b64 v[36:37], v29
	v_cmp_eq_u32_e64 s[8:9], 1, v18
	s_waitcnt lgkmcnt(3)
	v_fma_f64 v[4:5], v[16:17], v[4:5], 0
	s_waitcnt lgkmcnt(2)
	v_fmac_f64_e32 v[4:5], v[8:9], v[6:7]
	s_waitcnt lgkmcnt(1)
	v_fmac_f64_e32 v[4:5], v[10:11], v[32:33]
	;; [unrolled: 2-line block ×3, first 2 shown]
	s_barrier
	ds_write_b64 v28, v[4:5]
	s_waitcnt lgkmcnt(0)
	s_barrier
	s_and_saveexec_b64 s[10:11], s[8:9]
	s_cbranch_execz .LBB98_48
; %bb.47:
	ds_read2_b64 v[4:7], v23 offset1:1
	ds_read2_b64 v[8:11], v23 offset0:2 offset1:3
	ds_read2_b64 v[32:35], v23 offset0:4 offset1:5
	s_waitcnt lgkmcnt(2)
	v_add_f64 v[16:17], v[4:5], v[6:7]
	ds_read2_b64 v[4:7], v23 offset0:6 offset1:7
	s_waitcnt lgkmcnt(2)
	v_add_f64 v[8:9], v[16:17], v[8:9]
	v_add_f64 v[8:9], v[8:9], v[10:11]
	s_waitcnt lgkmcnt(1)
	v_add_f64 v[8:9], v[8:9], v[32:33]
	v_add_f64 v[8:9], v[8:9], v[34:35]
	;; [unrolled: 3-line block ×3, first 2 shown]
.LBB98_48:
	s_or_b64 exec, exec, s[10:11]
	v_add_co_u32_e32 v4, vcc, 0xffffff00, v2
	v_addc_co_u32_e32 v5, vcc, -1, v3, vcc
	s_and_b64 vcc, exec, s[22:23]
	s_barrier
	s_cbranch_vccz .LBB98_61
; %bb.49:
	v_sub_co_u32_e32 v6, vcc, v2, v1
	s_ashr_i32 s25, s24, 31
	v_subbrev_co_u32_e32 v7, vcc, 0, v3, vcc
	s_lshl_b64 s[12:13], s[24:25], 3
	v_mov_b32_e32 v8, s13
	v_add_co_u32_e32 v6, vcc, s12, v6
	v_addc_co_u32_e32 v7, vcc, v7, v8, vcc
	v_add_co_u32_e32 v6, vcc, 0xfffffef8, v6
	v_addc_co_u32_e32 v7, vcc, -1, v7, vcc
	v_cmp_gt_i32_e32 vcc, s24, v0
	s_sub_i32 s16, s24, 32
	v_pk_mov_b32 v[8:9], 0, 0
	v_cndmask_b32_e32 v7, v7, v5, vcc
	v_cndmask_b32_e32 v6, v6, v4, vcc
	v_cmp_gt_i32_e64 s[10:11], s16, v18
	v_pk_mov_b32 v[10:11], v[8:9], v[8:9] op_sel:[0,1]
	s_and_saveexec_b64 s[14:15], s[10:11]
	s_cbranch_execz .LBB98_51
; %bb.50:
	global_load_dwordx2 v[10:11], v[6:7], off
.LBB98_51:
	s_or_b64 exec, exec, s[14:15]
	v_add_u32_e32 v32, 8, v18
	v_add_lshl_u32 v16, v19, v0, 3
	v_cmp_gt_i32_e64 s[10:11], s16, v32
	s_waitcnt vmcnt(0)
	ds_write_b64 v16, v[10:11]
	s_and_saveexec_b64 s[14:15], s[10:11]
	s_cbranch_execz .LBB98_53
; %bb.52:
	s_lshl_b64 s[10:11], s[20:21], 6
	v_mov_b32_e32 v9, s11
	v_add_co_u32_e64 v8, s[10:11], s10, v6
	v_addc_co_u32_e64 v9, s[10:11], v7, v9, s[10:11]
	global_load_dwordx2 v[8:9], v[8:9], off
.LBB98_53:
	s_or_b64 exec, exec, s[14:15]
	s_waitcnt vmcnt(0)
	ds_write_b64 v16, v[8:9] offset:2112
	v_add_u32_e32 v33, 16, v18
	v_pk_mov_b32 v[8:9], 0, 0
	v_cmp_gt_i32_e64 s[10:11], s16, v33
	v_pk_mov_b32 v[10:11], v[8:9], v[8:9] op_sel:[0,1]
	s_and_saveexec_b64 s[14:15], s[10:11]
	s_cbranch_execz .LBB98_55
; %bb.54:
	s_lshl_b64 s[10:11], s[20:21], 7
	v_mov_b32_e32 v11, s11
	v_add_co_u32_e64 v10, s[10:11], s10, v6
	v_addc_co_u32_e64 v11, s[10:11], v7, v11, s[10:11]
	global_load_dwordx2 v[10:11], v[10:11], off
.LBB98_55:
	s_or_b64 exec, exec, s[14:15]
	s_waitcnt vmcnt(0)
	ds_write_b64 v16, v[10:11] offset:4224
	v_add_u32_e32 v10, 24, v18
	v_cmp_gt_i32_e64 s[10:11], s16, v10
	s_and_saveexec_b64 s[14:15], s[10:11]
	s_cbranch_execz .LBB98_57
; %bb.56:
	v_mov_b32_e32 v8, 0xc0
	v_mad_u64_u32 v[8:9], s[10:11], s20, v8, v[6:7]
	v_add_u32_e32 v9, s39, v9
	global_load_dwordx2 v[8:9], v[8:9], off
.LBB98_57:
	s_or_b64 exec, exec, s[14:15]
	v_add_co_u32_e64 v1, s[10:11], v6, v1
	v_addc_co_u32_e64 v6, s[10:11], 0, v7, s[10:11]
	v_mov_b32_e32 v7, s13
	v_subrev_co_u32_e64 v1, s[10:11], s12, v1
	v_subb_co_u32_e64 v6, s[10:11], v6, v7, s[10:11]
	v_add_co_u32_e64 v1, s[10:11], 8, v1
	v_addc_co_u32_e64 v6, s[10:11], 0, v6, s[10:11]
	s_waitcnt vmcnt(0)
	ds_write_b64 v16, v[8:9] offset:6336
	v_cndmask_b32_e32 v17, v6, v5, vcc
	v_cndmask_b32_e32 v16, v1, v4, vcc
	s_branch .LBB98_63
.LBB98_58:
	ds_read_b64 v[4:5], v21
	s_waitcnt lgkmcnt(0)
	ds_write_b64 v16, v[4:5]
	s_or_b64 exec, exec, s[14:15]
	s_and_saveexec_b64 s[14:15], s[8:9]
	s_cbranch_execz .LBB98_43
.LBB98_59:
	ds_read_b64 v[4:5], v30
	s_waitcnt lgkmcnt(0)
	ds_write_b64 v16, v[4:5] offset:8
	s_or_b64 exec, exec, s[14:15]
	s_and_saveexec_b64 s[8:9], s[10:11]
	s_cbranch_execz .LBB98_44
.LBB98_60:
	ds_read_b64 v[4:5], v30 offset:264
	s_waitcnt lgkmcnt(0)
	ds_write_b64 v16, v[4:5] offset:16
	s_or_b64 exec, exec, s[8:9]
	v_add_u32_e32 v31, 0x2380, v17
	s_and_saveexec_b64 s[8:9], s[12:13]
	s_cbranch_execnz .LBB98_45
	s_branch .LBB98_46
.LBB98_61:
                                        ; implicit-def: $vgpr16_vgpr17
                                        ; implicit-def: $vgpr32
                                        ; implicit-def: $vgpr33
                                        ; implicit-def: $vgpr10
	s_cbranch_execz .LBB98_63
; %bb.62:
	s_lshl_b64 s[10:11], s[20:21], 6
	v_mov_b32_e32 v1, s11
	v_add_co_u32_e32 v6, vcc, s10, v2
	v_addc_co_u32_e32 v7, vcc, v3, v1, vcc
	v_add_co_u32_e32 v8, vcc, s10, v6
	v_addc_co_u32_e32 v9, vcc, v7, v1, vcc
	global_load_dwordx2 v[16:17], v[6:7], off offset:-256
	global_load_dwordx2 v[34:35], v[8:9], off offset:-256
	v_mov_b32_e32 v1, 0xc0
	global_load_dwordx2 v[6:7], v[2:3], off offset:-256
	v_mad_u64_u32 v[2:3], s[10:11], s20, v1, v[2:3]
	v_add_u32_e32 v3, s39, v3
	global_load_dwordx2 v[2:3], v[2:3], off offset:-256
	v_add_lshl_u32 v0, v19, v0, 3
	v_add_u32_e32 v32, 8, v18
	v_add_u32_e32 v33, 16, v18
	;; [unrolled: 1-line block ×3, first 2 shown]
	s_waitcnt vmcnt(1)
	ds_write_b64 v0, v[6:7]
	ds_write_b64 v0, v[16:17] offset:2112
	ds_write_b64 v0, v[34:35] offset:4224
	s_waitcnt vmcnt(0)
	ds_write_b64 v0, v[2:3] offset:6336
	v_pk_mov_b32 v[16:17], v[4:5], v[4:5] op_sel:[0,1]
.LBB98_63:
	v_lshlrev_b32_e32 v0, 3, v18
	s_waitcnt lgkmcnt(0)
	s_barrier
	v_add_lshl_u32 v1, v32, v20, 3
	v_lshlrev_b32_e32 v2, 3, v32
	v_add_lshl_u32 v3, v33, v20, 3
	ds_read_b64 v[34:35], v0 offset:9088
	ds_read_b64 v[36:37], v1
	ds_read_b64 v[38:39], v2 offset:9088
	ds_read_b64 v[40:41], v3
	v_lshlrev_b32_e32 v18, 3, v33
	v_add_lshl_u32 v19, v10, v20, 3
	v_lshlrev_b32_e32 v44, 3, v10
	ds_read_b64 v[20:21], v21
	ds_read_b128 v[8:11], v31 offset:256
	ds_read_b64 v[32:33], v28
	ds_read_b128 v[0:3], v31 offset:272
	ds_read2_b64 v[4:7], v30 offset1:33
	ds_read_b64 v[30:31], v18 offset:9088
	ds_read_b64 v[42:43], v19
	ds_read_b64 v[44:45], v44 offset:9088
	ds_read_b64 v[18:19], v29
	s_waitcnt lgkmcnt(6)
	v_fma_f64 v[32:33], v[32:33], v[34:35], 0
	v_fmac_f64_e32 v[32:33], v[36:37], v[38:39]
	s_waitcnt lgkmcnt(3)
	v_fmac_f64_e32 v[32:33], v[40:41], v[30:31]
	s_waitcnt lgkmcnt(1)
	;; [unrolled: 2-line block ×3, first 2 shown]
	s_barrier
	ds_write_b64 v28, v[32:33]
	s_waitcnt lgkmcnt(0)
	s_barrier
	s_and_saveexec_b64 s[10:11], s[8:9]
	s_cbranch_execz .LBB98_65
; %bb.64:
	ds_read2_b64 v[30:33], v23 offset1:1
	ds_read2_b64 v[34:37], v23 offset0:2 offset1:3
	ds_read2_b64 v[38:41], v23 offset0:4 offset1:5
	s_waitcnt lgkmcnt(2)
	v_add_f64 v[26:27], v[26:27], v[30:31]
	v_add_f64 v[26:27], v[26:27], v[32:33]
	ds_read2_b64 v[30:33], v23 offset0:6 offset1:7
	s_waitcnt lgkmcnt(2)
	v_add_f64 v[26:27], v[26:27], v[34:35]
	v_add_f64 v[26:27], v[26:27], v[36:37]
	s_waitcnt lgkmcnt(1)
	v_add_f64 v[26:27], v[26:27], v[38:39]
	v_add_f64 v[26:27], v[26:27], v[40:41]
	;; [unrolled: 3-line block ×3, first 2 shown]
.LBB98_65:
	s_or_b64 exec, exec, s[10:11]
	v_fma_f64 v[8:9], v[20:21], v[8:9], 0
	v_fmac_f64_e32 v[8:9], v[4:5], v[10:11]
	v_fmac_f64_e32 v[8:9], v[6:7], v[0:1]
	;; [unrolled: 1-line block ×3, first 2 shown]
	s_barrier
	ds_write_b64 v28, v[8:9]
	s_waitcnt lgkmcnt(0)
	s_barrier
	s_and_saveexec_b64 s[8:9], s[2:3]
	s_cbranch_execz .LBB98_67
; %bb.66:
	ds_read2_b64 v[0:3], v23 offset1:1
	ds_read2_b64 v[4:7], v23 offset0:2 offset1:3
	ds_read2_b64 v[8:11], v23 offset0:4 offset1:5
	s_waitcnt lgkmcnt(2)
	v_add_f64 v[0:1], v[26:27], v[0:1]
	v_add_f64 v[18:19], v[0:1], v[2:3]
	ds_read2_b64 v[0:3], v23 offset0:6 offset1:7
	s_waitcnt lgkmcnt(2)
	v_add_f64 v[4:5], v[18:19], v[4:5]
	v_add_f64 v[4:5], v[4:5], v[6:7]
	s_waitcnt lgkmcnt(1)
	v_add_f64 v[4:5], v[4:5], v[8:9]
	v_add_f64 v[4:5], v[4:5], v[10:11]
	s_waitcnt lgkmcnt(0)
	v_add_f64 v[0:1], v[4:5], v[0:1]
	v_add_f64 v[26:27], v[0:1], v[2:3]
.LBB98_67:
	s_or_b64 exec, exec, s[8:9]
	s_load_dwordx2 s[2:3], s[4:5], 0x68
	s_mul_hi_u32 s4, s37, s7
	s_mul_i32 s38, s38, s7
	s_add_i32 s4, s4, s38
	s_mul_i32 s7, s37, s7
	s_mul_i32 s4, s4, s33
	s_mul_hi_u32 s5, s7, s33
	s_add_i32 s5, s5, s4
	s_mul_i32 s4, s7, s33
	s_lshl_b64 s[4:5], s[4:5], 3
	s_waitcnt lgkmcnt(0)
	s_add_u32 s4, s2, s4
	s_addc_u32 s5, s3, s5
	s_mul_hi_i32 s3, s37, s6
	s_mul_i32 s2, s37, s6
	s_lshl_b64 s[2:3], s[2:3], 3
	s_add_u32 s7, s4, s2
	s_addc_u32 s14, s5, s3
	s_add_i32 s2, s6, 1
	s_cmp_ge_u32 s2, s33
	v_lshlrev_b32_e32 v28, 3, v61
	s_barrier
	s_cbranch_scc1 .LBB98_124
; %bb.68:
	s_mul_i32 s2, s26, s29
	s_mul_hi_u32 s3, s26, s28
	s_add_i32 s2, s3, s2
	s_mul_i32 s3, s27, s28
	s_add_i32 s3, s2, s3
	s_mul_i32 s2, s26, s28
	s_lshl_b64 s[2:3], s[2:3], 3
	v_mov_b32_e32 v0, s3
	v_subrev_co_u32_e32 v121, vcc, s2, v14
	v_and_b32_e32 v1, 48, v61
	v_subb_co_u32_e32 v122, vcc, v15, v0, vcc
	v_and_b32_e32 v0, 15, v61
	v_lshlrev_b32_e32 v2, 3, v1
	s_movk_i32 s4, 0x218
	v_lshrrev_b32_e32 v4, 4, v22
	v_mad_u32_u24 v123, v0, s4, v2
	v_or_b32_e32 v2, 0x78, v28
	v_lshlrev_b32_e32 v5, 5, v120
	v_mad_u32_u24 v124, v0, s4, v2
	v_lshlrev_b32_e32 v2, 5, v4
	v_add_u32_e32 v3, 0x100, v5
	v_mad_u32_u24 v125, v0, s4, v2
	v_or_b32_e32 v126, v1, v0
	v_mad_u64_u32 v[0:1], s[4:5], s20, v3, 0
	v_mov_b32_e32 v2, v1
	v_mad_u64_u32 v[2:3], s[4:5], s21, v3, v[2:3]
	v_mov_b32_e32 v1, v2
	v_sub_co_u32_e32 v0, vcc, v0, v12
	v_subb_co_u32_e32 v1, vcc, v1, v13, vcc
	v_add_co_u32_e32 v30, vcc, v16, v0
	v_add_u32_e32 v3, 0x110, v5
	v_addc_co_u32_e32 v29, vcc, v17, v1, vcc
	v_mad_u64_u32 v[0:1], s[4:5], s20, v3, 0
	v_mov_b32_e32 v2, v1
	v_mad_u64_u32 v[2:3], s[4:5], s21, v3, v[2:3]
	v_mov_b32_e32 v1, v2
	v_sub_co_u32_e32 v0, vcc, v0, v12
	v_subb_co_u32_e32 v1, vcc, v1, v13, vcc
	v_add_co_u32_e32 v32, vcc, v16, v0
	v_add_u32_e32 v3, 0x108, v5
	v_addc_co_u32_e32 v31, vcc, v17, v1, vcc
	;; [unrolled: 9-line block ×12, first 2 shown]
	v_mad_u64_u32 v[0:1], s[4:5], s20, v3, 0
	v_mov_b32_e32 v2, v1
	v_mad_u64_u32 v[2:3], s[4:5], s21, v3, v[2:3]
	v_mov_b32_e32 v1, v2
	v_sub_co_u32_e32 v6, vcc, v0, v12
	v_add_u32_e32 v3, 0x288, v5
	v_subb_co_u32_e32 v7, vcc, v1, v13, vcc
	v_mad_u64_u32 v[0:1], s[4:5], s20, v3, 0
	v_mov_b32_e32 v2, v1
	v_mad_u64_u32 v[2:3], s[4:5], s21, v3, v[2:3]
	v_mov_b32_e32 v1, v2
	v_sub_co_u32_e32 v8, vcc, v0, v12
	v_add_u32_e32 v3, 0x290, v5
	v_subb_co_u32_e32 v9, vcc, v1, v13, vcc
	;; [unrolled: 7-line block ×3, first 2 shown]
	v_mad_u64_u32 v[0:1], s[4:5], s20, v3, 0
	v_mov_b32_e32 v2, v1
	v_add_co_u32_e32 v54, vcc, v16, v6
	v_mad_u64_u32 v[2:3], s[4:5], s21, v3, v[2:3]
	v_addc_co_u32_e32 v53, vcc, v17, v7, vcc
	v_mov_b32_e32 v1, v2
	v_sub_co_u32_e32 v0, vcc, v0, v12
	v_subb_co_u32_e32 v1, vcc, v1, v13, vcc
	v_add_co_u32_e32 v56, vcc, v16, v8
	v_addc_co_u32_e32 v55, vcc, v17, v9, vcc
	v_add_co_u32_e32 v58, vcc, v16, v10
	v_addc_co_u32_e32 v57, vcc, v17, v11, vcc
	v_add_co_u32_e32 v60, vcc, v16, v0
	s_movk_i32 s4, 0x860
	v_mul_i32_i24_e32 v0, 0xffffffe8, v4
	v_lshlrev_b32_e32 v129, 2, v120
	v_cmp_gt_u32_e64 s[2:3], 64, v22
	v_addc_co_u32_e32 v59, vcc, v17, v1, vcc
	s_add_i32 s15, s33, -2
	v_add_u32_e32 v127, 0x2180, v5
	s_add_i32 s16, s26, 64
	s_lshl_b64 s[10:11], s[20:21], 9
	v_add_u32_e32 v128, v125, v0
	v_add_u32_e32 v130, 0x2180, v28
	;; [unrolled: 1-line block ×3, first 2 shown]
	v_or_b32_e32 v132, 1, v129
	v_or_b32_e32 v133, 2, v129
	;; [unrolled: 1-line block ×3, first 2 shown]
	v_mad_u32_u24 v135, v120, s4, v28
	v_add_u32_e32 v136, 16, v129
	v_add_u32_e32 v137, 17, v129
	;; [unrolled: 1-line block ×12, first 2 shown]
	s_cmp_eq_u32 s15, s6
	s_cselect_b32 s17, s36, 0
	s_and_saveexec_b64 s[4:5], s[0:1]
	s_cbranch_execz .LBB98_72
.LBB98_69:
	s_cmp_eq_u32 s17, 0
	s_cselect_b64 s[8:9], -1, 0
	v_cmp_gt_i32_e32 vcc, s17, v61
	s_or_b64 s[12:13], s[8:9], vcc
	v_pk_mov_b32 v[0:1], 0, 0
	s_and_saveexec_b64 s[8:9], s[12:13]
	s_cbranch_execz .LBB98_71
; %bb.70:
	s_ashr_i32 s12, s16, 31
	s_mul_i32 s13, s16, s29
	s_mul_hi_u32 s20, s16, s28
	s_add_i32 s13, s20, s13
	s_mul_i32 s12, s12, s28
	s_add_i32 s13, s13, s12
	s_mul_i32 s12, s16, s28
	s_lshl_b64 s[12:13], s[12:13], 3
	v_mov_b32_e32 v1, s13
	v_add_co_u32_e32 v0, vcc, s12, v121
	v_addc_co_u32_e32 v1, vcc, v122, v1, vcc
	global_load_dwordx2 v[0:1], v[0:1], off
.LBB98_71:
	s_or_b64 exec, exec, s[8:9]
	s_waitcnt vmcnt(0)
	ds_write_b64 v130, v[0:1]
.LBB98_72:                              ; =>This Inner Loop Header: Depth=1
	s_or_b64 exec, exec, s[4:5]
	s_cmp_eq_u32 s17, 0
	v_add_co_u32_e32 v0, vcc, v30, v28
	s_cselect_b64 s[12:13], -1, 0
	s_cmp_lg_u32 s17, 0
	v_addc_co_u32_e32 v1, vcc, 0, v29, vcc
	s_cselect_b64 s[8:9], -1, 0
	s_and_b64 vcc, exec, s[8:9]
	s_waitcnt lgkmcnt(0)
	s_barrier
	s_cbranch_vccz .LBB98_120
; %bb.73:                               ;   in Loop: Header=BB98_72 Depth=1
	v_pk_mov_b32 v[64:65], 0, 0
	v_cmp_gt_i32_e32 vcc, s17, v129
	v_pk_mov_b32 v[62:63], v[64:65], v[64:65] op_sel:[0,1]
	s_and_saveexec_b64 s[4:5], vcc
	s_cbranch_execz .LBB98_75
; %bb.74:                               ;   in Loop: Header=BB98_72 Depth=1
	global_load_dwordx2 v[62:63], v[0:1], off
.LBB98_75:                              ;   in Loop: Header=BB98_72 Depth=1
	s_or_b64 exec, exec, s[4:5]
	v_cmp_gt_i32_e32 vcc, s17, v132
	s_and_saveexec_b64 s[4:5], vcc
	s_cbranch_execz .LBB98_77
; %bb.76:                               ;   in Loop: Header=BB98_72 Depth=1
	v_add_co_u32_e32 v2, vcc, v34, v28
	v_addc_co_u32_e32 v3, vcc, 0, v33, vcc
	global_load_dwordx2 v[64:65], v[2:3], off
.LBB98_77:                              ;   in Loop: Header=BB98_72 Depth=1
	s_or_b64 exec, exec, s[4:5]
	v_pk_mov_b32 v[68:69], 0, 0
	v_cmp_gt_i32_e32 vcc, s17, v133
	v_pk_mov_b32 v[66:67], v[68:69], v[68:69] op_sel:[0,1]
	s_and_saveexec_b64 s[4:5], vcc
	s_cbranch_execz .LBB98_79
; %bb.78:                               ;   in Loop: Header=BB98_72 Depth=1
	v_add_co_u32_e32 v2, vcc, v32, v28
	v_addc_co_u32_e32 v3, vcc, 0, v31, vcc
	global_load_dwordx2 v[66:67], v[2:3], off
.LBB98_79:                              ;   in Loop: Header=BB98_72 Depth=1
	s_or_b64 exec, exec, s[4:5]
	v_cmp_gt_i32_e32 vcc, s17, v134
	s_and_saveexec_b64 s[4:5], vcc
	s_cbranch_execz .LBB98_81
; %bb.80:                               ;   in Loop: Header=BB98_72 Depth=1
	v_add_co_u32_e32 v2, vcc, v36, v28
	v_addc_co_u32_e32 v3, vcc, 0, v35, vcc
	global_load_dwordx2 v[68:69], v[2:3], off
.LBB98_81:                              ;   in Loop: Header=BB98_72 Depth=1
	s_or_b64 exec, exec, s[4:5]
	s_branch .LBB98_83
.LBB98_82:                              ;   in Loop: Header=BB98_72 Depth=1
	global_load_dwordx2 v[62:63], v[0:1], off
	v_add_co_u32_e32 v0, vcc, v34, v28
	v_addc_co_u32_e32 v1, vcc, 0, v33, vcc
	global_load_dwordx2 v[64:65], v[0:1], off
	v_add_co_u32_e32 v0, vcc, v32, v28
	v_addc_co_u32_e32 v1, vcc, 0, v31, vcc
	;; [unrolled: 3-line block ×3, first 2 shown]
	global_load_dwordx2 v[68:69], v[0:1], off
.LBB98_83:                              ;   in Loop: Header=BB98_72 Depth=1
	ds_read_b64 v[0:1], v131
	ds_read_b64 v[70:71], v127
	v_cndmask_b32_e64 v8, 0, 1, s[8:9]
	v_cmp_ne_u32_e64 s[4:5], 1, v8
	s_andn2_b64 vcc, exec, s[8:9]
	s_waitcnt vmcnt(0) lgkmcnt(1)
	v_mul_f64 v[2:3], v[62:63], v[0:1]
	v_mul_f64 v[4:5], v[64:65], v[0:1]
	ds_write_b64 v135, v[2:3]
	v_mul_f64 v[6:7], v[66:67], v[0:1]
	ds_read_b64 v[72:73], v127 offset:8
	ds_write_b64 v135, v[4:5] offset:536
	ds_read_b64 v[74:75], v127 offset:16
	ds_write_b64 v135, v[6:7] offset:1072
	v_mul_f64 v[0:1], v[68:69], v[0:1]
	ds_read_b64 v[76:77], v127 offset:24
	ds_write_b64 v135, v[0:1] offset:1608
	s_waitcnt lgkmcnt(0)
	s_barrier
	ds_read2_b64 v[4:7], v125 offset1:1
	ds_read2_b64 v[0:3], v125 offset0:2 offset1:3
	v_add_co_u32_e64 v8, s[8:9], v38, v28
	v_addc_co_u32_e64 v9, s[8:9], 0, v37, s[8:9]
	s_waitcnt lgkmcnt(0)
	s_barrier
	s_cbranch_vccnz .LBB98_121
; %bb.84:                               ;   in Loop: Header=BB98_72 Depth=1
	v_pk_mov_b32 v[80:81], 0, 0
	v_cmp_gt_i32_e32 vcc, s17, v136
	v_pk_mov_b32 v[78:79], v[80:81], v[80:81] op_sel:[0,1]
	s_and_saveexec_b64 s[8:9], vcc
	s_cbranch_execz .LBB98_86
; %bb.85:                               ;   in Loop: Header=BB98_72 Depth=1
	global_load_dwordx2 v[78:79], v[8:9], off
.LBB98_86:                              ;   in Loop: Header=BB98_72 Depth=1
	s_or_b64 exec, exec, s[8:9]
	v_cmp_gt_i32_e32 vcc, s17, v137
	s_and_saveexec_b64 s[8:9], vcc
	s_cbranch_execz .LBB98_88
; %bb.87:                               ;   in Loop: Header=BB98_72 Depth=1
	v_add_co_u32_e32 v10, vcc, v40, v28
	v_addc_co_u32_e32 v11, vcc, 0, v39, vcc
	global_load_dwordx2 v[80:81], v[10:11], off
.LBB98_88:                              ;   in Loop: Header=BB98_72 Depth=1
	s_or_b64 exec, exec, s[8:9]
	v_pk_mov_b32 v[84:85], 0, 0
	v_cmp_gt_i32_e32 vcc, s17, v138
	v_pk_mov_b32 v[82:83], v[84:85], v[84:85] op_sel:[0,1]
	s_and_saveexec_b64 s[8:9], vcc
	s_cbranch_execz .LBB98_90
; %bb.89:                               ;   in Loop: Header=BB98_72 Depth=1
	v_add_co_u32_e32 v10, vcc, v42, v28
	v_addc_co_u32_e32 v11, vcc, 0, v41, vcc
	global_load_dwordx2 v[82:83], v[10:11], off
.LBB98_90:                              ;   in Loop: Header=BB98_72 Depth=1
	s_or_b64 exec, exec, s[8:9]
	v_cmp_gt_i32_e32 vcc, s17, v139
	s_and_saveexec_b64 s[8:9], vcc
	s_cbranch_execz .LBB98_92
; %bb.91:                               ;   in Loop: Header=BB98_72 Depth=1
	v_add_co_u32_e32 v10, vcc, v44, v28
	v_addc_co_u32_e32 v11, vcc, 0, v43, vcc
	global_load_dwordx2 v[84:85], v[10:11], off
.LBB98_92:                              ;   in Loop: Header=BB98_72 Depth=1
	s_or_b64 exec, exec, s[8:9]
	s_branch .LBB98_94
.LBB98_93:                              ;   in Loop: Header=BB98_72 Depth=1
	global_load_dwordx2 v[78:79], v[8:9], off
	v_add_co_u32_e32 v8, vcc, v40, v28
	v_addc_co_u32_e32 v9, vcc, 0, v39, vcc
	global_load_dwordx2 v[80:81], v[8:9], off
	v_add_co_u32_e32 v8, vcc, v42, v28
	v_addc_co_u32_e32 v9, vcc, 0, v41, vcc
	global_load_dwordx2 v[82:83], v[8:9], off
	v_add_co_u32_e32 v8, vcc, v44, v28
	v_addc_co_u32_e32 v9, vcc, 0, v43, vcc
	global_load_dwordx2 v[84:85], v[8:9], off
.LBB98_94:                              ;   in Loop: Header=BB98_72 Depth=1
	ds_read_b64 v[8:9], v131
	ds_read_b64 v[86:87], v127 offset:128
	v_add_co_u32_e64 v16, s[8:9], v46, v28
	s_and_b64 vcc, exec, s[4:5]
	s_waitcnt vmcnt(0) lgkmcnt(1)
	v_mul_f64 v[10:11], v[78:79], v[8:9]
	v_mul_f64 v[12:13], v[80:81], v[8:9]
	ds_write_b64 v135, v[10:11]
	v_mul_f64 v[14:15], v[82:83], v[8:9]
	ds_read_b64 v[88:89], v127 offset:136
	ds_write_b64 v135, v[12:13] offset:536
	ds_read_b64 v[90:91], v127 offset:144
	ds_write_b64 v135, v[14:15] offset:1072
	v_mul_f64 v[8:9], v[84:85], v[8:9]
	ds_read_b64 v[92:93], v127 offset:152
	ds_write_b64 v135, v[8:9] offset:1608
	s_waitcnt lgkmcnt(0)
	s_barrier
	ds_read2_b64 v[12:15], v125 offset1:1
	ds_read2_b64 v[8:11], v125 offset0:2 offset1:3
	v_addc_co_u32_e64 v17, s[8:9], 0, v45, s[8:9]
	s_waitcnt lgkmcnt(0)
	s_barrier
	s_cbranch_vccnz .LBB98_122
; %bb.95:                               ;   in Loop: Header=BB98_72 Depth=1
	v_pk_mov_b32 v[96:97], 0, 0
	v_cmp_gt_i32_e32 vcc, s17, v140
	v_pk_mov_b32 v[94:95], v[96:97], v[96:97] op_sel:[0,1]
	s_and_saveexec_b64 s[8:9], vcc
	s_cbranch_execz .LBB98_97
; %bb.96:                               ;   in Loop: Header=BB98_72 Depth=1
	global_load_dwordx2 v[94:95], v[16:17], off
.LBB98_97:                              ;   in Loop: Header=BB98_72 Depth=1
	s_or_b64 exec, exec, s[8:9]
	v_cmp_gt_i32_e32 vcc, s17, v141
	s_and_saveexec_b64 s[8:9], vcc
	s_cbranch_execz .LBB98_99
; %bb.98:                               ;   in Loop: Header=BB98_72 Depth=1
	v_add_co_u32_e32 v18, vcc, v48, v28
	v_addc_co_u32_e32 v19, vcc, 0, v47, vcc
	global_load_dwordx2 v[96:97], v[18:19], off
.LBB98_99:                              ;   in Loop: Header=BB98_72 Depth=1
	s_or_b64 exec, exec, s[8:9]
	v_pk_mov_b32 v[100:101], 0, 0
	v_cmp_gt_i32_e32 vcc, s17, v142
	v_pk_mov_b32 v[98:99], v[100:101], v[100:101] op_sel:[0,1]
	s_and_saveexec_b64 s[8:9], vcc
	s_cbranch_execz .LBB98_101
; %bb.100:                              ;   in Loop: Header=BB98_72 Depth=1
	v_add_co_u32_e32 v18, vcc, v50, v28
	v_addc_co_u32_e32 v19, vcc, 0, v49, vcc
	global_load_dwordx2 v[98:99], v[18:19], off
.LBB98_101:                             ;   in Loop: Header=BB98_72 Depth=1
	s_or_b64 exec, exec, s[8:9]
	v_cmp_gt_i32_e32 vcc, s17, v143
	s_and_saveexec_b64 s[8:9], vcc
	s_cbranch_execz .LBB98_103
; %bb.102:                              ;   in Loop: Header=BB98_72 Depth=1
	v_add_co_u32_e32 v18, vcc, v52, v28
	v_addc_co_u32_e32 v19, vcc, 0, v51, vcc
	global_load_dwordx2 v[100:101], v[18:19], off
.LBB98_103:                             ;   in Loop: Header=BB98_72 Depth=1
	s_or_b64 exec, exec, s[8:9]
	s_branch .LBB98_105
.LBB98_104:                             ;   in Loop: Header=BB98_72 Depth=1
	global_load_dwordx2 v[94:95], v[16:17], off
	v_add_co_u32_e32 v16, vcc, v48, v28
	v_addc_co_u32_e32 v17, vcc, 0, v47, vcc
	global_load_dwordx2 v[96:97], v[16:17], off
	v_add_co_u32_e32 v16, vcc, v50, v28
	v_addc_co_u32_e32 v17, vcc, 0, v49, vcc
	;; [unrolled: 3-line block ×3, first 2 shown]
	global_load_dwordx2 v[100:101], v[16:17], off
.LBB98_105:                             ;   in Loop: Header=BB98_72 Depth=1
	ds_read_b64 v[16:17], v131
	ds_read_b64 v[102:103], v127 offset:256
	s_and_b64 vcc, exec, s[4:5]
	v_add_co_u32_e64 v118, s[4:5], v54, v28
	s_waitcnt vmcnt(0) lgkmcnt(1)
	v_mul_f64 v[18:19], v[94:95], v[16:17]
	v_mul_f64 v[20:21], v[96:97], v[16:17]
	ds_write_b64 v135, v[18:19]
	v_mul_f64 v[22:23], v[98:99], v[16:17]
	ds_read_b64 v[104:105], v127 offset:264
	ds_write_b64 v135, v[20:21] offset:536
	ds_read_b64 v[106:107], v127 offset:272
	ds_write_b64 v135, v[22:23] offset:1072
	v_mul_f64 v[16:17], v[100:101], v[16:17]
	ds_read_b64 v[108:109], v127 offset:280
	ds_write_b64 v135, v[16:17] offset:1608
	s_waitcnt lgkmcnt(0)
	s_barrier
	ds_read2_b64 v[20:23], v125 offset1:1
	ds_read2_b64 v[16:19], v125 offset0:2 offset1:3
	v_addc_co_u32_e64 v119, s[4:5], 0, v53, s[4:5]
	s_waitcnt lgkmcnt(0)
	s_barrier
	s_cbranch_vccnz .LBB98_123
; %bb.106:                              ;   in Loop: Header=BB98_72 Depth=1
	v_pk_mov_b32 v[112:113], 0, 0
	v_cmp_gt_i32_e32 vcc, s17, v144
	v_pk_mov_b32 v[110:111], v[112:113], v[112:113] op_sel:[0,1]
	s_and_saveexec_b64 s[4:5], vcc
	s_cbranch_execz .LBB98_108
; %bb.107:                              ;   in Loop: Header=BB98_72 Depth=1
	global_load_dwordx2 v[110:111], v[118:119], off
.LBB98_108:                             ;   in Loop: Header=BB98_72 Depth=1
	s_or_b64 exec, exec, s[4:5]
	v_cmp_gt_i32_e32 vcc, s17, v145
	s_and_saveexec_b64 s[4:5], vcc
	s_cbranch_execz .LBB98_110
; %bb.109:                              ;   in Loop: Header=BB98_72 Depth=1
	v_add_co_u32_e32 v112, vcc, v56, v28
	v_addc_co_u32_e32 v113, vcc, 0, v55, vcc
	global_load_dwordx2 v[112:113], v[112:113], off
.LBB98_110:                             ;   in Loop: Header=BB98_72 Depth=1
	s_or_b64 exec, exec, s[4:5]
	v_pk_mov_b32 v[116:117], 0, 0
	v_cmp_gt_i32_e32 vcc, s17, v146
	v_pk_mov_b32 v[114:115], v[116:117], v[116:117] op_sel:[0,1]
	s_and_saveexec_b64 s[4:5], vcc
	s_cbranch_execz .LBB98_112
; %bb.111:                              ;   in Loop: Header=BB98_72 Depth=1
	v_add_co_u32_e32 v114, vcc, v58, v28
	v_addc_co_u32_e32 v115, vcc, 0, v57, vcc
	global_load_dwordx2 v[114:115], v[114:115], off
.LBB98_112:                             ;   in Loop: Header=BB98_72 Depth=1
	s_or_b64 exec, exec, s[4:5]
	v_cmp_gt_i32_e32 vcc, s17, v147
	s_and_saveexec_b64 s[4:5], vcc
	s_cbranch_execz .LBB98_114
; %bb.113:                              ;   in Loop: Header=BB98_72 Depth=1
	v_add_co_u32_e32 v116, vcc, v60, v28
	v_addc_co_u32_e32 v117, vcc, 0, v59, vcc
	global_load_dwordx2 v[116:117], v[116:117], off
.LBB98_114:                             ;   in Loop: Header=BB98_72 Depth=1
	s_or_b64 exec, exec, s[4:5]
	s_branch .LBB98_116
.LBB98_115:                             ;   in Loop: Header=BB98_72 Depth=1
	s_waitcnt vmcnt(0)
	v_add_co_u32_e32 v112, vcc, v56, v28
	v_addc_co_u32_e32 v113, vcc, 0, v55, vcc
	v_add_co_u32_e32 v114, vcc, v58, v28
	v_addc_co_u32_e32 v115, vcc, 0, v57, vcc
	v_add_co_u32_e32 v116, vcc, v60, v28
	v_addc_co_u32_e32 v117, vcc, 0, v59, vcc
	global_load_dwordx2 v[110:111], v[118:119], off
	s_nop 0
	global_load_dwordx2 v[112:113], v[112:113], off
	s_nop 0
	;; [unrolled: 2-line block ×3, first 2 shown]
	global_load_dwordx2 v[116:117], v[116:117], off
.LBB98_116:                             ;   in Loop: Header=BB98_72 Depth=1
	v_add_f64 v[12:13], v[12:13], 0
	v_add_f64 v[12:13], v[12:13], v[14:15]
	ds_read_b64 v[14:15], v131
	v_add_f64 v[20:21], v[20:21], 0
	v_add_f64 v[20:21], v[20:21], v[22:23]
	;; [unrolled: 1-line block ×7, first 2 shown]
	ds_read_b64 v[4:5], v127 offset:384
	s_waitcnt vmcnt(0) lgkmcnt(1)
	v_mul_f64 v[8:9], v[110:111], v[14:15]
	ds_write_b64 v135, v[8:9]
	v_mul_f64 v[10:11], v[112:113], v[14:15]
	ds_read_b64 v[8:9], v127 offset:392
	ds_write_b64 v135, v[10:11] offset:536
	v_mul_f64 v[12:13], v[114:115], v[14:15]
	ds_read_b64 v[10:11], v127 offset:400
	ds_write_b64 v135, v[12:13] offset:1072
	;; [unrolled: 3-line block ×3, first 2 shown]
	s_waitcnt lgkmcnt(0)
	s_barrier
	ds_read2_b64 v[14:17], v125 offset1:1
	v_add_f64 v[6:7], v[18:19], v[6:7]
	ds_read2_b64 v[18:21], v125 offset0:2 offset1:3
	v_add_f64 v[0:1], v[6:7], v[0:1]
	v_add_f64 v[0:1], v[0:1], v[2:3]
	s_waitcnt lgkmcnt(1)
	v_add_f64 v[2:3], v[14:15], 0
	v_cmp_gt_i32_e32 vcc, s17, v61
	v_add_f64 v[2:3], v[2:3], v[16:17]
	s_or_b64 s[4:5], s[12:13], vcc
	s_waitcnt lgkmcnt(0)
	v_add_f64 v[2:3], v[2:3], v[18:19]
	s_and_b64 s[8:9], s[2:3], s[4:5]
	v_add_f64 v[2:3], v[2:3], v[20:21]
	s_barrier
	ds_write2_b64 v128, v[0:1], v[118:119] offset1:16
	ds_write2_b64 v128, v[22:23], v[2:3] offset0:32 offset1:48
	s_waitcnt lgkmcnt(0)
	s_barrier
	s_and_saveexec_b64 s[4:5], s[8:9]
	s_cbranch_execz .LBB98_118
; %bb.117:                              ;   in Loop: Header=BB98_72 Depth=1
	ds_read2_b64 v[0:3], v123 offset1:1
	ds_read2_b64 v[14:17], v123 offset0:2 offset1:3
	ds_read2_b64 v[18:21], v123 offset0:4 offset1:5
	;; [unrolled: 1-line block ×3, first 2 shown]
	s_waitcnt lgkmcnt(3)
	v_add_f64 v[0:1], v[0:1], v[2:3]
	s_waitcnt lgkmcnt(2)
	v_add_f64 v[0:1], v[0:1], v[14:15]
	v_add_f64 v[0:1], v[0:1], v[16:17]
	s_waitcnt lgkmcnt(1)
	v_add_f64 v[6:7], v[0:1], v[18:19]
	ds_read2_b64 v[0:3], v123 offset0:8 offset1:9
	ds_read2_b64 v[14:17], v123 offset0:10 offset1:11
	v_add_f64 v[6:7], v[6:7], v[20:21]
	s_waitcnt lgkmcnt(2)
	v_add_f64 v[6:7], v[6:7], v[148:149]
	v_add_f64 v[6:7], v[6:7], v[150:151]
	s_waitcnt lgkmcnt(1)
	v_add_f64 v[0:1], v[6:7], v[0:1]
	v_add_f64 v[6:7], v[0:1], v[2:3]
	ds_read2_b64 v[0:3], v123 offset0:12 offset1:13
	s_waitcnt lgkmcnt(1)
	v_add_f64 v[6:7], v[6:7], v[14:15]
	v_add_f64 v[6:7], v[6:7], v[16:17]
	ds_read_b64 v[14:15], v123 offset:112
	ds_read_b64 v[18:19], v124
	s_waitcnt lgkmcnt(2)
	v_add_f64 v[0:1], v[6:7], v[0:1]
	v_add_f64 v[0:1], v[0:1], v[2:3]
	v_add_u32_e32 v2, s16, v126
	v_ashrrev_i32_e32 v3, 31, v2
	v_lshlrev_b64 v[2:3], 3, v[2:3]
	s_waitcnt lgkmcnt(1)
	v_add_f64 v[0:1], v[0:1], v[14:15]
	v_mov_b32_e32 v6, s14
	v_add_co_u32_e32 v2, vcc, s7, v2
	s_waitcnt lgkmcnt(0)
	v_add_f64 v[0:1], v[0:1], v[18:19]
	v_addc_co_u32_e32 v3, vcc, v6, v3, vcc
	global_store_dwordx2 v[2:3], v[0:1], off
.LBB98_118:                             ;   in Loop: Header=BB98_72 Depth=1
	s_or_b64 exec, exec, s[4:5]
	v_mov_b32_e32 v0, s11
	v_add_co_u32_e32 v30, vcc, s10, v30
	v_addc_co_u32_e32 v29, vcc, v29, v0, vcc
	v_add_co_u32_e32 v32, vcc, s10, v32
	v_addc_co_u32_e32 v31, vcc, v31, v0, vcc
	;; [unrolled: 2-line block ×8, first 2 shown]
	v_fmac_f64_e32 v[26:27], v[62:63], v[70:71]
	v_add_co_u32_e32 v46, vcc, s10, v46
	v_fmac_f64_e32 v[26:27], v[64:65], v[72:73]
	v_addc_co_u32_e32 v45, vcc, v45, v0, vcc
	v_fmac_f64_e32 v[26:27], v[66:67], v[74:75]
	v_add_co_u32_e32 v48, vcc, s10, v48
	v_fmac_f64_e32 v[26:27], v[68:69], v[76:77]
	v_addc_co_u32_e32 v47, vcc, v47, v0, vcc
	;; [unrolled: 4-line block ×7, first 2 shown]
	v_fmac_f64_e32 v[26:27], v[114:115], v[10:11]
	s_add_i32 s4, s6, 1
	s_add_i32 s16, s16, 64
	;; [unrolled: 1-line block ×3, first 2 shown]
	v_add_co_u32_e32 v60, vcc, s10, v60
	v_fmac_f64_e32 v[26:27], v[116:117], v[12:13]
	s_cmp_ge_u32 s5, s33
	v_addc_co_u32_e32 v59, vcc, v59, v0, vcc
	s_barrier
	s_cbranch_scc1 .LBB98_124
; %bb.119:                              ;   in Loop: Header=BB98_72 Depth=1
	s_mov_b32 s6, s4
	s_cmp_eq_u32 s15, s6
	s_cselect_b32 s17, s36, 0
	s_and_saveexec_b64 s[4:5], s[0:1]
	s_cbranch_execnz .LBB98_69
	s_branch .LBB98_72
.LBB98_120:                             ;   in Loop: Header=BB98_72 Depth=1
                                        ; implicit-def: $vgpr68_vgpr69
                                        ; implicit-def: $vgpr66_vgpr67
                                        ; implicit-def: $vgpr64_vgpr65
                                        ; implicit-def: $vgpr62_vgpr63
	s_cbranch_execnz .LBB98_82
	s_branch .LBB98_83
.LBB98_121:                             ;   in Loop: Header=BB98_72 Depth=1
                                        ; implicit-def: $vgpr84_vgpr85
                                        ; implicit-def: $vgpr82_vgpr83
                                        ; implicit-def: $vgpr80_vgpr81
                                        ; implicit-def: $vgpr78_vgpr79
	s_cbranch_execnz .LBB98_93
	s_branch .LBB98_94
.LBB98_122:                             ;   in Loop: Header=BB98_72 Depth=1
                                        ; implicit-def: $vgpr100_vgpr101
                                        ; implicit-def: $vgpr98_vgpr99
                                        ; implicit-def: $vgpr96_vgpr97
                                        ; implicit-def: $vgpr94_vgpr95
	s_cbranch_execnz .LBB98_104
	s_branch .LBB98_105
.LBB98_123:                             ;   in Loop: Header=BB98_72 Depth=1
                                        ; implicit-def: $vgpr116_vgpr117
                                        ; implicit-def: $vgpr114_vgpr115
                                        ; implicit-def: $vgpr112_vgpr113
                                        ; implicit-def: $vgpr110_vgpr111
	s_cbranch_execnz .LBB98_115
	s_branch .LBB98_116
.LBB98_124:
	s_movk_i32 s2, 0x218
	v_cmp_gt_i32_e32 vcc, s24, v61
	v_mad_u32_u24 v0, v120, s2, v28
	s_or_b64 s[2:3], s[18:19], vcc
	s_and_b64 s[0:1], s[0:1], s[2:3]
	ds_write_b64 v0, v[26:27]
	s_waitcnt lgkmcnt(0)
	s_barrier
	s_and_saveexec_b64 s[2:3], s[0:1]
	s_cbranch_execz .LBB98_126
; %bb.125:
	ds_read2_b64 v[0:3], v28 offset1:67
	ds_read2_b64 v[4:7], v28 offset0:134 offset1:201
	v_lshlrev_b64 v[8:9], 3, v[24:25]
	v_mov_b32_e32 v10, s14
	s_waitcnt lgkmcnt(1)
	v_add_f64 v[0:1], v[0:1], v[2:3]
	s_waitcnt lgkmcnt(0)
	v_add_f64 v[0:1], v[0:1], v[4:5]
	v_add_co_u32_e32 v2, vcc, s7, v8
	v_add_f64 v[0:1], v[0:1], v[6:7]
	v_addc_co_u32_e32 v3, vcc, v10, v9, vcc
	global_store_dwordx2 v[2:3], v[0:1], off
.LBB98_126:
	s_endpgm
	.section	.rodata,"a",@progbits
	.p2align	6, 0x0
	.amdhsa_kernel _ZL26rocblas_hemvn_kernel_upperILb0ELi64ELi4ELi33ELi32ELi16EldPKdPdEviT6_lT7_lT5_lS4_lS5_lS3_lT8_i
		.amdhsa_group_segment_fixed_size 9600
		.amdhsa_private_segment_fixed_size 0
		.amdhsa_kernarg_size 376
		.amdhsa_user_sgpr_count 6
		.amdhsa_user_sgpr_private_segment_buffer 1
		.amdhsa_user_sgpr_dispatch_ptr 0
		.amdhsa_user_sgpr_queue_ptr 0
		.amdhsa_user_sgpr_kernarg_segment_ptr 1
		.amdhsa_user_sgpr_dispatch_id 0
		.amdhsa_user_sgpr_flat_scratch_init 0
		.amdhsa_user_sgpr_kernarg_preload_length 0
		.amdhsa_user_sgpr_kernarg_preload_offset 0
		.amdhsa_user_sgpr_private_segment_size 0
		.amdhsa_uses_dynamic_stack 0
		.amdhsa_system_sgpr_private_segment_wavefront_offset 0
		.amdhsa_system_sgpr_workgroup_id_x 1
		.amdhsa_system_sgpr_workgroup_id_y 0
		.amdhsa_system_sgpr_workgroup_id_z 1
		.amdhsa_system_sgpr_workgroup_info 0
		.amdhsa_system_vgpr_workitem_id 1
		.amdhsa_next_free_vgpr 152
		.amdhsa_next_free_sgpr 42
		.amdhsa_accum_offset 152
		.amdhsa_reserve_vcc 1
		.amdhsa_reserve_flat_scratch 0
		.amdhsa_float_round_mode_32 0
		.amdhsa_float_round_mode_16_64 0
		.amdhsa_float_denorm_mode_32 3
		.amdhsa_float_denorm_mode_16_64 3
		.amdhsa_dx10_clamp 1
		.amdhsa_ieee_mode 1
		.amdhsa_fp16_overflow 0
		.amdhsa_tg_split 0
		.amdhsa_exception_fp_ieee_invalid_op 0
		.amdhsa_exception_fp_denorm_src 0
		.amdhsa_exception_fp_ieee_div_zero 0
		.amdhsa_exception_fp_ieee_overflow 0
		.amdhsa_exception_fp_ieee_underflow 0
		.amdhsa_exception_fp_ieee_inexact 0
		.amdhsa_exception_int_div_zero 0
	.end_amdhsa_kernel
	.section	.text._ZL26rocblas_hemvn_kernel_upperILb0ELi64ELi4ELi33ELi32ELi16EldPKdPdEviT6_lT7_lT5_lS4_lS5_lS3_lT8_i,"axG",@progbits,_ZL26rocblas_hemvn_kernel_upperILb0ELi64ELi4ELi33ELi32ELi16EldPKdPdEviT6_lT7_lT5_lS4_lS5_lS3_lT8_i,comdat
.Lfunc_end98:
	.size	_ZL26rocblas_hemvn_kernel_upperILb0ELi64ELi4ELi33ELi32ELi16EldPKdPdEviT6_lT7_lT5_lS4_lS5_lS3_lT8_i, .Lfunc_end98-_ZL26rocblas_hemvn_kernel_upperILb0ELi64ELi4ELi33ELi32ELi16EldPKdPdEviT6_lT7_lT5_lS4_lS5_lS3_lT8_i
                                        ; -- End function
	.section	.AMDGPU.csdata,"",@progbits
; Kernel info:
; codeLenInByte = 7268
; NumSgprs: 46
; NumVgprs: 152
; NumAgprs: 0
; TotalNumVgprs: 152
; ScratchSize: 0
; MemoryBound: 0
; FloatMode: 240
; IeeeMode: 1
; LDSByteSize: 9600 bytes/workgroup (compile time only)
; SGPRBlocks: 5
; VGPRBlocks: 18
; NumSGPRsForWavesPerEU: 46
; NumVGPRsForWavesPerEU: 152
; AccumOffset: 152
; Occupancy: 3
; WaveLimiterHint : 1
; COMPUTE_PGM_RSRC2:SCRATCH_EN: 0
; COMPUTE_PGM_RSRC2:USER_SGPR: 6
; COMPUTE_PGM_RSRC2:TRAP_HANDLER: 0
; COMPUTE_PGM_RSRC2:TGID_X_EN: 1
; COMPUTE_PGM_RSRC2:TGID_Y_EN: 0
; COMPUTE_PGM_RSRC2:TGID_Z_EN: 1
; COMPUTE_PGM_RSRC2:TIDIG_COMP_CNT: 1
; COMPUTE_PGM_RSRC3_GFX90A:ACCUM_OFFSET: 37
; COMPUTE_PGM_RSRC3_GFX90A:TG_SPLIT: 0
	.section	.text._ZL36rocblas_hemvn_kernel_upper_block_sumILi64EldPddEviT1_lS1_lT2_lT0_lPT3_i,"axG",@progbits,_ZL36rocblas_hemvn_kernel_upper_block_sumILi64EldPddEviT1_lS1_lT2_lT0_lPT3_i,comdat
	.globl	_ZL36rocblas_hemvn_kernel_upper_block_sumILi64EldPddEviT1_lS1_lT2_lT0_lPT3_i ; -- Begin function _ZL36rocblas_hemvn_kernel_upper_block_sumILi64EldPddEviT1_lS1_lT2_lT0_lPT3_i
	.p2align	8
	.type	_ZL36rocblas_hemvn_kernel_upper_block_sumILi64EldPddEviT1_lS1_lT2_lT0_lPT3_i,@function
_ZL36rocblas_hemvn_kernel_upper_block_sumILi64EldPddEviT1_lS1_lT2_lT0_lPT3_i: ; @_ZL36rocblas_hemvn_kernel_upper_block_sumILi64EldPddEviT1_lS1_lT2_lT0_lPT3_i
; %bb.0:
	s_load_dwordx2 s[2:3], s[4:5], 0x8
	s_load_dwordx2 s[16:17], s[4:5], 0x18
	s_waitcnt lgkmcnt(0)
	v_cmp_eq_f64_e64 s[0:1], s[2:3], 0
	v_cmp_eq_f64_e64 s[8:9], s[16:17], 1.0
	s_and_b64 s[0:1], s[0:1], s[8:9]
	s_and_b64 vcc, exec, s[0:1]
	s_cbranch_vccnz .LBB99_19
; %bb.1:
	s_load_dwordx8 s[8:15], s[4:5], 0x30
	s_load_dwordx2 s[0:1], s[4:5], 0x28
	s_load_dword s18, s[4:5], 0x0
	v_lshl_or_b32 v0, s6, 6, v0
	s_waitcnt lgkmcnt(0)
	s_mul_i32 s13, s7, s13
	s_mul_hi_u32 s19, s7, s12
	s_mul_i32 s12, s7, s12
	s_add_i32 s13, s19, s13
	s_lshl_b64 s[12:13], s[12:13], 3
	s_add_u32 s12, s0, s12
	s_addc_u32 s13, s1, s13
	s_lshl_b64 s[0:1], s[8:9], 3
	s_add_u32 s22, s12, s0
	s_addc_u32 s23, s13, s1
	v_cmp_neq_f64_e64 s[0:1], s[2:3], 0
	s_mov_b64 s[8:9], 0
	s_and_b64 vcc, exec, s[0:1]
	v_cmp_gt_i32_e64 s[0:1], s18, v0
	s_cbranch_vccnz .LBB99_6
; %bb.2:
	s_mov_b64 s[12:13], 0
                                        ; implicit-def: $vgpr4_vgpr5
                                        ; implicit-def: $vgpr2_vgpr3
	s_and_saveexec_b64 s[20:21], s[0:1]
	s_cbranch_execz .LBB99_7
; %bb.3:
	v_ashrrev_i32_e32 v1, 31, v0
	v_cmp_eq_f64_e64 s[0:1], s[16:17], 0
	v_mul_lo_u32 v6, v0, s11
	v_mul_lo_u32 v1, v1, s10
	v_mad_u64_u32 v[2:3], s[8:9], v0, s10, 0
	v_pk_mov_b32 v[4:5], 0, 0
	v_add3_u32 v3, v3, v6, v1
	s_and_b64 vcc, exec, s[0:1]
	s_cbranch_vccnz .LBB99_5
; %bb.4:
	v_lshlrev_b64 v[4:5], 3, v[2:3]
	v_mov_b32_e32 v1, s23
	v_add_co_u32_e32 v4, vcc, s22, v4
	v_addc_co_u32_e32 v5, vcc, v1, v5, vcc
	global_load_dwordx2 v[4:5], v[4:5], off
	s_waitcnt vmcnt(0)
	v_mul_f64 v[4:5], v[4:5], s[16:17]
.LBB99_5:
	s_mov_b64 s[8:9], exec
	s_or_b64 exec, exec, s[20:21]
	s_and_b64 vcc, exec, s[12:13]
	s_cbranch_vccnz .LBB99_8
	s_branch .LBB99_17
.LBB99_6:
                                        ; implicit-def: $vgpr4_vgpr5
                                        ; implicit-def: $vgpr2_vgpr3
	s_cbranch_execnz .LBB99_8
	s_branch .LBB99_17
.LBB99_7:
	s_or_b64 exec, exec, s[20:21]
	s_and_b64 vcc, exec, s[12:13]
	s_cbranch_vccz .LBB99_17
.LBB99_8:
	v_cmp_gt_i32_e32 vcc, s18, v0
                                        ; implicit-def: $vgpr4_vgpr5
                                        ; implicit-def: $vgpr2_vgpr3
	s_and_saveexec_b64 s[0:1], vcc
	s_cbranch_execz .LBB99_16
; %bb.9:
	v_ashrrev_i32_e32 v1, 31, v0
	s_cmp_lt_i32 s6, 0
	v_pk_mov_b32 v[6:7], 0, 0
	s_cbranch_scc1 .LBB99_12
; %bb.10:
	s_load_dword s4, s[4:5], 0x58
	s_ashr_i32 s19, s18, 31
	s_mul_hi_u32 s5, s18, s7
	s_mul_i32 s12, s19, s7
	s_add_i32 s5, s5, s12
	s_mul_i32 s7, s18, s7
	s_waitcnt lgkmcnt(0)
	s_mul_i32 s5, s5, s4
	s_mul_hi_u32 s12, s7, s4
	s_add_i32 s5, s12, s5
	s_mul_i32 s4, s7, s4
	s_lshl_b64 s[4:5], s[4:5], 3
	s_add_u32 s4, s14, s4
	s_addc_u32 s5, s15, s5
	v_lshlrev_b64 v[2:3], 3, v[0:1]
	v_mov_b32_e32 v4, s5
	v_add_co_u32_e32 v2, vcc, s4, v2
	s_lshl_b64 s[4:5], s[18:19], 3
	v_addc_co_u32_e32 v3, vcc, v4, v3, vcc
	s_add_i32 s6, s6, 1
	v_pk_mov_b32 v[6:7], 0, 0
	v_mov_b32_e32 v4, s5
.LBB99_11:                              ; =>This Inner Loop Header: Depth=1
	global_load_dwordx2 v[8:9], v[2:3], off
	s_add_i32 s6, s6, -1
	v_add_co_u32_e32 v2, vcc, s4, v2
	v_addc_co_u32_e32 v3, vcc, v3, v4, vcc
	s_cmp_eq_u32 s6, 0
	s_waitcnt vmcnt(0)
	v_add_f64 v[6:7], v[6:7], v[8:9]
	s_cbranch_scc0 .LBB99_11
.LBB99_12:
	v_cmp_eq_f64_e64 s[6:7], s[16:17], 0
	s_mov_b64 s[4:5], 0
	s_and_b64 vcc, exec, s[6:7]
	v_mul_lo_u32 v1, v1, s10
	v_mul_lo_u32 v8, v0, s11
	s_cbranch_vccz .LBB99_20
; %bb.13:
	v_mad_u64_u32 v[2:3], s[6:7], v0, s10, 0
	v_mul_f64 v[4:5], v[6:7], s[2:3]
	v_add3_u32 v3, v3, v8, v1
	s_andn2_b64 vcc, exec, s[4:5]
	s_cbranch_vccnz .LBB99_15
.LBB99_14:
	v_mad_u64_u32 v[2:3], s[4:5], v0, s10, 0
	v_add3_u32 v3, v3, v8, v1
	v_lshlrev_b64 v[0:1], 3, v[2:3]
	v_mov_b32_e32 v4, s23
	v_add_co_u32_e32 v0, vcc, s22, v0
	v_addc_co_u32_e32 v1, vcc, v4, v1, vcc
	global_load_dwordx2 v[0:1], v[0:1], off
	s_waitcnt vmcnt(0)
	v_mul_f64 v[4:5], v[0:1], s[16:17]
	v_fmac_f64_e32 v[4:5], s[2:3], v[6:7]
.LBB99_15:
	s_or_b64 s[8:9], s[8:9], exec
.LBB99_16:
	s_or_b64 exec, exec, s[0:1]
.LBB99_17:
	s_and_saveexec_b64 s[0:1], s[8:9]
	s_cbranch_execz .LBB99_19
; %bb.18:
	v_lshlrev_b64 v[0:1], 3, v[2:3]
	v_mov_b32_e32 v2, s23
	v_add_co_u32_e32 v0, vcc, s22, v0
	v_addc_co_u32_e32 v1, vcc, v2, v1, vcc
	global_store_dwordx2 v[0:1], v[4:5], off
.LBB99_19:
	s_endpgm
.LBB99_20:
                                        ; implicit-def: $vgpr4_vgpr5
                                        ; implicit-def: $vgpr2_vgpr3
	s_branch .LBB99_14
	.section	.rodata,"a",@progbits
	.p2align	6, 0x0
	.amdhsa_kernel _ZL36rocblas_hemvn_kernel_upper_block_sumILi64EldPddEviT1_lS1_lT2_lT0_lPT3_i
		.amdhsa_group_segment_fixed_size 0
		.amdhsa_private_segment_fixed_size 0
		.amdhsa_kernarg_size 344
		.amdhsa_user_sgpr_count 6
		.amdhsa_user_sgpr_private_segment_buffer 1
		.amdhsa_user_sgpr_dispatch_ptr 0
		.amdhsa_user_sgpr_queue_ptr 0
		.amdhsa_user_sgpr_kernarg_segment_ptr 1
		.amdhsa_user_sgpr_dispatch_id 0
		.amdhsa_user_sgpr_flat_scratch_init 0
		.amdhsa_user_sgpr_kernarg_preload_length 0
		.amdhsa_user_sgpr_kernarg_preload_offset 0
		.amdhsa_user_sgpr_private_segment_size 0
		.amdhsa_uses_dynamic_stack 0
		.amdhsa_system_sgpr_private_segment_wavefront_offset 0
		.amdhsa_system_sgpr_workgroup_id_x 1
		.amdhsa_system_sgpr_workgroup_id_y 0
		.amdhsa_system_sgpr_workgroup_id_z 1
		.amdhsa_system_sgpr_workgroup_info 0
		.amdhsa_system_vgpr_workitem_id 0
		.amdhsa_next_free_vgpr 10
		.amdhsa_next_free_sgpr 24
		.amdhsa_accum_offset 12
		.amdhsa_reserve_vcc 1
		.amdhsa_reserve_flat_scratch 0
		.amdhsa_float_round_mode_32 0
		.amdhsa_float_round_mode_16_64 0
		.amdhsa_float_denorm_mode_32 3
		.amdhsa_float_denorm_mode_16_64 3
		.amdhsa_dx10_clamp 1
		.amdhsa_ieee_mode 1
		.amdhsa_fp16_overflow 0
		.amdhsa_tg_split 0
		.amdhsa_exception_fp_ieee_invalid_op 0
		.amdhsa_exception_fp_denorm_src 0
		.amdhsa_exception_fp_ieee_div_zero 0
		.amdhsa_exception_fp_ieee_overflow 0
		.amdhsa_exception_fp_ieee_underflow 0
		.amdhsa_exception_fp_ieee_inexact 0
		.amdhsa_exception_int_div_zero 0
	.end_amdhsa_kernel
	.section	.text._ZL36rocblas_hemvn_kernel_upper_block_sumILi64EldPddEviT1_lS1_lT2_lT0_lPT3_i,"axG",@progbits,_ZL36rocblas_hemvn_kernel_upper_block_sumILi64EldPddEviT1_lS1_lT2_lT0_lPT3_i,comdat
.Lfunc_end99:
	.size	_ZL36rocblas_hemvn_kernel_upper_block_sumILi64EldPddEviT1_lS1_lT2_lT0_lPT3_i, .Lfunc_end99-_ZL36rocblas_hemvn_kernel_upper_block_sumILi64EldPddEviT1_lS1_lT2_lT0_lPT3_i
                                        ; -- End function
	.section	.AMDGPU.csdata,"",@progbits
; Kernel info:
; codeLenInByte = 656
; NumSgprs: 28
; NumVgprs: 10
; NumAgprs: 0
; TotalNumVgprs: 10
; ScratchSize: 0
; MemoryBound: 0
; FloatMode: 240
; IeeeMode: 1
; LDSByteSize: 0 bytes/workgroup (compile time only)
; SGPRBlocks: 3
; VGPRBlocks: 1
; NumSGPRsForWavesPerEU: 28
; NumVGPRsForWavesPerEU: 10
; AccumOffset: 12
; Occupancy: 8
; WaveLimiterHint : 0
; COMPUTE_PGM_RSRC2:SCRATCH_EN: 0
; COMPUTE_PGM_RSRC2:USER_SGPR: 6
; COMPUTE_PGM_RSRC2:TRAP_HANDLER: 0
; COMPUTE_PGM_RSRC2:TGID_X_EN: 1
; COMPUTE_PGM_RSRC2:TGID_Y_EN: 0
; COMPUTE_PGM_RSRC2:TGID_Z_EN: 1
; COMPUTE_PGM_RSRC2:TIDIG_COMP_CNT: 0
; COMPUTE_PGM_RSRC3_GFX90A:ACCUM_OFFSET: 2
; COMPUTE_PGM_RSRC3_GFX90A:TG_SPLIT: 0
	.section	.text._ZL26rocblas_hemvn_kernel_upperILb0ELi64ELi4ELi33ELi32ELi16EidPKdPdEviT6_lT7_lT5_lS4_lS5_lS3_lT8_i,"axG",@progbits,_ZL26rocblas_hemvn_kernel_upperILb0ELi64ELi4ELi33ELi32ELi16EidPKdPdEviT6_lT7_lT5_lS4_lS5_lS3_lT8_i,comdat
	.globl	_ZL26rocblas_hemvn_kernel_upperILb0ELi64ELi4ELi33ELi32ELi16EidPKdPdEviT6_lT7_lT5_lS4_lS5_lS3_lT8_i ; -- Begin function _ZL26rocblas_hemvn_kernel_upperILb0ELi64ELi4ELi33ELi32ELi16EidPKdPdEviT6_lT7_lT5_lS4_lS5_lS3_lT8_i
	.p2align	8
	.type	_ZL26rocblas_hemvn_kernel_upperILb0ELi64ELi4ELi33ELi32ELi16EidPKdPdEviT6_lT7_lT5_lS4_lS5_lS3_lT8_i,@function
_ZL26rocblas_hemvn_kernel_upperILb0ELi64ELi4ELi33ELi32ELi16EidPKdPdEviT6_lT7_lT5_lS4_lS5_lS3_lT8_i: ; @_ZL26rocblas_hemvn_kernel_upperILb0ELi64ELi4ELi33ELi32ELi16EidPKdPdEviT6_lT7_lT5_lS4_lS5_lS3_lT8_i
; %bb.0:
	s_load_dwordx2 s[0:1], s[4:5], 0x84
	s_add_u32 s12, s4, 0x78
	s_addc_u32 s13, s5, 0
	s_waitcnt lgkmcnt(0)
	s_lshr_b32 s2, s0, 16
	s_and_b32 s0, s0, 0xffff
	s_and_b32 s1, s1, 0xffff
	s_mul_i32 s0, s2, s0
	s_mul_i32 s0, s0, s1
	s_cmpk_lg_i32 s0, 0x100
	s_cbranch_scc1 .LBB100_126
; %bb.1:
	s_load_dwordx2 s[8:9], s[4:5], 0x8
	s_load_dwordx4 s[0:3], s[4:5], 0x50
	s_waitcnt lgkmcnt(0)
	v_cmp_eq_f64_e64 s[8:9], s[8:9], 0
	v_cmp_eq_f64_e64 s[2:3], s[2:3], 1.0
	s_and_b64 s[2:3], s[8:9], s[2:3]
	s_and_b64 vcc, exec, s[2:3]
	s_cbranch_vccnz .LBB100_126
; %bb.2:
	s_and_b64 vcc, exec, s[8:9]
	s_cbranch_vccnz .LBB100_126
; %bb.3:
	s_load_dword s33, s[12:13], 0x0
	s_load_dword s40, s[4:5], 0x0
	s_load_dwordx4 s[8:11], s[4:5], 0x30
	s_load_dwordx2 s[2:3], s[4:5], 0x40
	s_load_dword s39, s[4:5], 0x48
	s_mul_i32 s1, s7, s1
	s_mul_hi_u32 s12, s7, s0
	s_add_i32 s1, s12, s1
	s_mul_i32 s0, s7, s0
	s_lshl_b64 s[0:1], s[0:1], 3
	s_waitcnt lgkmcnt(0)
	s_add_u32 s10, s10, s0
	s_addc_u32 s11, s11, s1
	s_lshl_b64 s[0:1], s[2:3], 3
	s_add_u32 s0, s10, s0
	s_addc_u32 s1, s11, s1
	v_and_b32_e32 v26, 0x3ff, v0
	s_lshl_b32 s22, s6, 6
	s_ashr_i32 s41, s40, 31
	s_lshr_b32 s3, s41, 26
	v_add_u32_e32 v24, s22, v26
	v_bfe_u32 v77, v0, 10, 10
	s_add_i32 s3, s40, s3
	v_mul_lo_u32 v0, v24, s39
	s_andn2_b32 s3, s3, 63
	v_ashrrev_i32_e32 v1, 31, v0
	s_add_i32 s2, s33, -1
	s_sub_i32 s38, s40, s3
	v_lshlrev_b64 v[0:1], 3, v[0:1]
	s_cmp_eq_u32 s6, s2
	v_mov_b32_e32 v2, s1
	v_add_co_u32_e32 v14, vcc, s0, v0
	s_cselect_b32 s18, s38, 0
	v_addc_co_u32_e32 v15, vcc, v2, v1, vcc
	v_cmp_eq_u32_e64 s[0:1], 0, v77
	s_and_saveexec_b64 s[2:3], s[0:1]
	s_cbranch_execz .LBB100_7
; %bb.4:
	s_cmp_eq_u32 s18, 0
	s_cselect_b64 s[10:11], -1, 0
	v_cmp_gt_i32_e32 vcc, s18, v26
	s_or_b64 s[12:13], s[10:11], vcc
	v_pk_mov_b32 v[0:1], 0, 0
	s_and_saveexec_b64 s[10:11], s[12:13]
	s_cbranch_execz .LBB100_6
; %bb.5:
	global_load_dwordx2 v[0:1], v[14:15], off
.LBB100_6:
	s_or_b64 exec, exec, s[10:11]
	v_lshlrev_b32_e32 v2, 3, v26
	s_waitcnt vmcnt(0)
	ds_write_b64 v2, v[0:1] offset:9088
.LBB100_7:
	s_or_b64 exec, exec, s[2:3]
	s_load_dwordx4 s[12:15], s[4:5], 0x18
	s_load_dword s24, s[4:5], 0x28
	s_mul_i32 s2, s7, s9
	s_mul_hi_u32 s3, s7, s8
	s_add_i32 s3, s3, s2
	s_mul_i32 s2, s7, s8
	s_lshl_b64 s[2:3], s[2:3], 3
	s_waitcnt lgkmcnt(0)
	s_add_u32 s8, s12, s2
	s_addc_u32 s9, s13, s3
	s_lshl_b64 s[2:3], s[14:15], 3
	s_add_u32 s8, s8, s2
	s_addc_u32 s9, s9, s3
	s_ashr_i32 s23, s22, 31
	v_lshl_add_u32 v79, v77, 6, v26
	s_lshl_b64 s[2:3], s[22:23], 3
	v_and_b32_e32 v0, 31, v26
	v_lshrrev_b32_e32 v1, 5, v79
	s_add_u32 s8, s8, s2
	s_addc_u32 s9, s9, s3
	v_mad_u64_u32 v[12:13], s[2:3], v1, s24, v[0:1]
	s_mul_i32 s2, s22, s24
	s_ashr_i32 s3, s2, 31
	s_lshl_b64 s[2:3], s[2:3], 3
	s_add_u32 s2, s2, s8
	v_ashrrev_i32_e32 v13, 31, v12
	s_addc_u32 s3, s3, s9
	v_lshlrev_b64 v[16:17], 3, v[12:13]
	s_cmp_eq_u32 s18, 0
	v_mov_b32_e32 v2, s3
	v_add_co_u32_e32 v4, vcc, s2, v16
	s_cselect_b64 s[20:21], -1, 0
	s_cmp_lg_u32 s18, 0
	v_addc_co_u32_e32 v5, vcc, v2, v17, vcc
	s_cselect_b64 s[30:31], -1, 0
	s_and_b64 vcc, exec, s[30:31]
	v_cmp_gt_i32_e64 s[2:3], s18, v0
	v_lshlrev_b32_e32 v13, 3, v0
	s_cbranch_vccz .LBB100_17
; %bb.8:
	v_sub_co_u32_e32 v2, vcc, v4, v13
	s_ashr_i32 s19, s18, 31
	v_subbrev_co_u32_e32 v3, vcc, 0, v5, vcc
	s_lshl_b64 s[8:9], s[18:19], 3
	v_mov_b32_e32 v6, s9
	v_add_co_u32_e32 v2, vcc, s8, v2
	v_addc_co_u32_e32 v3, vcc, v3, v6, vcc
	v_add_co_u32_e32 v2, vcc, -8, v2
	v_addc_co_u32_e32 v3, vcc, -1, v3, vcc
	v_pk_mov_b32 v[6:7], 0, 0
	v_cndmask_b32_e64 v3, v3, v5, s[2:3]
	v_cndmask_b32_e64 v2, v2, v4, s[2:3]
	v_cmp_gt_i32_e32 vcc, s18, v1
	v_pk_mov_b32 v[8:9], v[6:7], v[6:7] op_sel:[0,1]
	s_and_saveexec_b64 s[10:11], vcc
	s_cbranch_execz .LBB100_10
; %bb.9:
	global_load_dwordx2 v[8:9], v[2:3], off
.LBB100_10:
	s_or_b64 exec, exec, s[10:11]
	v_mul_u32_u24_e32 v10, 33, v1
	v_add_lshl_u32 v10, v10, v0, 3
	s_waitcnt vmcnt(0)
	ds_write_b64 v10, v[8:9]
	v_add_u32_e32 v8, 8, v1
	v_cmp_gt_i32_e32 vcc, s18, v8
	s_and_saveexec_b64 s[10:11], vcc
	s_cbranch_execz .LBB100_12
; %bb.11:
	s_lshl_b32 s12, s24, 3
	s_ashr_i32 s13, s12, 31
	s_lshl_b64 s[12:13], s[12:13], 3
	v_mov_b32_e32 v7, s13
	v_add_co_u32_e32 v6, vcc, s12, v2
	v_addc_co_u32_e32 v7, vcc, v3, v7, vcc
	global_load_dwordx2 v[6:7], v[6:7], off
.LBB100_12:
	s_or_b64 exec, exec, s[10:11]
	s_waitcnt vmcnt(0)
	ds_write_b64 v10, v[6:7] offset:2112
	v_add_u32_e32 v6, 16, v1
	v_cmp_gt_i32_e32 vcc, s18, v6
	v_pk_mov_b32 v[6:7], 0, 0
	v_pk_mov_b32 v[8:9], v[6:7], v[6:7] op_sel:[0,1]
	s_and_saveexec_b64 s[10:11], vcc
	s_cbranch_execz .LBB100_14
; %bb.13:
	s_lshl_b32 s12, s24, 4
	s_ashr_i32 s13, s12, 31
	s_lshl_b64 s[12:13], s[12:13], 3
	v_mov_b32_e32 v9, s13
	v_add_co_u32_e32 v8, vcc, s12, v2
	v_addc_co_u32_e32 v9, vcc, v3, v9, vcc
	global_load_dwordx2 v[8:9], v[8:9], off
.LBB100_14:
	s_or_b64 exec, exec, s[10:11]
	s_waitcnt vmcnt(0)
	ds_write_b64 v10, v[8:9] offset:4224
	v_add_u32_e32 v8, 24, v1
	v_cmp_gt_i32_e32 vcc, s18, v8
	s_and_saveexec_b64 s[10:11], vcc
	s_cbranch_execz .LBB100_16
; %bb.15:
	s_mul_i32 s12, s24, 24
	s_ashr_i32 s13, s12, 31
	s_lshl_b64 s[12:13], s[12:13], 3
	v_mov_b32_e32 v7, s13
	v_add_co_u32_e32 v6, vcc, s12, v2
	v_addc_co_u32_e32 v7, vcc, v3, v7, vcc
	global_load_dwordx2 v[6:7], v[6:7], off
.LBB100_16:
	s_or_b64 exec, exec, s[10:11]
	v_add_co_u32_e32 v2, vcc, v2, v13
	v_addc_co_u32_e32 v3, vcc, 0, v3, vcc
	s_waitcnt vmcnt(0)
	ds_write_b64 v10, v[6:7] offset:6336
	v_mov_b32_e32 v6, s9
	v_subrev_co_u32_e32 v2, vcc, s8, v2
	v_subb_co_u32_e32 v3, vcc, v3, v6, vcc
	v_add_co_u32_e32 v2, vcc, 8, v2
	v_addc_co_u32_e32 v3, vcc, 0, v3, vcc
	v_cndmask_b32_e64 v3, v3, v5, s[2:3]
	v_cndmask_b32_e64 v2, v2, v4, s[2:3]
	v_mul_u32_u24_e32 v20, 33, v1
	s_branch .LBB100_19
.LBB100_17:
                                        ; implicit-def: $vgpr2_vgpr3
	v_mul_u32_u24_e32 v20, 33, v1
	s_cbranch_execz .LBB100_19
; %bb.18:
	s_lshl_b32 s2, s24, 3
	s_ashr_i32 s3, s2, 31
	s_lshl_b64 s[2:3], s[2:3], 3
	v_mov_b32_e32 v3, s3
	v_add_co_u32_e32 v2, vcc, s2, v4
	s_ashr_i32 s25, s24, 31
	v_addc_co_u32_e32 v3, vcc, v5, v3, vcc
	s_lshl_b64 s[2:3], s[24:25], 6
	global_load_dwordx2 v[6:7], v[4:5], off
	global_load_dwordx2 v[8:9], v[2:3], off
	v_mov_b32_e32 v18, s3
	v_add_co_u32_e32 v2, vcc, s2, v2
	v_addc_co_u32_e32 v3, vcc, v3, v18, vcc
	global_load_dwordx2 v[10:11], v[2:3], off
	v_add_co_u32_e32 v2, vcc, s2, v2
	v_addc_co_u32_e32 v3, vcc, v3, v18, vcc
	global_load_dwordx2 v[2:3], v[2:3], off
	v_add_lshl_u32 v18, v20, v0, 3
	s_waitcnt vmcnt(3)
	ds_write_b64 v18, v[6:7]
	s_waitcnt vmcnt(2)
	ds_write_b64 v18, v[8:9] offset:2112
	s_waitcnt vmcnt(1)
	ds_write_b64 v18, v[10:11] offset:4224
	s_waitcnt vmcnt(0)
	ds_write_b64 v18, v[2:3] offset:6336
	v_pk_mov_b32 v[2:3], v[4:5], v[4:5] op_sel:[0,1]
.LBB100_19:
	v_lshlrev_b32_e32 v4, 2, v1
	v_mul_u32_u24_e32 v21, 33, v0
	v_cmp_gt_u32_e64 s[16:17], v4, v0
	v_add_lshl_u32 v18, v4, v21, 3
	s_waitcnt lgkmcnt(0)
	s_barrier
	s_and_saveexec_b64 s[2:3], s[16:17]
	s_cbranch_execz .LBB100_21
; %bb.20:
	v_mul_u32_u24_e32 v5, 0x84, v1
	v_add_lshl_u32 v5, v5, v0, 3
	ds_read_b64 v[6:7], v5
	s_waitcnt lgkmcnt(0)
	ds_write_b64 v18, v[6:7]
.LBB100_21:
	s_or_b64 exec, exec, s[2:3]
	v_cmp_ge_u32_e64 s[8:9], v4, v0
	s_and_saveexec_b64 s[2:3], s[8:9]
	s_cbranch_execz .LBB100_23
; %bb.22:
	v_or_b32_e32 v5, 1, v4
	v_mul_u32_u24_e32 v5, 33, v5
	v_add_lshl_u32 v5, v5, v0, 3
	ds_read_b64 v[6:7], v5
	s_waitcnt lgkmcnt(0)
	ds_write_b64 v18, v[6:7] offset:8
.LBB100_23:
	s_or_b64 exec, exec, s[2:3]
	v_or_b32_e32 v5, 2, v4
	v_cmp_gt_u32_e64 s[10:11], v5, v0
	s_and_saveexec_b64 s[2:3], s[10:11]
	s_cbranch_execz .LBB100_25
; %bb.24:
	v_mul_u32_u24_e32 v5, 33, v5
	v_add_lshl_u32 v5, v5, v0, 3
	ds_read_b64 v[6:7], v5
	s_waitcnt lgkmcnt(0)
	ds_write_b64 v18, v[6:7] offset:16
.LBB100_25:
	s_or_b64 exec, exec, s[2:3]
	v_or_b32_e32 v5, 3, v4
	v_cmp_gt_u32_e64 s[12:13], v5, v0
	v_mad_u32_u24 v5, v5, 33, v0
	v_lshlrev_b32_e32 v30, 3, v5
	s_and_saveexec_b64 s[2:3], s[12:13]
	s_cbranch_execz .LBB100_27
; %bb.26:
	ds_read_b64 v[6:7], v30
	s_waitcnt lgkmcnt(0)
	ds_write_b64 v18, v[6:7] offset:24
.LBB100_27:
	s_or_b64 exec, exec, s[2:3]
	v_mul_u32_u24_e32 v5, 0x84, v1
	v_add_lshl_u32 v22, v5, v0, 3
	s_waitcnt lgkmcnt(0)
	s_barrier
	v_lshlrev_b32_e32 v19, 3, v4
	ds_read_b64 v[36:37], v22
	ds_read_b128 v[4:7], v19 offset:9088
	v_add_u32_e32 v31, 0xfffffdf0, v30
	ds_read2_b64 v[8:11], v31 offset1:33
	ds_read_b128 v[32:35], v19 offset:9104
	ds_read_b64 v[38:39], v30
	v_pk_mov_b32 v[28:29], 0, 0
	v_add_lshl_u32 v27, v1, v21, 3
	s_waitcnt lgkmcnt(3)
	v_fma_f64 v[4:5], v[36:37], v[4:5], 0
	s_waitcnt lgkmcnt(2)
	v_fmac_f64_e32 v[4:5], v[8:9], v[6:7]
	s_waitcnt lgkmcnt(1)
	v_fmac_f64_e32 v[4:5], v[10:11], v[32:33]
	;; [unrolled: 2-line block ×3, first 2 shown]
	v_cmp_gt_u32_e64 s[2:3], 32, v79
	v_lshlrev_b32_e32 v25, 3, v21
	s_barrier
	ds_write_b64 v27, v[4:5]
	s_waitcnt lgkmcnt(0)
	s_barrier
	s_and_saveexec_b64 s[14:15], s[2:3]
	s_cbranch_execz .LBB100_29
; %bb.28:
	ds_read2_b64 v[4:7], v25 offset1:1
	ds_read2_b64 v[8:11], v25 offset0:2 offset1:3
	ds_read2_b64 v[32:35], v25 offset0:4 offset1:5
	s_waitcnt lgkmcnt(2)
	v_add_f64 v[28:29], v[4:5], v[6:7]
	ds_read2_b64 v[4:7], v25 offset0:6 offset1:7
	s_waitcnt lgkmcnt(2)
	v_add_f64 v[8:9], v[28:29], v[8:9]
	v_add_f64 v[8:9], v[8:9], v[10:11]
	s_waitcnt lgkmcnt(1)
	v_add_f64 v[8:9], v[8:9], v[32:33]
	v_add_f64 v[8:9], v[8:9], v[34:35]
	;; [unrolled: 3-line block ×3, first 2 shown]
.LBB100_29:
	s_or_b64 exec, exec, s[14:15]
	s_lshl_b32 s28, s24, 5
	s_ashr_i32 s29, s28, 31
	s_lshl_b64 s[26:27], s[28:29], 3
	v_mov_b32_e32 v4, s27
	v_add_co_u32_e32 v6, vcc, s26, v2
	v_addc_co_u32_e32 v7, vcc, v3, v4, vcc
	v_add_co_u32_e32 v4, vcc, 0x100, v6
	v_addc_co_u32_e32 v5, vcc, 0, v7, vcc
	s_and_b64 vcc, exec, s[30:31]
	s_barrier
	s_cbranch_vccz .LBB100_39
; %bb.30:
	v_sub_co_u32_e32 v3, vcc, v4, v13
	s_ashr_i32 s19, s18, 31
	v_subbrev_co_u32_e32 v8, vcc, 0, v5, vcc
	s_lshl_b64 s[34:35], s[18:19], 3
	v_mov_b32_e32 v9, s35
	v_add_co_u32_e32 v3, vcc, s34, v3
	v_or_b32_e32 v2, 32, v0
	v_addc_co_u32_e32 v8, vcc, v8, v9, vcc
	v_add_co_u32_e32 v9, vcc, 0xfffffef8, v3
	v_cmp_gt_i32_e64 s[14:15], s18, v2
	v_addc_co_u32_e32 v3, vcc, -1, v8, vcc
	v_cndmask_b32_e64 v2, v9, v4, s[14:15]
	s_sub_i32 s19, s18, 32
	v_pk_mov_b32 v[8:9], 0, 0
	v_cndmask_b32_e64 v3, v3, v5, s[14:15]
	v_cmp_gt_i32_e32 vcc, s19, v1
	v_pk_mov_b32 v[10:11], v[8:9], v[8:9] op_sel:[0,1]
	s_and_saveexec_b64 s[36:37], vcc
	s_cbranch_execz .LBB100_32
; %bb.31:
	global_load_dwordx2 v[10:11], v[2:3], off
.LBB100_32:
	s_or_b64 exec, exec, s[36:37]
	v_add_lshl_u32 v23, v20, v0, 3
	s_waitcnt vmcnt(0)
	ds_write_b64 v23, v[10:11]
	v_add_u32_e32 v10, 8, v1
	v_cmp_gt_i32_e32 vcc, s19, v10
	s_and_saveexec_b64 s[36:37], vcc
	s_cbranch_execz .LBB100_34
; %bb.33:
	s_lshl_b32 s42, s24, 3
	s_ashr_i32 s43, s42, 31
	s_lshl_b64 s[42:43], s[42:43], 3
	v_mov_b32_e32 v9, s43
	v_add_co_u32_e32 v8, vcc, s42, v2
	v_addc_co_u32_e32 v9, vcc, v3, v9, vcc
	global_load_dwordx2 v[8:9], v[8:9], off
.LBB100_34:
	s_or_b64 exec, exec, s[36:37]
	s_waitcnt vmcnt(0)
	ds_write_b64 v23, v[8:9] offset:2112
	v_add_u32_e32 v8, 16, v1
	v_cmp_gt_i32_e32 vcc, s19, v8
	v_pk_mov_b32 v[8:9], 0, 0
	v_pk_mov_b32 v[10:11], v[8:9], v[8:9] op_sel:[0,1]
	s_and_saveexec_b64 s[36:37], vcc
	s_cbranch_execz .LBB100_36
; %bb.35:
	s_lshl_b32 s42, s24, 4
	s_ashr_i32 s43, s42, 31
	s_lshl_b64 s[42:43], s[42:43], 3
	v_mov_b32_e32 v11, s43
	v_add_co_u32_e32 v10, vcc, s42, v2
	v_addc_co_u32_e32 v11, vcc, v3, v11, vcc
	global_load_dwordx2 v[10:11], v[10:11], off
.LBB100_36:
	s_or_b64 exec, exec, s[36:37]
	s_waitcnt vmcnt(0)
	ds_write_b64 v23, v[10:11] offset:4224
	v_add_u32_e32 v10, 24, v1
	v_cmp_gt_i32_e32 vcc, s19, v10
	s_and_saveexec_b64 s[36:37], vcc
	s_cbranch_execz .LBB100_38
; %bb.37:
	s_mul_i32 s42, s24, 24
	s_ashr_i32 s43, s42, 31
	s_lshl_b64 s[42:43], s[42:43], 3
	v_mov_b32_e32 v9, s43
	v_add_co_u32_e32 v8, vcc, s42, v2
	v_addc_co_u32_e32 v9, vcc, v3, v9, vcc
	global_load_dwordx2 v[8:9], v[8:9], off
.LBB100_38:
	s_or_b64 exec, exec, s[36:37]
	v_add_co_u32_e32 v2, vcc, v2, v13
	v_addc_co_u32_e32 v3, vcc, 0, v3, vcc
	s_waitcnt vmcnt(0)
	ds_write_b64 v23, v[8:9] offset:6336
	v_mov_b32_e32 v8, s35
	v_subrev_co_u32_e32 v2, vcc, s34, v2
	v_subb_co_u32_e32 v3, vcc, v3, v8, vcc
	v_add_co_u32_e32 v2, vcc, 0x108, v2
	v_addc_co_u32_e32 v3, vcc, 0, v3, vcc
	v_cndmask_b32_e64 v3, v3, v5, s[14:15]
	v_cndmask_b32_e64 v2, v2, v4, s[14:15]
	s_branch .LBB100_41
.LBB100_39:
                                        ; implicit-def: $vgpr2_vgpr3
	s_cbranch_execz .LBB100_41
; %bb.40:
	s_lshl_b32 s14, s24, 3
	s_ashr_i32 s15, s14, 31
	s_lshl_b64 s[14:15], s[14:15], 3
	v_mov_b32_e32 v3, s15
	v_add_co_u32_e32 v2, vcc, s14, v6
	s_ashr_i32 s25, s24, 31
	v_addc_co_u32_e32 v3, vcc, v7, v3, vcc
	s_lshl_b64 s[14:15], s[24:25], 6
	v_mov_b32_e32 v11, s15
	v_add_co_u32_e32 v8, vcc, s14, v2
	v_addc_co_u32_e32 v9, vcc, v3, v11, vcc
	v_add_co_u32_e32 v10, vcc, s14, v8
	v_addc_co_u32_e32 v11, vcc, v9, v11, vcc
	global_load_dwordx2 v[32:33], v[6:7], off offset:256
	global_load_dwordx2 v[34:35], v[2:3], off offset:256
	;; [unrolled: 1-line block ×4, first 2 shown]
	v_add_lshl_u32 v2, v20, v0, 3
	s_waitcnt vmcnt(3)
	ds_write_b64 v2, v[32:33]
	s_waitcnt vmcnt(2)
	ds_write_b64 v2, v[34:35] offset:2112
	s_waitcnt vmcnt(1)
	ds_write_b64 v2, v[36:37] offset:4224
	s_waitcnt vmcnt(0)
	ds_write_b64 v2, v[38:39] offset:6336
	v_pk_mov_b32 v[2:3], v[4:5], v[4:5] op_sel:[0,1]
.LBB100_41:
	s_waitcnt lgkmcnt(0)
	s_barrier
	s_and_saveexec_b64 s[14:15], s[16:17]
	s_cbranch_execnz .LBB100_58
; %bb.42:
	s_or_b64 exec, exec, s[14:15]
	s_and_saveexec_b64 s[14:15], s[8:9]
	s_cbranch_execnz .LBB100_59
.LBB100_43:
	s_or_b64 exec, exec, s[14:15]
	s_and_saveexec_b64 s[8:9], s[10:11]
	s_cbranch_execnz .LBB100_60
.LBB100_44:
	s_or_b64 exec, exec, s[8:9]
	v_add_u32_e32 v32, 0x2380, v19
	s_and_saveexec_b64 s[8:9], s[12:13]
	s_cbranch_execz .LBB100_46
.LBB100_45:
	ds_read_b64 v[4:5], v30
	s_waitcnt lgkmcnt(0)
	ds_write_b64 v18, v[4:5] offset:24
.LBB100_46:
	s_or_b64 exec, exec, s[8:9]
	s_waitcnt lgkmcnt(0)
	s_barrier
	ds_read_b64 v[18:19], v22
	ds_read_b128 v[4:7], v32 offset:256
	ds_read2_b64 v[8:11], v31 offset1:33
	ds_read_b128 v[34:37], v32 offset:272
	ds_read_b64 v[38:39], v30
	v_cmp_eq_u32_e64 s[8:9], 1, v1
	s_waitcnt lgkmcnt(3)
	v_fma_f64 v[4:5], v[18:19], v[4:5], 0
	s_waitcnt lgkmcnt(2)
	v_fmac_f64_e32 v[4:5], v[8:9], v[6:7]
	s_waitcnt lgkmcnt(1)
	v_fmac_f64_e32 v[4:5], v[10:11], v[34:35]
	;; [unrolled: 2-line block ×3, first 2 shown]
	s_barrier
	ds_write_b64 v27, v[4:5]
	s_waitcnt lgkmcnt(0)
	s_barrier
	s_and_saveexec_b64 s[10:11], s[8:9]
	s_cbranch_execz .LBB100_48
; %bb.47:
	ds_read2_b64 v[4:7], v25 offset1:1
	ds_read2_b64 v[8:11], v25 offset0:2 offset1:3
	ds_read2_b64 v[34:37], v25 offset0:4 offset1:5
	s_waitcnt lgkmcnt(2)
	v_add_f64 v[18:19], v[4:5], v[6:7]
	ds_read2_b64 v[4:7], v25 offset0:6 offset1:7
	s_waitcnt lgkmcnt(2)
	v_add_f64 v[8:9], v[18:19], v[8:9]
	v_add_f64 v[8:9], v[8:9], v[10:11]
	s_waitcnt lgkmcnt(1)
	v_add_f64 v[8:9], v[8:9], v[34:35]
	v_add_f64 v[8:9], v[8:9], v[36:37]
	;; [unrolled: 3-line block ×3, first 2 shown]
.LBB100_48:
	s_or_b64 exec, exec, s[10:11]
	v_add_co_u32_e32 v4, vcc, 0xffffff00, v2
	v_addc_co_u32_e32 v5, vcc, -1, v3, vcc
	s_and_b64 vcc, exec, s[30:31]
	s_barrier
	s_cbranch_vccz .LBB100_61
; %bb.49:
	v_sub_co_u32_e32 v6, vcc, v2, v13
	s_ashr_i32 s19, s18, 31
	v_subbrev_co_u32_e32 v7, vcc, 0, v3, vcc
	s_lshl_b64 s[12:13], s[18:19], 3
	v_mov_b32_e32 v8, s13
	v_add_co_u32_e32 v6, vcc, s12, v6
	v_addc_co_u32_e32 v7, vcc, v7, v8, vcc
	v_add_co_u32_e32 v6, vcc, 0xfffffef8, v6
	v_addc_co_u32_e32 v7, vcc, -1, v7, vcc
	v_cmp_gt_i32_e32 vcc, s18, v0
	s_sub_i32 s16, s18, 32
	v_pk_mov_b32 v[8:9], 0, 0
	v_cndmask_b32_e32 v7, v7, v5, vcc
	v_cndmask_b32_e32 v6, v6, v4, vcc
	v_cmp_gt_i32_e64 s[10:11], s16, v1
	v_pk_mov_b32 v[10:11], v[8:9], v[8:9] op_sel:[0,1]
	s_and_saveexec_b64 s[14:15], s[10:11]
	s_cbranch_execz .LBB100_51
; %bb.50:
	global_load_dwordx2 v[10:11], v[6:7], off
.LBB100_51:
	s_or_b64 exec, exec, s[14:15]
	v_add_u32_e32 v23, 8, v1
	v_add_lshl_u32 v18, v20, v0, 3
	v_cmp_gt_i32_e64 s[10:11], s16, v23
	s_waitcnt vmcnt(0)
	ds_write_b64 v18, v[10:11]
	s_and_saveexec_b64 s[14:15], s[10:11]
	s_cbranch_execz .LBB100_53
; %bb.52:
	s_lshl_b32 s10, s24, 3
	s_ashr_i32 s11, s10, 31
	s_lshl_b64 s[10:11], s[10:11], 3
	v_mov_b32_e32 v9, s11
	v_add_co_u32_e64 v8, s[10:11], s10, v6
	v_addc_co_u32_e64 v9, s[10:11], v7, v9, s[10:11]
	global_load_dwordx2 v[8:9], v[8:9], off
.LBB100_53:
	s_or_b64 exec, exec, s[14:15]
	s_waitcnt vmcnt(0)
	ds_write_b64 v18, v[8:9] offset:2112
	v_add_u32_e32 v33, 16, v1
	v_pk_mov_b32 v[8:9], 0, 0
	v_cmp_gt_i32_e64 s[10:11], s16, v33
	v_pk_mov_b32 v[10:11], v[8:9], v[8:9] op_sel:[0,1]
	s_and_saveexec_b64 s[14:15], s[10:11]
	s_cbranch_execz .LBB100_55
; %bb.54:
	s_lshl_b32 s10, s24, 4
	s_ashr_i32 s11, s10, 31
	s_lshl_b64 s[10:11], s[10:11], 3
	v_mov_b32_e32 v11, s11
	v_add_co_u32_e64 v10, s[10:11], s10, v6
	v_addc_co_u32_e64 v11, s[10:11], v7, v11, s[10:11]
	global_load_dwordx2 v[10:11], v[10:11], off
.LBB100_55:
	s_or_b64 exec, exec, s[14:15]
	s_waitcnt vmcnt(0)
	ds_write_b64 v18, v[10:11] offset:4224
	v_add_u32_e32 v10, 24, v1
	v_cmp_gt_i32_e64 s[10:11], s16, v10
	s_and_saveexec_b64 s[14:15], s[10:11]
	s_cbranch_execz .LBB100_57
; %bb.56:
	s_mul_i32 s10, s24, 24
	s_ashr_i32 s11, s10, 31
	s_lshl_b64 s[10:11], s[10:11], 3
	v_mov_b32_e32 v9, s11
	v_add_co_u32_e64 v8, s[10:11], s10, v6
	v_addc_co_u32_e64 v9, s[10:11], v7, v9, s[10:11]
	global_load_dwordx2 v[8:9], v[8:9], off
.LBB100_57:
	s_or_b64 exec, exec, s[14:15]
	v_add_co_u32_e64 v6, s[10:11], v6, v13
	v_addc_co_u32_e64 v7, s[10:11], 0, v7, s[10:11]
	s_waitcnt vmcnt(0)
	ds_write_b64 v18, v[8:9] offset:6336
	v_mov_b32_e32 v8, s13
	v_subrev_co_u32_e64 v6, s[10:11], s12, v6
	v_subb_co_u32_e64 v7, s[10:11], v7, v8, s[10:11]
	v_add_co_u32_e64 v6, s[10:11], 8, v6
	v_addc_co_u32_e64 v7, s[10:11], 0, v7, s[10:11]
	v_cndmask_b32_e32 v19, v7, v5, vcc
	v_cndmask_b32_e32 v18, v6, v4, vcc
	s_branch .LBB100_63
.LBB100_58:
	ds_read_b64 v[4:5], v22
	s_waitcnt lgkmcnt(0)
	ds_write_b64 v18, v[4:5]
	s_or_b64 exec, exec, s[14:15]
	s_and_saveexec_b64 s[14:15], s[8:9]
	s_cbranch_execz .LBB100_43
.LBB100_59:
	ds_read_b64 v[4:5], v31
	s_waitcnt lgkmcnt(0)
	ds_write_b64 v18, v[4:5] offset:8
	s_or_b64 exec, exec, s[14:15]
	s_and_saveexec_b64 s[8:9], s[10:11]
	s_cbranch_execz .LBB100_44
.LBB100_60:
	ds_read_b64 v[4:5], v31 offset:264
	s_waitcnt lgkmcnt(0)
	ds_write_b64 v18, v[4:5] offset:16
	s_or_b64 exec, exec, s[8:9]
	v_add_u32_e32 v32, 0x2380, v19
	s_and_saveexec_b64 s[8:9], s[12:13]
	s_cbranch_execnz .LBB100_45
	s_branch .LBB100_46
.LBB100_61:
                                        ; implicit-def: $vgpr18_vgpr19
                                        ; implicit-def: $vgpr23
                                        ; implicit-def: $vgpr33
                                        ; implicit-def: $vgpr10
	s_cbranch_execz .LBB100_63
; %bb.62:
	s_lshl_b32 s10, s24, 3
	s_ashr_i32 s11, s10, 31
	s_lshl_b64 s[10:11], s[10:11], 3
	global_load_dwordx2 v[6:7], v[2:3], off offset:-256
	v_mov_b32_e32 v8, s11
	v_add_co_u32_e32 v2, vcc, s10, v2
	s_ashr_i32 s25, s24, 31
	v_addc_co_u32_e32 v3, vcc, v3, v8, vcc
	s_lshl_b64 s[10:11], s[24:25], 6
	v_mov_b32_e32 v10, s11
	v_add_co_u32_e32 v8, vcc, s10, v2
	v_addc_co_u32_e32 v9, vcc, v3, v10, vcc
	global_load_dwordx2 v[18:19], v[2:3], off offset:-256
	global_load_dwordx2 v[34:35], v[8:9], off offset:-256
	v_add_co_u32_e32 v2, vcc, s10, v8
	v_addc_co_u32_e32 v3, vcc, v9, v10, vcc
	global_load_dwordx2 v[2:3], v[2:3], off offset:-256
	v_add_lshl_u32 v0, v20, v0, 3
	v_add_u32_e32 v23, 8, v1
	v_add_u32_e32 v33, 16, v1
	;; [unrolled: 1-line block ×3, first 2 shown]
	s_waitcnt vmcnt(3)
	ds_write_b64 v0, v[6:7]
	s_waitcnt vmcnt(2)
	ds_write_b64 v0, v[18:19] offset:2112
	s_waitcnt vmcnt(1)
	ds_write_b64 v0, v[34:35] offset:4224
	;; [unrolled: 2-line block ×3, first 2 shown]
	v_pk_mov_b32 v[18:19], v[4:5], v[4:5] op_sel:[0,1]
.LBB100_63:
	v_lshlrev_b32_e32 v0, 3, v1
	s_waitcnt lgkmcnt(0)
	s_barrier
	v_add_lshl_u32 v1, v23, v21, 3
	v_lshlrev_b32_e32 v2, 3, v23
	v_add_lshl_u32 v3, v33, v21, 3
	ds_read_b64 v[34:35], v0 offset:9088
	ds_read_b64 v[36:37], v1
	ds_read_b64 v[38:39], v2 offset:9088
	ds_read_b64 v[40:41], v3
	v_add_lshl_u32 v20, v10, v21, 3
	v_lshlrev_b32_e32 v21, 3, v10
	v_lshlrev_b32_e32 v13, 3, v33
	ds_read_b64 v[22:23], v22
	ds_read_b128 v[8:11], v32 offset:256
	ds_read_b64 v[42:43], v27
	ds_read_b128 v[0:3], v32 offset:272
	ds_read2_b64 v[4:7], v31 offset1:33
	ds_read_b64 v[32:33], v13 offset:9088
	ds_read_b64 v[44:45], v20
	ds_read_b64 v[46:47], v21 offset:9088
	ds_read_b64 v[20:21], v30
	s_waitcnt lgkmcnt(6)
	v_fma_f64 v[30:31], v[42:43], v[34:35], 0
	v_fmac_f64_e32 v[30:31], v[36:37], v[38:39]
	s_waitcnt lgkmcnt(3)
	v_fmac_f64_e32 v[30:31], v[40:41], v[32:33]
	s_waitcnt lgkmcnt(1)
	;; [unrolled: 2-line block ×3, first 2 shown]
	s_barrier
	ds_write_b64 v27, v[30:31]
	s_waitcnt lgkmcnt(0)
	s_barrier
	s_and_saveexec_b64 s[10:11], s[8:9]
	s_cbranch_execz .LBB100_65
; %bb.64:
	ds_read2_b64 v[30:33], v25 offset1:1
	ds_read2_b64 v[34:37], v25 offset0:2 offset1:3
	s_waitcnt lgkmcnt(1)
	v_add_f64 v[38:39], v[28:29], v[30:31]
	ds_read2_b64 v[28:31], v25 offset0:4 offset1:5
	v_add_f64 v[32:33], v[38:39], v[32:33]
	ds_read2_b64 v[38:41], v25 offset0:6 offset1:7
	s_waitcnt lgkmcnt(2)
	v_add_f64 v[32:33], v[32:33], v[34:35]
	v_add_f64 v[32:33], v[32:33], v[36:37]
	s_waitcnt lgkmcnt(1)
	v_add_f64 v[28:29], v[32:33], v[28:29]
	v_add_f64 v[28:29], v[28:29], v[30:31]
	;; [unrolled: 3-line block ×3, first 2 shown]
.LBB100_65:
	s_or_b64 exec, exec, s[10:11]
	v_fma_f64 v[8:9], v[22:23], v[8:9], 0
	v_fmac_f64_e32 v[8:9], v[4:5], v[10:11]
	v_fmac_f64_e32 v[8:9], v[6:7], v[0:1]
	;; [unrolled: 1-line block ×3, first 2 shown]
	s_barrier
	ds_write_b64 v27, v[8:9]
	s_waitcnt lgkmcnt(0)
	s_barrier
	s_and_saveexec_b64 s[8:9], s[2:3]
	s_cbranch_execz .LBB100_67
; %bb.66:
	ds_read2_b64 v[0:3], v25 offset1:1
	ds_read2_b64 v[4:7], v25 offset0:2 offset1:3
	ds_read2_b64 v[8:11], v25 offset0:4 offset1:5
	s_waitcnt lgkmcnt(2)
	v_add_f64 v[0:1], v[28:29], v[0:1]
	v_add_f64 v[20:21], v[0:1], v[2:3]
	ds_read2_b64 v[0:3], v25 offset0:6 offset1:7
	s_waitcnt lgkmcnt(2)
	v_add_f64 v[4:5], v[20:21], v[4:5]
	v_add_f64 v[4:5], v[4:5], v[6:7]
	s_waitcnt lgkmcnt(1)
	v_add_f64 v[4:5], v[4:5], v[8:9]
	v_add_f64 v[4:5], v[4:5], v[10:11]
	;; [unrolled: 3-line block ×3, first 2 shown]
.LBB100_67:
	s_or_b64 exec, exec, s[8:9]
	s_load_dwordx2 s[2:3], s[4:5], 0x68
	s_mul_hi_u32 s4, s40, s7
	s_mul_i32 s41, s41, s7
	s_add_i32 s4, s4, s41
	s_mul_i32 s7, s40, s7
	s_mul_i32 s4, s4, s33
	s_mul_hi_u32 s5, s7, s33
	s_add_i32 s5, s5, s4
	s_mul_i32 s4, s7, s33
	s_lshl_b64 s[4:5], s[4:5], 3
	s_waitcnt lgkmcnt(0)
	s_add_u32 s4, s2, s4
	s_addc_u32 s5, s3, s5
	s_mul_hi_i32 s3, s40, s6
	s_mul_i32 s2, s40, s6
	s_lshl_b64 s[2:3], s[2:3], 3
	s_add_u32 s7, s4, s2
	s_addc_u32 s19, s5, s3
	s_add_i32 s4, s6, 1
	s_cmp_ge_u32 s4, s33
	v_lshlrev_b32_e32 v140, 3, v26
	s_barrier
	s_cbranch_scc1 .LBB100_124
; %bb.68:
	s_mul_i32 s2, s22, s39
	s_ashr_i32 s3, s2, 31
	s_lshl_b64 s[2:3], s[2:3], 3
	v_mov_b32_e32 v0, s3
	v_subrev_co_u32_e32 v142, vcc, s2, v14
	v_subb_co_u32_e32 v143, vcc, v15, v0, vcc
	v_lshlrev_b32_e32 v141, 2, v77
	v_mov_b32_e32 v0, s27
	v_add_co_u32_e32 v30, vcc, s26, v18
	v_addc_co_u32_e32 v25, vcc, v19, v0, vcc
	v_mad_u64_u32 v[0:1], s[2:3], v141, s24, v[26:27]
	v_ashrrev_i32_e32 v1, 31, v0
	s_lshl_b32 s2, s24, 4
	v_lshlrev_b64 v[2:3], 3, v[0:1]
	s_lshl_b32 s30, s39, 6
	s_ashr_i32 s3, s2, 31
	s_ashr_i32 s25, s24, 31
	s_lshl_b32 s14, s24, 1
	s_mul_i32 s16, s24, 3
	s_mul_i32 s39, s39, s4
	v_mad_i64_i32 v[32:33], s[4:5], v12, -8, v[2:3]
	s_add_i32 s23, s33, -2
	s_ashr_i32 s15, s14, 31
	s_ashr_i32 s17, s16, 31
	s_lshl_b64 s[8:9], s[24:25], 3
	s_lshl_b32 s10, s39, 6
	s_lshl_b64 s[12:13], s[2:3], 5
	s_lshl_b64 s[4:5], s[24:25], 4
	v_sub_co_u32_e32 v144, vcc, 0, v16
	s_add_u32 s11, s4, s26
	v_subb_co_u32_e32 v145, vcc, 0, v17, vcc
	s_addc_u32 s31, s5, s27
	v_mov_b32_e32 v2, s31
	v_add_co_u32_e32 v34, vcc, s11, v18
	v_addc_co_u32_e32 v27, vcc, v19, v2, vcc
	v_mov_b32_e32 v3, s29
	v_add_co_u32_e32 v2, vcc, s28, v0
	v_addc_co_u32_e32 v3, vcc, v3, v1, vcc
	v_lshlrev_b64 v[2:3], 3, v[2:3]
	v_mad_i64_i32 v[4:5], s[34:35], s24, 24, v[2:3]
	v_add_co_u32_e32 v36, vcc, v18, v4
	s_add_u32 s39, s8, s26
	v_addc_co_u32_e32 v31, vcc, v19, v5, vcc
	s_addc_u32 s40, s9, s27
	s_lshl_b64 s[14:15], s[14:15], 3
	v_mov_b32_e32 v4, s40
	v_add_co_u32_e32 v38, vcc, s39, v18
	s_add_u32 s34, s26, s14
	v_addc_co_u32_e32 v35, vcc, v19, v4, vcc
	s_addc_u32 s35, s27, s15
	s_lshl_b64 s[16:17], s[16:17], 3
	v_mov_b32_e32 v4, s35
	v_add_co_u32_e32 v40, vcc, s34, v18
	s_add_u32 s34, s26, s16
	v_addc_co_u32_e32 v37, vcc, v19, v4, vcc
	s_addc_u32 s35, s27, s17
	v_mov_b32_e32 v4, s35
	v_add_co_u32_e32 v42, vcc, s34, v18
	s_lshl_b64 s[34:35], s[2:3], 3
	s_add_u32 s41, s26, s34
	v_addc_co_u32_e32 v39, vcc, v19, v4, vcc
	s_addc_u32 s42, s27, s35
	v_mov_b32_e32 v4, s42
	v_add_co_u32_e32 v44, vcc, s41, v18
	s_add_u32 s39, s39, s34
	v_addc_co_u32_e32 v41, vcc, v19, v4, vcc
	s_addc_u32 s40, s40, s35
	v_mov_b32_e32 v4, s40
	v_add_co_u32_e32 v46, vcc, s39, v18
	s_add_u32 s39, s41, s14
	v_addc_co_u32_e32 v43, vcc, v19, v4, vcc
	s_addc_u32 s40, s42, s15
	v_add_co_u32_e32 v48, vcc, s39, v18
	s_add_u32 s39, s41, s16
	v_mov_b32_e32 v4, s40
	s_addc_u32 s40, s42, s17
	s_add_u32 s34, s11, s34
	v_addc_co_u32_e32 v45, vcc, v19, v4, vcc
	s_addc_u32 s35, s31, s35
	v_mov_b32_e32 v4, s40
	v_add_co_u32_e32 v50, vcc, s39, v18
	s_add_u32 s28, s28, s2
	v_addc_co_u32_e32 v47, vcc, v19, v4, vcc
	s_addc_u32 s29, s29, s3
	v_mov_b32_e32 v4, s29
	v_add_co_u32_e32 v0, vcc, s28, v0
	v_addc_co_u32_e32 v1, vcc, v4, v1, vcc
	v_lshlrev_b64 v[0:1], 3, v[0:1]
	v_mad_i64_i32 v[0:1], s[28:29], s24, 24, v[0:1]
	s_lshl_b64 s[28:29], s[2:3], 4
	s_add_u32 s39, s28, s26
	s_addc_u32 s40, s29, s27
	s_add_u32 s41, s39, s8
	s_addc_u32 s42, s40, s9
	;; [unrolled: 2-line block ×4, first 2 shown]
	s_add_u32 s11, s11, s28
	s_mul_i32 s37, s24, 24
	s_addc_u32 s31, s31, s29
	s_mul_hi_i32 s36, s24, 24
	v_add_co_u32_e32 v52, vcc, v18, v0
	s_add_u32 s26, s37, s28
	v_addc_co_u32_e32 v49, vcc, v19, v1, vcc
	s_addc_u32 s27, s36, s29
	v_mov_b32_e32 v0, s27
	v_add_co_u32_e32 v4, vcc, s26, v2
	v_addc_co_u32_e32 v5, vcc, v0, v3, vcc
	v_mad_i64_i32 v[0:1], s[26:27], s2, 24, v[2:3]
	v_add_co_u32_e32 v54, vcc, v18, v0
	v_addc_co_u32_e32 v51, vcc, v19, v1, vcc
	v_mov_b32_e32 v6, s9
	v_add_co_u32_e32 v7, vcc, s8, v0
	v_addc_co_u32_e32 v6, vcc, v1, v6, vcc
	v_mov_b32_e32 v8, s15
	v_add_co_u32_e32 v9, vcc, s14, v0
	s_mul_i32 s28, s24, 0x180
	v_addc_co_u32_e32 v8, vcc, v1, v8, vcc
	s_mul_hi_i32 s29, s2, 24
	v_mov_b32_e32 v10, s17
	v_add_co_u32_e32 v11, vcc, s16, v0
	s_add_u32 s4, s28, s4
	v_addc_co_u32_e32 v10, vcc, v1, v10, vcc
	s_addc_u32 s5, s29, s5
	v_mov_b32_e32 v0, s5
	v_add_co_u32_e32 v12, vcc, s4, v2
	s_add_u32 s2, s24, s2
	v_addc_co_u32_e32 v13, vcc, v0, v3, vcc
	s_addc_u32 s4, s25, s3
	v_mad_u64_u32 v[0:1], s[2:3], s2, 24, v[2:3]
	v_mov_b32_e32 v2, v1
	v_mad_u64_u32 v[2:3], s[2:3], s4, 24, v[2:3]
	v_mov_b32_e32 v1, v2
	v_add_co_u32_e32 v56, vcc, v18, v0
	v_addc_co_u32_e32 v53, vcc, v19, v1, vcc
	v_mov_b32_e32 v0, s35
	v_add_co_u32_e32 v58, vcc, s34, v18
	v_addc_co_u32_e32 v55, vcc, v19, v0, vcc
	;; [unrolled: 3-line block ×7, first 2 shown]
	v_add_co_u32_e32 v70, vcc, v18, v4
	v_addc_co_u32_e32 v67, vcc, v19, v5, vcc
	v_add_co_u32_e32 v72, vcc, v18, v7
	v_addc_co_u32_e32 v69, vcc, v19, v6, vcc
	v_add_co_u32_e32 v74, vcc, v18, v9
	v_and_b32_e32 v2, 48, v26
	v_addc_co_u32_e32 v71, vcc, v19, v8, vcc
	s_movk_i32 s4, 0x218
	v_and_b32_e32 v1, 15, v26
	v_lshlrev_b32_e32 v3, 3, v2
	v_add_co_u32_e32 v76, vcc, v18, v11
	v_cmp_gt_u32_e64 s[2:3], 64, v79
	v_lshrrev_b32_e32 v0, 4, v79
	v_mad_u32_u24 v79, v1, s4, v3
	v_or_b32_e32 v3, 0x78, v140
	v_addc_co_u32_e32 v73, vcc, v19, v10, vcc
	v_mad_u32_u24 v146, v1, s4, v3
	v_lshlrev_b32_e32 v3, 5, v0
	v_add_co_u32_e32 v78, vcc, v18, v12
	v_mad_u32_u24 v147, v1, s4, v3
	v_mov_b32_e32 v3, 0x2180
	s_movk_i32 s4, 0x860
	v_mul_i32_i24_e32 v0, 0xffffffe8, v0
	v_add_u32_e32 v2, s22, v2
	v_addc_co_u32_e32 v75, vcc, v19, v13, vcc
	v_lshl_add_u32 v148, v77, 5, v3
	v_add3_u32 v80, v2, v1, 64
	v_add_u32_e32 v149, v147, v0
	v_add_u32_e32 v150, 0x2180, v140
	;; [unrolled: 1-line block ×3, first 2 shown]
	v_or_b32_e32 v152, 1, v141
	v_or_b32_e32 v153, 2, v141
	;; [unrolled: 1-line block ×3, first 2 shown]
	v_mad_u32_u24 v155, v77, s4, v140
	v_add_u32_e32 v156, 16, v141
	v_add_u32_e32 v157, 17, v141
	;; [unrolled: 1-line block ×12, first 2 shown]
	s_cmp_eq_u32 s23, s6
	s_cselect_b32 s16, s38, 0
	s_and_saveexec_b64 s[4:5], s[0:1]
	s_cbranch_execz .LBB100_72
.LBB100_69:
	s_cmp_eq_u32 s16, 0
	s_cselect_b64 s[8:9], -1, 0
	v_cmp_gt_i32_e32 vcc, s16, v26
	s_or_b64 s[14:15], s[8:9], vcc
	v_pk_mov_b32 v[0:1], 0, 0
	s_and_saveexec_b64 s[8:9], s[14:15]
	s_cbranch_execz .LBB100_71
; %bb.70:
	s_ashr_i32 s11, s10, 31
	s_lshl_b64 s[14:15], s[10:11], 3
	v_mov_b32_e32 v1, s15
	v_add_co_u32_e32 v0, vcc, s14, v142
	v_addc_co_u32_e32 v1, vcc, v143, v1, vcc
	global_load_dwordx2 v[0:1], v[0:1], off
.LBB100_71:
	s_or_b64 exec, exec, s[8:9]
	s_waitcnt vmcnt(0)
	ds_write_b64 v150, v[0:1]
.LBB100_72:                             ; =>This Inner Loop Header: Depth=1
	s_or_b64 exec, exec, s[4:5]
	s_cmp_eq_u32 s16, 0
	v_add_co_u32_e32 v0, vcc, v30, v32
	s_cselect_b64 s[14:15], -1, 0
	s_cmp_lg_u32 s16, 0
	v_addc_co_u32_e32 v1, vcc, v25, v33, vcc
	s_cselect_b64 s[8:9], -1, 0
	s_and_b64 vcc, exec, s[8:9]
	s_waitcnt lgkmcnt(0)
	s_barrier
	s_cbranch_vccz .LBB100_120
; %bb.73:                               ;   in Loop: Header=BB100_72 Depth=1
	v_pk_mov_b32 v[84:85], 0, 0
	v_cmp_gt_i32_e32 vcc, s16, v141
	v_pk_mov_b32 v[82:83], v[84:85], v[84:85] op_sel:[0,1]
	s_and_saveexec_b64 s[4:5], vcc
	s_cbranch_execz .LBB100_75
; %bb.74:                               ;   in Loop: Header=BB100_72 Depth=1
	global_load_dwordx2 v[82:83], v[0:1], off
.LBB100_75:                             ;   in Loop: Header=BB100_72 Depth=1
	s_or_b64 exec, exec, s[4:5]
	v_cmp_gt_i32_e32 vcc, s16, v152
	s_and_saveexec_b64 s[4:5], vcc
	s_cbranch_execz .LBB100_77
; %bb.76:                               ;   in Loop: Header=BB100_72 Depth=1
	v_add_co_u32_e32 v2, vcc, v38, v32
	v_addc_co_u32_e32 v3, vcc, v35, v33, vcc
	global_load_dwordx2 v[84:85], v[2:3], off
.LBB100_77:                             ;   in Loop: Header=BB100_72 Depth=1
	s_or_b64 exec, exec, s[4:5]
	v_pk_mov_b32 v[88:89], 0, 0
	v_cmp_gt_i32_e32 vcc, s16, v153
	v_pk_mov_b32 v[86:87], v[88:89], v[88:89] op_sel:[0,1]
	s_and_saveexec_b64 s[4:5], vcc
	s_cbranch_execz .LBB100_79
; %bb.78:                               ;   in Loop: Header=BB100_72 Depth=1
	v_add_co_u32_e32 v2, vcc, v40, v32
	v_addc_co_u32_e32 v3, vcc, v37, v33, vcc
	global_load_dwordx2 v[86:87], v[2:3], off
.LBB100_79:                             ;   in Loop: Header=BB100_72 Depth=1
	s_or_b64 exec, exec, s[4:5]
	v_cmp_gt_i32_e32 vcc, s16, v154
	s_and_saveexec_b64 s[4:5], vcc
	s_cbranch_execz .LBB100_81
; %bb.80:                               ;   in Loop: Header=BB100_72 Depth=1
	v_add_co_u32_e32 v2, vcc, v42, v32
	v_addc_co_u32_e32 v3, vcc, v39, v33, vcc
	global_load_dwordx2 v[88:89], v[2:3], off
.LBB100_81:                             ;   in Loop: Header=BB100_72 Depth=1
	s_or_b64 exec, exec, s[4:5]
	s_branch .LBB100_83
.LBB100_82:                             ;   in Loop: Header=BB100_72 Depth=1
	global_load_dwordx2 v[82:83], v[0:1], off
	v_add_co_u32_e32 v0, vcc, v38, v32
	v_addc_co_u32_e32 v1, vcc, v35, v33, vcc
	global_load_dwordx2 v[84:85], v[0:1], off
	v_add_co_u32_e32 v0, vcc, v34, v32
	v_addc_co_u32_e32 v1, vcc, v27, v33, vcc
	;; [unrolled: 3-line block ×3, first 2 shown]
	global_load_dwordx2 v[88:89], v[0:1], off
.LBB100_83:                             ;   in Loop: Header=BB100_72 Depth=1
	ds_read_b64 v[0:1], v151
	ds_read_b64 v[90:91], v148
	v_cndmask_b32_e64 v8, 0, 1, s[8:9]
	v_cmp_ne_u32_e64 s[4:5], 1, v8
	s_andn2_b64 vcc, exec, s[8:9]
	s_waitcnt vmcnt(0) lgkmcnt(1)
	v_mul_f64 v[2:3], v[82:83], v[0:1]
	v_mul_f64 v[4:5], v[84:85], v[0:1]
	ds_write_b64 v155, v[2:3]
	v_mul_f64 v[6:7], v[86:87], v[0:1]
	ds_read_b64 v[92:93], v148 offset:8
	ds_write_b64 v155, v[4:5] offset:536
	ds_read_b64 v[94:95], v148 offset:16
	ds_write_b64 v155, v[6:7] offset:1072
	v_mul_f64 v[0:1], v[88:89], v[0:1]
	ds_read_b64 v[96:97], v148 offset:24
	ds_write_b64 v155, v[0:1] offset:1608
	s_waitcnt lgkmcnt(0)
	s_barrier
	ds_read2_b64 v[4:7], v147 offset1:1
	ds_read2_b64 v[0:3], v147 offset0:2 offset1:3
	v_add_co_u32_e64 v8, s[8:9], v44, v32
	v_addc_co_u32_e64 v9, s[8:9], v41, v33, s[8:9]
	s_waitcnt lgkmcnt(0)
	s_barrier
	s_cbranch_vccnz .LBB100_121
; %bb.84:                               ;   in Loop: Header=BB100_72 Depth=1
	v_pk_mov_b32 v[100:101], 0, 0
	v_cmp_gt_i32_e32 vcc, s16, v156
	v_pk_mov_b32 v[98:99], v[100:101], v[100:101] op_sel:[0,1]
	s_and_saveexec_b64 s[8:9], vcc
	s_cbranch_execz .LBB100_86
; %bb.85:                               ;   in Loop: Header=BB100_72 Depth=1
	global_load_dwordx2 v[98:99], v[8:9], off
.LBB100_86:                             ;   in Loop: Header=BB100_72 Depth=1
	s_or_b64 exec, exec, s[8:9]
	v_cmp_gt_i32_e32 vcc, s16, v157
	s_and_saveexec_b64 s[8:9], vcc
	s_cbranch_execz .LBB100_88
; %bb.87:                               ;   in Loop: Header=BB100_72 Depth=1
	v_add_co_u32_e32 v10, vcc, v46, v32
	v_addc_co_u32_e32 v11, vcc, v43, v33, vcc
	global_load_dwordx2 v[100:101], v[10:11], off
.LBB100_88:                             ;   in Loop: Header=BB100_72 Depth=1
	s_or_b64 exec, exec, s[8:9]
	v_pk_mov_b32 v[104:105], 0, 0
	v_cmp_gt_i32_e32 vcc, s16, v158
	v_pk_mov_b32 v[102:103], v[104:105], v[104:105] op_sel:[0,1]
	s_and_saveexec_b64 s[8:9], vcc
	s_cbranch_execz .LBB100_90
; %bb.89:                               ;   in Loop: Header=BB100_72 Depth=1
	v_add_co_u32_e32 v10, vcc, v48, v32
	v_addc_co_u32_e32 v11, vcc, v45, v33, vcc
	global_load_dwordx2 v[102:103], v[10:11], off
.LBB100_90:                             ;   in Loop: Header=BB100_72 Depth=1
	s_or_b64 exec, exec, s[8:9]
	v_cmp_gt_i32_e32 vcc, s16, v159
	s_and_saveexec_b64 s[8:9], vcc
	s_cbranch_execz .LBB100_92
; %bb.91:                               ;   in Loop: Header=BB100_72 Depth=1
	v_add_co_u32_e32 v10, vcc, v50, v32
	v_addc_co_u32_e32 v11, vcc, v47, v33, vcc
	global_load_dwordx2 v[104:105], v[10:11], off
.LBB100_92:                             ;   in Loop: Header=BB100_72 Depth=1
	s_or_b64 exec, exec, s[8:9]
	s_branch .LBB100_94
.LBB100_93:                             ;   in Loop: Header=BB100_72 Depth=1
	global_load_dwordx2 v[98:99], v[8:9], off
	v_add_co_u32_e32 v8, vcc, v46, v32
	v_addc_co_u32_e32 v9, vcc, v43, v33, vcc
	global_load_dwordx2 v[100:101], v[8:9], off
	v_add_co_u32_e32 v8, vcc, v58, v32
	v_addc_co_u32_e32 v9, vcc, v55, v33, vcc
	;; [unrolled: 3-line block ×3, first 2 shown]
	global_load_dwordx2 v[104:105], v[8:9], off
.LBB100_94:                             ;   in Loop: Header=BB100_72 Depth=1
	ds_read_b64 v[8:9], v151
	ds_read_b64 v[106:107], v148 offset:128
	v_add_co_u32_e64 v16, s[8:9], v60, v32
	s_and_b64 vcc, exec, s[4:5]
	s_waitcnt vmcnt(0) lgkmcnt(1)
	v_mul_f64 v[10:11], v[98:99], v[8:9]
	v_mul_f64 v[12:13], v[100:101], v[8:9]
	ds_write_b64 v155, v[10:11]
	v_mul_f64 v[14:15], v[102:103], v[8:9]
	ds_read_b64 v[108:109], v148 offset:136
	ds_write_b64 v155, v[12:13] offset:536
	ds_read_b64 v[110:111], v148 offset:144
	ds_write_b64 v155, v[14:15] offset:1072
	v_mul_f64 v[8:9], v[104:105], v[8:9]
	ds_read_b64 v[112:113], v148 offset:152
	ds_write_b64 v155, v[8:9] offset:1608
	s_waitcnt lgkmcnt(0)
	s_barrier
	ds_read2_b64 v[12:15], v147 offset1:1
	ds_read2_b64 v[8:11], v147 offset0:2 offset1:3
	v_addc_co_u32_e64 v17, s[8:9], v57, v33, s[8:9]
	s_waitcnt lgkmcnt(0)
	s_barrier
	s_cbranch_vccnz .LBB100_122
; %bb.95:                               ;   in Loop: Header=BB100_72 Depth=1
	v_pk_mov_b32 v[116:117], 0, 0
	v_cmp_gt_i32_e32 vcc, s16, v160
	v_pk_mov_b32 v[114:115], v[116:117], v[116:117] op_sel:[0,1]
	s_and_saveexec_b64 s[8:9], vcc
	s_cbranch_execz .LBB100_97
; %bb.96:                               ;   in Loop: Header=BB100_72 Depth=1
	global_load_dwordx2 v[114:115], v[16:17], off
.LBB100_97:                             ;   in Loop: Header=BB100_72 Depth=1
	s_or_b64 exec, exec, s[8:9]
	v_cmp_gt_i32_e32 vcc, s16, v161
	s_and_saveexec_b64 s[8:9], vcc
	s_cbranch_execz .LBB100_99
; %bb.98:                               ;   in Loop: Header=BB100_72 Depth=1
	v_add_co_u32_e32 v18, vcc, v62, v32
	v_addc_co_u32_e32 v19, vcc, v59, v33, vcc
	global_load_dwordx2 v[116:117], v[18:19], off
.LBB100_99:                             ;   in Loop: Header=BB100_72 Depth=1
	s_or_b64 exec, exec, s[8:9]
	v_pk_mov_b32 v[120:121], 0, 0
	v_cmp_gt_i32_e32 vcc, s16, v162
	v_pk_mov_b32 v[118:119], v[120:121], v[120:121] op_sel:[0,1]
	s_and_saveexec_b64 s[8:9], vcc
	s_cbranch_execz .LBB100_101
; %bb.100:                              ;   in Loop: Header=BB100_72 Depth=1
	v_add_co_u32_e32 v18, vcc, v64, v32
	v_addc_co_u32_e32 v19, vcc, v61, v33, vcc
	global_load_dwordx2 v[118:119], v[18:19], off
.LBB100_101:                            ;   in Loop: Header=BB100_72 Depth=1
	s_or_b64 exec, exec, s[8:9]
	v_cmp_gt_i32_e32 vcc, s16, v163
	s_and_saveexec_b64 s[8:9], vcc
	s_cbranch_execz .LBB100_103
; %bb.102:                              ;   in Loop: Header=BB100_72 Depth=1
	v_add_co_u32_e32 v18, vcc, v66, v32
	v_addc_co_u32_e32 v19, vcc, v63, v33, vcc
	global_load_dwordx2 v[120:121], v[18:19], off
.LBB100_103:                            ;   in Loop: Header=BB100_72 Depth=1
	s_or_b64 exec, exec, s[8:9]
	s_branch .LBB100_105
.LBB100_104:                            ;   in Loop: Header=BB100_72 Depth=1
	global_load_dwordx2 v[114:115], v[16:17], off
	v_add_co_u32_e32 v16, vcc, v62, v32
	v_addc_co_u32_e32 v17, vcc, v59, v33, vcc
	global_load_dwordx2 v[116:117], v[16:17], off
	v_add_co_u32_e32 v16, vcc, v68, v32
	v_addc_co_u32_e32 v17, vcc, v65, v33, vcc
	;; [unrolled: 3-line block ×3, first 2 shown]
	global_load_dwordx2 v[120:121], v[16:17], off
.LBB100_105:                            ;   in Loop: Header=BB100_72 Depth=1
	ds_read_b64 v[16:17], v151
	ds_read_b64 v[122:123], v148 offset:256
	s_and_b64 vcc, exec, s[4:5]
	v_add_co_u32_e64 v138, s[4:5], v54, v144
	s_waitcnt vmcnt(0) lgkmcnt(1)
	v_mul_f64 v[18:19], v[114:115], v[16:17]
	v_mul_f64 v[20:21], v[116:117], v[16:17]
	ds_write_b64 v155, v[18:19]
	v_mul_f64 v[22:23], v[118:119], v[16:17]
	ds_read_b64 v[124:125], v148 offset:264
	ds_write_b64 v155, v[20:21] offset:536
	ds_read_b64 v[126:127], v148 offset:272
	ds_write_b64 v155, v[22:23] offset:1072
	v_mul_f64 v[16:17], v[120:121], v[16:17]
	ds_read_b64 v[128:129], v148 offset:280
	ds_write_b64 v155, v[16:17] offset:1608
	s_waitcnt lgkmcnt(0)
	s_barrier
	ds_read2_b64 v[20:23], v147 offset1:1
	ds_read2_b64 v[16:19], v147 offset0:2 offset1:3
	v_addc_co_u32_e64 v139, s[4:5], v51, v145, s[4:5]
	s_waitcnt lgkmcnt(0)
	s_barrier
	s_cbranch_vccnz .LBB100_123
; %bb.106:                              ;   in Loop: Header=BB100_72 Depth=1
	v_pk_mov_b32 v[132:133], 0, 0
	v_cmp_gt_i32_e32 vcc, s16, v164
	v_pk_mov_b32 v[130:131], v[132:133], v[132:133] op_sel:[0,1]
	s_and_saveexec_b64 s[4:5], vcc
	s_cbranch_execz .LBB100_108
; %bb.107:                              ;   in Loop: Header=BB100_72 Depth=1
	global_load_dwordx2 v[130:131], v[138:139], off
.LBB100_108:                            ;   in Loop: Header=BB100_72 Depth=1
	s_or_b64 exec, exec, s[4:5]
	v_cmp_gt_i32_e32 vcc, s16, v165
	s_and_saveexec_b64 s[4:5], vcc
	s_cbranch_execz .LBB100_110
; %bb.109:                              ;   in Loop: Header=BB100_72 Depth=1
	v_add_co_u32_e32 v132, vcc, v72, v144
	v_addc_co_u32_e32 v133, vcc, v69, v145, vcc
	global_load_dwordx2 v[132:133], v[132:133], off
.LBB100_110:                            ;   in Loop: Header=BB100_72 Depth=1
	s_or_b64 exec, exec, s[4:5]
	v_pk_mov_b32 v[136:137], 0, 0
	v_cmp_gt_i32_e32 vcc, s16, v166
	v_pk_mov_b32 v[134:135], v[136:137], v[136:137] op_sel:[0,1]
	s_and_saveexec_b64 s[4:5], vcc
	s_cbranch_execz .LBB100_112
; %bb.111:                              ;   in Loop: Header=BB100_72 Depth=1
	v_add_co_u32_e32 v134, vcc, v74, v144
	v_addc_co_u32_e32 v135, vcc, v71, v145, vcc
	global_load_dwordx2 v[134:135], v[134:135], off
.LBB100_112:                            ;   in Loop: Header=BB100_72 Depth=1
	s_or_b64 exec, exec, s[4:5]
	v_cmp_gt_i32_e32 vcc, s16, v167
	s_and_saveexec_b64 s[4:5], vcc
	s_cbranch_execz .LBB100_114
; %bb.113:                              ;   in Loop: Header=BB100_72 Depth=1
	v_add_co_u32_e32 v136, vcc, v76, v144
	v_addc_co_u32_e32 v137, vcc, v73, v145, vcc
	global_load_dwordx2 v[136:137], v[136:137], off
.LBB100_114:                            ;   in Loop: Header=BB100_72 Depth=1
	s_or_b64 exec, exec, s[4:5]
	s_branch .LBB100_116
.LBB100_115:                            ;   in Loop: Header=BB100_72 Depth=1
	s_waitcnt vmcnt(0)
	v_add_co_u32_e32 v132, vcc, v72, v144
	v_addc_co_u32_e32 v133, vcc, v69, v145, vcc
	v_add_co_u32_e32 v134, vcc, v78, v144
	v_addc_co_u32_e32 v135, vcc, v75, v145, vcc
	;; [unrolled: 2-line block ×3, first 2 shown]
	global_load_dwordx2 v[130:131], v[138:139], off
	s_nop 0
	global_load_dwordx2 v[132:133], v[132:133], off
	s_nop 0
	;; [unrolled: 2-line block ×3, first 2 shown]
	global_load_dwordx2 v[136:137], v[136:137], off
.LBB100_116:                            ;   in Loop: Header=BB100_72 Depth=1
	v_add_f64 v[12:13], v[12:13], 0
	v_add_f64 v[12:13], v[12:13], v[14:15]
	ds_read_b64 v[14:15], v151
	v_add_f64 v[20:21], v[20:21], 0
	v_add_f64 v[20:21], v[20:21], v[22:23]
	;; [unrolled: 1-line block ×7, first 2 shown]
	ds_read_b64 v[4:5], v148 offset:384
	s_waitcnt vmcnt(0) lgkmcnt(1)
	v_mul_f64 v[8:9], v[130:131], v[14:15]
	ds_write_b64 v155, v[8:9]
	v_mul_f64 v[10:11], v[132:133], v[14:15]
	ds_read_b64 v[8:9], v148 offset:392
	ds_write_b64 v155, v[10:11] offset:536
	v_mul_f64 v[12:13], v[134:135], v[14:15]
	ds_read_b64 v[10:11], v148 offset:400
	ds_write_b64 v155, v[12:13] offset:1072
	;; [unrolled: 3-line block ×3, first 2 shown]
	s_waitcnt lgkmcnt(0)
	s_barrier
	ds_read2_b64 v[14:17], v147 offset1:1
	v_add_f64 v[6:7], v[18:19], v[6:7]
	ds_read2_b64 v[18:21], v147 offset0:2 offset1:3
	v_add_f64 v[0:1], v[6:7], v[0:1]
	v_add_f64 v[0:1], v[0:1], v[2:3]
	s_waitcnt lgkmcnt(1)
	v_add_f64 v[2:3], v[14:15], 0
	v_cmp_gt_i32_e32 vcc, s16, v26
	v_add_f64 v[2:3], v[2:3], v[16:17]
	s_or_b64 s[4:5], s[14:15], vcc
	s_waitcnt lgkmcnt(0)
	v_add_f64 v[2:3], v[2:3], v[18:19]
	s_and_b64 s[8:9], s[2:3], s[4:5]
	v_add_f64 v[2:3], v[2:3], v[20:21]
	s_barrier
	ds_write2_b64 v149, v[0:1], v[138:139] offset1:16
	ds_write2_b64 v149, v[22:23], v[2:3] offset0:32 offset1:48
	s_waitcnt lgkmcnt(0)
	s_barrier
	s_and_saveexec_b64 s[4:5], s[8:9]
	s_cbranch_execz .LBB100_118
; %bb.117:                              ;   in Loop: Header=BB100_72 Depth=1
	ds_read2_b64 v[0:3], v79 offset1:1
	ds_read2_b64 v[14:17], v79 offset0:2 offset1:3
	ds_read2_b64 v[18:21], v79 offset0:4 offset1:5
	;; [unrolled: 1-line block ×3, first 2 shown]
	v_ashrrev_i32_e32 v81, 31, v80
	s_waitcnt lgkmcnt(3)
	v_add_f64 v[0:1], v[0:1], v[2:3]
	s_waitcnt lgkmcnt(2)
	v_add_f64 v[0:1], v[0:1], v[14:15]
	v_add_f64 v[0:1], v[0:1], v[16:17]
	s_waitcnt lgkmcnt(1)
	v_add_f64 v[6:7], v[0:1], v[18:19]
	ds_read2_b64 v[0:3], v79 offset0:8 offset1:9
	ds_read2_b64 v[14:17], v79 offset0:10 offset1:11
	v_add_f64 v[6:7], v[6:7], v[20:21]
	s_waitcnt lgkmcnt(2)
	v_add_f64 v[6:7], v[6:7], v[168:169]
	v_add_f64 v[6:7], v[6:7], v[170:171]
	s_waitcnt lgkmcnt(1)
	v_add_f64 v[0:1], v[6:7], v[0:1]
	v_add_f64 v[6:7], v[0:1], v[2:3]
	ds_read2_b64 v[0:3], v79 offset0:12 offset1:13
	s_waitcnt lgkmcnt(1)
	v_add_f64 v[6:7], v[6:7], v[14:15]
	ds_read_b64 v[14:15], v79 offset:112
	ds_read_b64 v[18:19], v146
	v_add_f64 v[6:7], v[6:7], v[16:17]
	s_waitcnt lgkmcnt(2)
	v_add_f64 v[0:1], v[6:7], v[0:1]
	v_add_f64 v[0:1], v[0:1], v[2:3]
	v_lshlrev_b64 v[2:3], 3, v[80:81]
	s_waitcnt lgkmcnt(1)
	v_add_f64 v[0:1], v[0:1], v[14:15]
	v_mov_b32_e32 v6, s19
	v_add_co_u32_e32 v2, vcc, s7, v2
	s_waitcnt lgkmcnt(0)
	v_add_f64 v[0:1], v[0:1], v[18:19]
	v_addc_co_u32_e32 v3, vcc, v6, v3, vcc
	global_store_dwordx2 v[2:3], v[0:1], off
.LBB100_118:                            ;   in Loop: Header=BB100_72 Depth=1
	s_or_b64 exec, exec, s[4:5]
	v_mov_b32_e32 v0, s13
	v_add_co_u32_e32 v30, vcc, s12, v30
	v_addc_co_u32_e32 v25, vcc, v25, v0, vcc
	v_add_co_u32_e32 v34, vcc, s12, v34
	v_addc_co_u32_e32 v27, vcc, v27, v0, vcc
	;; [unrolled: 2-line block ×16, first 2 shown]
	v_fmac_f64_e32 v[28:29], v[82:83], v[90:91]
	v_add_co_u32_e32 v68, vcc, s12, v68
	v_fmac_f64_e32 v[28:29], v[84:85], v[92:93]
	v_addc_co_u32_e32 v65, vcc, v65, v0, vcc
	v_fmac_f64_e32 v[28:29], v[86:87], v[94:95]
	v_add_co_u32_e32 v70, vcc, s12, v70
	v_fmac_f64_e32 v[28:29], v[88:89], v[96:97]
	v_addc_co_u32_e32 v67, vcc, v67, v0, vcc
	;; [unrolled: 4-line block ×7, first 2 shown]
	v_fmac_f64_e32 v[28:29], v[134:135], v[10:11]
	s_add_i32 s4, s6, 1
	s_add_i32 s10, s10, s30
	;; [unrolled: 1-line block ×3, first 2 shown]
	v_add_co_u32_e32 v56, vcc, s12, v56
	v_fmac_f64_e32 v[28:29], v[136:137], v[12:13]
	v_add_u32_e32 v80, 64, v80
	s_cmp_ge_u32 s5, s33
	v_addc_co_u32_e32 v53, vcc, v53, v0, vcc
	s_barrier
	s_cbranch_scc1 .LBB100_124
; %bb.119:                              ;   in Loop: Header=BB100_72 Depth=1
	s_mov_b32 s6, s4
	s_cmp_eq_u32 s23, s6
	s_cselect_b32 s16, s38, 0
	s_and_saveexec_b64 s[4:5], s[0:1]
	s_cbranch_execnz .LBB100_69
	s_branch .LBB100_72
.LBB100_120:                            ;   in Loop: Header=BB100_72 Depth=1
                                        ; implicit-def: $vgpr88_vgpr89
                                        ; implicit-def: $vgpr86_vgpr87
                                        ; implicit-def: $vgpr84_vgpr85
                                        ; implicit-def: $vgpr82_vgpr83
	s_cbranch_execnz .LBB100_82
	s_branch .LBB100_83
.LBB100_121:                            ;   in Loop: Header=BB100_72 Depth=1
                                        ; implicit-def: $vgpr104_vgpr105
                                        ; implicit-def: $vgpr102_vgpr103
                                        ; implicit-def: $vgpr100_vgpr101
                                        ; implicit-def: $vgpr98_vgpr99
	s_cbranch_execnz .LBB100_93
	s_branch .LBB100_94
.LBB100_122:                            ;   in Loop: Header=BB100_72 Depth=1
                                        ; implicit-def: $vgpr120_vgpr121
                                        ; implicit-def: $vgpr118_vgpr119
                                        ; implicit-def: $vgpr116_vgpr117
                                        ; implicit-def: $vgpr114_vgpr115
	s_cbranch_execnz .LBB100_104
	s_branch .LBB100_105
.LBB100_123:                            ;   in Loop: Header=BB100_72 Depth=1
                                        ; implicit-def: $vgpr136_vgpr137
                                        ; implicit-def: $vgpr134_vgpr135
                                        ; implicit-def: $vgpr132_vgpr133
                                        ; implicit-def: $vgpr130_vgpr131
	s_cbranch_execnz .LBB100_115
	s_branch .LBB100_116
.LBB100_124:
	s_movk_i32 s2, 0x218
	v_cmp_gt_i32_e32 vcc, s18, v26
	v_mad_u32_u24 v0, v77, s2, v140
	s_or_b64 s[2:3], s[20:21], vcc
	s_and_b64 s[0:1], s[0:1], s[2:3]
	ds_write_b64 v0, v[28:29]
	s_waitcnt lgkmcnt(0)
	s_barrier
	s_and_saveexec_b64 s[2:3], s[0:1]
	s_cbranch_execz .LBB100_126
; %bb.125:
	ds_read2_b64 v[0:3], v140 offset1:67
	ds_read2_b64 v[4:7], v140 offset0:134 offset1:201
	v_ashrrev_i32_e32 v25, 31, v24
	v_lshlrev_b64 v[8:9], 3, v[24:25]
	v_mov_b32_e32 v10, s19
	s_waitcnt lgkmcnt(1)
	v_add_f64 v[0:1], v[0:1], v[2:3]
	s_waitcnt lgkmcnt(0)
	v_add_f64 v[0:1], v[0:1], v[4:5]
	v_add_co_u32_e32 v2, vcc, s7, v8
	v_add_f64 v[0:1], v[0:1], v[6:7]
	v_addc_co_u32_e32 v3, vcc, v10, v9, vcc
	global_store_dwordx2 v[2:3], v[0:1], off
.LBB100_126:
	s_endpgm
	.section	.rodata,"a",@progbits
	.p2align	6, 0x0
	.amdhsa_kernel _ZL26rocblas_hemvn_kernel_upperILb0ELi64ELi4ELi33ELi32ELi16EidPKdPdEviT6_lT7_lT5_lS4_lS5_lS3_lT8_i
		.amdhsa_group_segment_fixed_size 9600
		.amdhsa_private_segment_fixed_size 0
		.amdhsa_kernarg_size 376
		.amdhsa_user_sgpr_count 6
		.amdhsa_user_sgpr_private_segment_buffer 1
		.amdhsa_user_sgpr_dispatch_ptr 0
		.amdhsa_user_sgpr_queue_ptr 0
		.amdhsa_user_sgpr_kernarg_segment_ptr 1
		.amdhsa_user_sgpr_dispatch_id 0
		.amdhsa_user_sgpr_flat_scratch_init 0
		.amdhsa_user_sgpr_kernarg_preload_length 0
		.amdhsa_user_sgpr_kernarg_preload_offset 0
		.amdhsa_user_sgpr_private_segment_size 0
		.amdhsa_uses_dynamic_stack 0
		.amdhsa_system_sgpr_private_segment_wavefront_offset 0
		.amdhsa_system_sgpr_workgroup_id_x 1
		.amdhsa_system_sgpr_workgroup_id_y 0
		.amdhsa_system_sgpr_workgroup_id_z 1
		.amdhsa_system_sgpr_workgroup_info 0
		.amdhsa_system_vgpr_workitem_id 1
		.amdhsa_next_free_vgpr 172
		.amdhsa_next_free_sgpr 47
		.amdhsa_accum_offset 172
		.amdhsa_reserve_vcc 1
		.amdhsa_reserve_flat_scratch 0
		.amdhsa_float_round_mode_32 0
		.amdhsa_float_round_mode_16_64 0
		.amdhsa_float_denorm_mode_32 3
		.amdhsa_float_denorm_mode_16_64 3
		.amdhsa_dx10_clamp 1
		.amdhsa_ieee_mode 1
		.amdhsa_fp16_overflow 0
		.amdhsa_tg_split 0
		.amdhsa_exception_fp_ieee_invalid_op 0
		.amdhsa_exception_fp_denorm_src 0
		.amdhsa_exception_fp_ieee_div_zero 0
		.amdhsa_exception_fp_ieee_overflow 0
		.amdhsa_exception_fp_ieee_underflow 0
		.amdhsa_exception_fp_ieee_inexact 0
		.amdhsa_exception_int_div_zero 0
	.end_amdhsa_kernel
	.section	.text._ZL26rocblas_hemvn_kernel_upperILb0ELi64ELi4ELi33ELi32ELi16EidPKdPdEviT6_lT7_lT5_lS4_lS5_lS3_lT8_i,"axG",@progbits,_ZL26rocblas_hemvn_kernel_upperILb0ELi64ELi4ELi33ELi32ELi16EidPKdPdEviT6_lT7_lT5_lS4_lS5_lS3_lT8_i,comdat
.Lfunc_end100:
	.size	_ZL26rocblas_hemvn_kernel_upperILb0ELi64ELi4ELi33ELi32ELi16EidPKdPdEviT6_lT7_lT5_lS4_lS5_lS3_lT8_i, .Lfunc_end100-_ZL26rocblas_hemvn_kernel_upperILb0ELi64ELi4ELi33ELi32ELi16EidPKdPdEviT6_lT7_lT5_lS4_lS5_lS3_lT8_i
                                        ; -- End function
	.section	.AMDGPU.csdata,"",@progbits
; Kernel info:
; codeLenInByte = 7280
; NumSgprs: 51
; NumVgprs: 172
; NumAgprs: 0
; TotalNumVgprs: 172
; ScratchSize: 0
; MemoryBound: 0
; FloatMode: 240
; IeeeMode: 1
; LDSByteSize: 9600 bytes/workgroup (compile time only)
; SGPRBlocks: 6
; VGPRBlocks: 21
; NumSGPRsForWavesPerEU: 51
; NumVGPRsForWavesPerEU: 172
; AccumOffset: 172
; Occupancy: 2
; WaveLimiterHint : 1
; COMPUTE_PGM_RSRC2:SCRATCH_EN: 0
; COMPUTE_PGM_RSRC2:USER_SGPR: 6
; COMPUTE_PGM_RSRC2:TRAP_HANDLER: 0
; COMPUTE_PGM_RSRC2:TGID_X_EN: 1
; COMPUTE_PGM_RSRC2:TGID_Y_EN: 0
; COMPUTE_PGM_RSRC2:TGID_Z_EN: 1
; COMPUTE_PGM_RSRC2:TIDIG_COMP_CNT: 1
; COMPUTE_PGM_RSRC3_GFX90A:ACCUM_OFFSET: 42
; COMPUTE_PGM_RSRC3_GFX90A:TG_SPLIT: 0
	.section	.text._ZL36rocblas_hemvn_kernel_upper_block_sumILi64EidPddEviT1_lS1_lT2_lT0_lPT3_i,"axG",@progbits,_ZL36rocblas_hemvn_kernel_upper_block_sumILi64EidPddEviT1_lS1_lT2_lT0_lPT3_i,comdat
	.globl	_ZL36rocblas_hemvn_kernel_upper_block_sumILi64EidPddEviT1_lS1_lT2_lT0_lPT3_i ; -- Begin function _ZL36rocblas_hemvn_kernel_upper_block_sumILi64EidPddEviT1_lS1_lT2_lT0_lPT3_i
	.p2align	8
	.type	_ZL36rocblas_hemvn_kernel_upper_block_sumILi64EidPddEviT1_lS1_lT2_lT0_lPT3_i,@function
_ZL36rocblas_hemvn_kernel_upper_block_sumILi64EidPddEviT1_lS1_lT2_lT0_lPT3_i: ; @_ZL36rocblas_hemvn_kernel_upper_block_sumILi64EidPddEviT1_lS1_lT2_lT0_lPT3_i
; %bb.0:
	s_load_dwordx2 s[8:9], s[4:5], 0x8
	s_load_dwordx2 s[10:11], s[4:5], 0x18
	s_waitcnt lgkmcnt(0)
	v_cmp_eq_f64_e64 s[0:1], s[8:9], 0
	v_cmp_eq_f64_e64 s[2:3], s[10:11], 1.0
	s_and_b64 s[0:1], s[0:1], s[2:3]
	s_and_b64 vcc, exec, s[0:1]
	s_cbranch_vccnz .LBB101_19
; %bb.1:
	s_load_dwordx4 s[0:3], s[4:5], 0x40
	s_load_dword s22, s[4:5], 0x38
	s_load_dwordx4 s[16:19], s[4:5], 0x28
	s_load_dword s14, s[4:5], 0x0
	v_lshl_or_b32 v0, s6, 6, v0
	s_waitcnt lgkmcnt(0)
	s_mul_i32 s1, s7, s1
	s_mul_hi_u32 s12, s7, s0
	s_add_i32 s1, s12, s1
	s_mul_i32 s0, s7, s0
	s_lshl_b64 s[0:1], s[0:1], 3
	s_add_u32 s12, s16, s0
	s_addc_u32 s13, s17, s1
	s_lshl_b64 s[0:1], s[18:19], 3
	s_add_u32 s20, s12, s0
	s_addc_u32 s21, s13, s1
	v_cmp_neq_f64_e64 s[0:1], s[8:9], 0
	s_mov_b64 s[12:13], 0
	s_and_b64 vcc, exec, s[0:1]
	v_cmp_gt_i32_e64 s[0:1], s14, v0
	s_cbranch_vccnz .LBB101_6
; %bb.2:
	s_mov_b64 s[16:17], 0
                                        ; implicit-def: $vgpr4_vgpr5
                                        ; implicit-def: $vgpr2_vgpr3
	s_and_saveexec_b64 s[18:19], s[0:1]
	s_cbranch_execz .LBB101_7
; %bb.3:
	v_cmp_eq_f64_e64 s[0:1], s[10:11], 0
	v_mul_lo_u32 v2, v0, s22
	v_pk_mov_b32 v[4:5], 0, 0
	v_ashrrev_i32_e32 v3, 31, v2
	s_and_b64 vcc, exec, s[0:1]
	s_cbranch_vccnz .LBB101_5
; %bb.4:
	v_lshlrev_b64 v[4:5], 3, v[2:3]
	v_mov_b32_e32 v1, s21
	v_add_co_u32_e32 v4, vcc, s20, v4
	v_addc_co_u32_e32 v5, vcc, v1, v5, vcc
	global_load_dwordx2 v[4:5], v[4:5], off
	s_waitcnt vmcnt(0)
	v_mul_f64 v[4:5], v[4:5], s[10:11]
.LBB101_5:
	s_mov_b64 s[12:13], exec
	s_or_b64 exec, exec, s[18:19]
	s_and_b64 vcc, exec, s[16:17]
	s_cbranch_vccnz .LBB101_8
	s_branch .LBB101_17
.LBB101_6:
                                        ; implicit-def: $vgpr4_vgpr5
                                        ; implicit-def: $vgpr2_vgpr3
	s_cbranch_execnz .LBB101_8
	s_branch .LBB101_17
.LBB101_7:
	s_or_b64 exec, exec, s[18:19]
	s_and_b64 vcc, exec, s[16:17]
	s_cbranch_vccz .LBB101_17
.LBB101_8:
	v_cmp_gt_i32_e32 vcc, s14, v0
                                        ; implicit-def: $vgpr4_vgpr5
                                        ; implicit-def: $vgpr2_vgpr3
	s_and_saveexec_b64 s[0:1], vcc
	s_cbranch_execz .LBB101_16
; %bb.9:
	s_cmp_lt_i32 s6, 0
	v_pk_mov_b32 v[6:7], 0, 0
	s_cbranch_scc1 .LBB101_12
; %bb.10:
	s_load_dword s4, s[4:5], 0x58
	s_ashr_i32 s15, s14, 31
	s_mul_hi_u32 s5, s14, s7
	s_mul_i32 s16, s15, s7
	s_add_i32 s5, s5, s16
	s_mul_i32 s7, s14, s7
	s_waitcnt lgkmcnt(0)
	s_mul_i32 s5, s5, s4
	s_mul_hi_u32 s16, s7, s4
	s_add_i32 s5, s16, s5
	s_mul_i32 s4, s7, s4
	s_lshl_b64 s[4:5], s[4:5], 3
	s_add_u32 s2, s2, s4
	v_mov_b32_e32 v1, 0
	s_addc_u32 s3, s3, s5
	v_lshlrev_b64 v[2:3], 3, v[0:1]
	v_mov_b32_e32 v1, s3
	v_add_co_u32_e32 v2, vcc, s2, v2
	s_lshl_b64 s[2:3], s[14:15], 3
	v_addc_co_u32_e32 v3, vcc, v1, v3, vcc
	s_add_i32 s4, s6, 1
	v_pk_mov_b32 v[6:7], 0, 0
	v_mov_b32_e32 v1, s3
.LBB101_11:                             ; =>This Inner Loop Header: Depth=1
	global_load_dwordx2 v[4:5], v[2:3], off
	s_add_i32 s4, s4, -1
	v_add_co_u32_e32 v2, vcc, s2, v2
	v_addc_co_u32_e32 v3, vcc, v3, v1, vcc
	s_cmp_eq_u32 s4, 0
	s_waitcnt vmcnt(0)
	v_add_f64 v[6:7], v[6:7], v[4:5]
	s_cbranch_scc0 .LBB101_11
.LBB101_12:
	v_cmp_eq_f64_e64 s[4:5], s[10:11], 0
	v_mul_lo_u32 v2, v0, s22
	s_mov_b64 s[2:3], 0
	s_and_b64 vcc, exec, s[4:5]
	v_ashrrev_i32_e32 v3, 31, v2
	s_cbranch_vccz .LBB101_20
; %bb.13:
	v_mul_f64 v[4:5], v[6:7], s[8:9]
	s_andn2_b64 vcc, exec, s[2:3]
	s_cbranch_vccnz .LBB101_15
.LBB101_14:
	v_lshlrev_b64 v[0:1], 3, v[2:3]
	v_mov_b32_e32 v4, s21
	v_add_co_u32_e32 v0, vcc, s20, v0
	v_addc_co_u32_e32 v1, vcc, v4, v1, vcc
	global_load_dwordx2 v[0:1], v[0:1], off
	s_waitcnt vmcnt(0)
	v_mul_f64 v[4:5], v[0:1], s[10:11]
	v_fmac_f64_e32 v[4:5], s[8:9], v[6:7]
.LBB101_15:
	s_or_b64 s[12:13], s[12:13], exec
.LBB101_16:
	s_or_b64 exec, exec, s[0:1]
.LBB101_17:
	s_and_saveexec_b64 s[0:1], s[12:13]
	s_cbranch_execz .LBB101_19
; %bb.18:
	v_lshlrev_b64 v[0:1], 3, v[2:3]
	v_mov_b32_e32 v2, s21
	v_add_co_u32_e32 v0, vcc, s20, v0
	v_addc_co_u32_e32 v1, vcc, v2, v1, vcc
	global_store_dwordx2 v[0:1], v[4:5], off
.LBB101_19:
	s_endpgm
.LBB101_20:
                                        ; implicit-def: $vgpr4_vgpr5
	s_branch .LBB101_14
	.section	.rodata,"a",@progbits
	.p2align	6, 0x0
	.amdhsa_kernel _ZL36rocblas_hemvn_kernel_upper_block_sumILi64EidPddEviT1_lS1_lT2_lT0_lPT3_i
		.amdhsa_group_segment_fixed_size 0
		.amdhsa_private_segment_fixed_size 0
		.amdhsa_kernarg_size 344
		.amdhsa_user_sgpr_count 6
		.amdhsa_user_sgpr_private_segment_buffer 1
		.amdhsa_user_sgpr_dispatch_ptr 0
		.amdhsa_user_sgpr_queue_ptr 0
		.amdhsa_user_sgpr_kernarg_segment_ptr 1
		.amdhsa_user_sgpr_dispatch_id 0
		.amdhsa_user_sgpr_flat_scratch_init 0
		.amdhsa_user_sgpr_kernarg_preload_length 0
		.amdhsa_user_sgpr_kernarg_preload_offset 0
		.amdhsa_user_sgpr_private_segment_size 0
		.amdhsa_uses_dynamic_stack 0
		.amdhsa_system_sgpr_private_segment_wavefront_offset 0
		.amdhsa_system_sgpr_workgroup_id_x 1
		.amdhsa_system_sgpr_workgroup_id_y 0
		.amdhsa_system_sgpr_workgroup_id_z 1
		.amdhsa_system_sgpr_workgroup_info 0
		.amdhsa_system_vgpr_workitem_id 0
		.amdhsa_next_free_vgpr 8
		.amdhsa_next_free_sgpr 23
		.amdhsa_accum_offset 8
		.amdhsa_reserve_vcc 1
		.amdhsa_reserve_flat_scratch 0
		.amdhsa_float_round_mode_32 0
		.amdhsa_float_round_mode_16_64 0
		.amdhsa_float_denorm_mode_32 3
		.amdhsa_float_denorm_mode_16_64 3
		.amdhsa_dx10_clamp 1
		.amdhsa_ieee_mode 1
		.amdhsa_fp16_overflow 0
		.amdhsa_tg_split 0
		.amdhsa_exception_fp_ieee_invalid_op 0
		.amdhsa_exception_fp_denorm_src 0
		.amdhsa_exception_fp_ieee_div_zero 0
		.amdhsa_exception_fp_ieee_overflow 0
		.amdhsa_exception_fp_ieee_underflow 0
		.amdhsa_exception_fp_ieee_inexact 0
		.amdhsa_exception_int_div_zero 0
	.end_amdhsa_kernel
	.section	.text._ZL36rocblas_hemvn_kernel_upper_block_sumILi64EidPddEviT1_lS1_lT2_lT0_lPT3_i,"axG",@progbits,_ZL36rocblas_hemvn_kernel_upper_block_sumILi64EidPddEviT1_lS1_lT2_lT0_lPT3_i,comdat
.Lfunc_end101:
	.size	_ZL36rocblas_hemvn_kernel_upper_block_sumILi64EidPddEviT1_lS1_lT2_lT0_lPT3_i, .Lfunc_end101-_ZL36rocblas_hemvn_kernel_upper_block_sumILi64EidPddEviT1_lS1_lT2_lT0_lPT3_i
                                        ; -- End function
	.section	.AMDGPU.csdata,"",@progbits
; Kernel info:
; codeLenInByte = 604
; NumSgprs: 27
; NumVgprs: 8
; NumAgprs: 0
; TotalNumVgprs: 8
; ScratchSize: 0
; MemoryBound: 0
; FloatMode: 240
; IeeeMode: 1
; LDSByteSize: 0 bytes/workgroup (compile time only)
; SGPRBlocks: 3
; VGPRBlocks: 0
; NumSGPRsForWavesPerEU: 27
; NumVGPRsForWavesPerEU: 8
; AccumOffset: 8
; Occupancy: 8
; WaveLimiterHint : 0
; COMPUTE_PGM_RSRC2:SCRATCH_EN: 0
; COMPUTE_PGM_RSRC2:USER_SGPR: 6
; COMPUTE_PGM_RSRC2:TRAP_HANDLER: 0
; COMPUTE_PGM_RSRC2:TGID_X_EN: 1
; COMPUTE_PGM_RSRC2:TGID_Y_EN: 0
; COMPUTE_PGM_RSRC2:TGID_Z_EN: 1
; COMPUTE_PGM_RSRC2:TIDIG_COMP_CNT: 0
; COMPUTE_PGM_RSRC3_GFX90A:ACCUM_OFFSET: 1
; COMPUTE_PGM_RSRC3_GFX90A:TG_SPLIT: 0
	.section	.text._ZL50rocblas_symv_kernel_lower_double_buffered_diagonalILi32ELi4E24rocblas_internal_val_ptrIdEPKdPdEvbiT1_lT2_lllS6_lllS5_lT3_llli,"axG",@progbits,_ZL50rocblas_symv_kernel_lower_double_buffered_diagonalILi32ELi4E24rocblas_internal_val_ptrIdEPKdPdEvbiT1_lT2_lllS6_lllS5_lT3_llli,comdat
	.globl	_ZL50rocblas_symv_kernel_lower_double_buffered_diagonalILi32ELi4E24rocblas_internal_val_ptrIdEPKdPdEvbiT1_lT2_lllS6_lllS5_lT3_llli ; -- Begin function _ZL50rocblas_symv_kernel_lower_double_buffered_diagonalILi32ELi4E24rocblas_internal_val_ptrIdEPKdPdEvbiT1_lT2_lllS6_lllS5_lT3_llli
	.p2align	8
	.type	_ZL50rocblas_symv_kernel_lower_double_buffered_diagonalILi32ELi4E24rocblas_internal_val_ptrIdEPKdPdEvbiT1_lT2_lllS6_lllS5_lT3_llli,@function
_ZL50rocblas_symv_kernel_lower_double_buffered_diagonalILi32ELi4E24rocblas_internal_val_ptrIdEPKdPdEvbiT1_lT2_lllS6_lllS5_lT3_llli: ; @_ZL50rocblas_symv_kernel_lower_double_buffered_diagonalILi32ELi4E24rocblas_internal_val_ptrIdEPKdPdEvbiT1_lT2_lllS6_lllS5_lT3_llli
; %bb.0:
	s_load_dword s0, s[4:5], 0x0
	s_load_dwordx16 s[8:23], s[4:5], 0x8
	s_load_dwordx8 s[24:31], s[4:5], 0x48
	s_waitcnt lgkmcnt(0)
	s_bitcmp1_b32 s0, 0
	s_cselect_b64 s[2:3], -1, 0
	s_xor_b64 s[0:1], s[2:3], -1
	s_and_b64 vcc, exec, s[2:3]
	v_pk_mov_b32 v[2:3], s[8:9], s[8:9] op_sel:[0,1]
	s_cbranch_vccnz .LBB102_2
; %bb.1:
	s_mul_i32 s2, s7, s11
	s_mul_hi_u32 s3, s7, s10
	s_add_i32 s3, s3, s2
	s_mul_i32 s2, s7, s10
	s_lshl_b64 s[2:3], s[2:3], 3
	s_add_u32 s2, s8, s2
	s_addc_u32 s3, s9, s3
	v_pk_mov_b32 v[2:3], s[2:3], s[2:3] op_sel:[0,1]
	flat_load_dwordx2 v[2:3], v[2:3]
.LBB102_2:
	s_andn2_b64 vcc, exec, s[0:1]
	v_pk_mov_b32 v[4:5], s[28:29], s[28:29] op_sel:[0,1]
	s_cbranch_vccnz .LBB102_4
; %bb.3:
	s_mul_i32 s0, s7, s31
	s_mul_hi_u32 s1, s7, s30
	s_add_i32 s1, s1, s0
	s_mul_i32 s0, s7, s30
	s_lshl_b64 s[0:1], s[0:1], 3
	s_add_u32 s0, s28, s0
	s_addc_u32 s1, s29, s1
	v_pk_mov_b32 v[4:5], s[0:1], s[0:1] op_sel:[0,1]
	flat_load_dwordx2 v[4:5], v[4:5]
.LBB102_4:
	s_waitcnt vmcnt(0) lgkmcnt(0)
	v_cmp_neq_f64_e32 vcc, 0, v[2:3]
	v_cmp_neq_f64_e64 s[0:1], 1.0, v[4:5]
	s_or_b64 s[0:1], vcc, s[0:1]
	s_and_saveexec_b64 s[2:3], s[0:1]
	s_cbranch_execz .LBB102_32
; %bb.5:
	s_load_dwordx2 s[8:9], s[4:5], 0x80
	s_load_dwordx2 s[10:11], s[4:5], 0x68
	s_load_dwordx4 s[0:3], s[4:5], 0x70
	v_and_b32_e32 v8, 0x3ff, v0
	v_bfe_u32 v9, v0, 10, 10
	s_waitcnt lgkmcnt(0)
	s_mul_i32 s5, s7, s9
	s_mul_hi_u32 s9, s7, s8
	s_mul_i32 s4, s7, s8
	s_add_i32 s5, s9, s5
	s_lshl_b64 s[4:5], s[4:5], 3
	s_add_u32 s4, s10, s4
	s_addc_u32 s5, s11, s5
	s_lshl_b64 s[0:1], s[0:1], 3
	s_add_u32 s4, s4, s0
	s_addc_u32 s5, s5, s1
	s_lshl_b32 s6, s6, 5
	s_ashr_i32 s28, s6, 31
	s_mul_i32 s0, s6, s3
	s_mul_hi_u32 s1, s6, s2
	s_add_i32 s0, s1, s0
	s_mul_i32 s1, s28, s2
	s_add_i32 s1, s0, s1
	s_mul_i32 s0, s6, s2
	s_lshl_b64 s[0:1], s[0:1], 3
	s_add_u32 s10, s4, s0
	s_addc_u32 s11, s5, s1
	v_cmp_eq_f64_e32 vcc, 0, v[2:3]
	s_and_saveexec_b64 s[0:1], vcc
	s_xor_b64 s[0:1], exec, s[0:1]
	s_cbranch_execz .LBB102_9
; %bb.6:
	v_cmp_eq_u32_e32 vcc, 0, v9
	s_and_saveexec_b64 s[4:5], vcc
	s_cbranch_execz .LBB102_8
; %bb.7:
	v_mad_u64_u32 v[0:1], s[8:9], v8, s2, 0
	v_mov_b32_e32 v2, v1
	v_mad_u64_u32 v[2:3], s[8:9], v8, s3, v[2:3]
	v_mov_b32_e32 v1, v2
	v_lshlrev_b64 v[0:1], 3, v[0:1]
	v_mov_b32_e32 v2, s11
	v_add_co_u32_e32 v0, vcc, s10, v0
	v_addc_co_u32_e32 v1, vcc, v2, v1, vcc
	global_load_dwordx2 v[2:3], v[0:1], off
	s_waitcnt vmcnt(0)
	v_mul_f64 v[2:3], v[4:5], v[2:3]
	global_store_dwordx2 v[0:1], v[2:3], off
.LBB102_8:
	s_or_b64 exec, exec, s[4:5]
                                        ; implicit-def: $vgpr9
                                        ; implicit-def: $vgpr8
                                        ; implicit-def: $vgpr2_vgpr3
                                        ; implicit-def: $vgpr4_vgpr5
.LBB102_9:
	s_andn2_saveexec_b64 s[0:1], s[0:1]
	s_cbranch_execz .LBB102_32
; %bb.10:
	v_cmp_eq_u32_e32 vcc, 0, v9
	v_pk_mov_b32 v[0:1], 0, 0
	s_and_saveexec_b64 s[4:5], vcc
	s_cbranch_execz .LBB102_14
; %bb.11:
	v_cmp_neq_f64_e64 s[0:1], 0, v[4:5]
	v_pk_mov_b32 v[0:1], 0, 0
	s_and_saveexec_b64 s[8:9], s[0:1]
	s_cbranch_execz .LBB102_13
; %bb.12:
	v_mad_u64_u32 v[0:1], s[0:1], v8, s2, 0
	v_mov_b32_e32 v6, v1
	v_mad_u64_u32 v[6:7], s[0:1], v8, s3, v[6:7]
	v_mov_b32_e32 v1, v6
	v_lshlrev_b64 v[0:1], 3, v[0:1]
	v_mov_b32_e32 v6, s11
	v_add_co_u32_e64 v0, s[0:1], s10, v0
	v_addc_co_u32_e64 v1, s[0:1], v6, v1, s[0:1]
	global_load_dwordx2 v[0:1], v[0:1], off
	s_waitcnt vmcnt(0)
	v_mul_f64 v[0:1], v[4:5], v[0:1]
.LBB102_13:
	s_or_b64 exec, exec, s[8:9]
	s_mul_i32 s0, s7, s27
	s_mul_hi_u32 s1, s7, s26
	s_add_i32 s1, s1, s0
	s_mul_i32 s0, s7, s26
	s_lshl_b64 s[0:1], s[0:1], 3
	s_add_u32 s8, s20, s0
	s_addc_u32 s9, s21, s1
	s_lshl_b64 s[0:1], s[22:23], 3
	s_add_u32 s8, s8, s0
	s_addc_u32 s9, s9, s1
	s_mul_i32 s0, s6, s25
	s_mul_hi_u32 s1, s6, s24
	s_add_i32 s0, s1, s0
	s_mul_i32 s1, s28, s24
	s_add_i32 s1, s0, s1
	s_mul_i32 s0, s6, s24
	s_lshl_b64 s[0:1], s[0:1], 3
	s_add_u32 s8, s8, s0
	s_addc_u32 s9, s9, s1
	v_mad_u64_u32 v[6:7], s[0:1], v8, s24, 0
	v_mov_b32_e32 v10, v7
	v_mad_u64_u32 v[10:11], s[0:1], v8, s25, v[10:11]
	v_mov_b32_e32 v7, v10
	v_lshlrev_b64 v[6:7], 3, v[6:7]
	v_mov_b32_e32 v10, s9
	v_add_co_u32_e64 v6, s[0:1], s8, v6
	v_addc_co_u32_e64 v7, s[0:1], v10, v7, s[0:1]
	global_load_dwordx2 v[6:7], v[6:7], off
	v_lshlrev_b32_e32 v10, 3, v8
	s_waitcnt vmcnt(0)
	ds_write_b64 v10, v[6:7] offset:10240
.LBB102_14:
	s_or_b64 exec, exec, s[4:5]
	s_mul_i32 s0, s7, s19
	s_mul_hi_u32 s1, s7, s18
	s_add_i32 s1, s1, s0
	s_mul_i32 s0, s7, s18
	s_lshl_b64 s[0:1], s[0:1], 3
	s_add_u32 s4, s12, s0
	s_addc_u32 s5, s13, s1
	s_lshl_b64 s[0:1], s[14:15], 3
	s_add_u32 s4, s4, s0
	s_addc_u32 s5, s5, s1
	s_add_u32 s0, s16, 1
	s_addc_u32 s1, s17, 0
	s_mul_i32 s7, s0, s28
	s_mul_hi_u32 s8, s0, s6
	s_add_i32 s7, s8, s7
	s_mul_i32 s1, s1, s6
	s_add_i32 s1, s7, s1
	s_mul_i32 s0, s0, s6
	s_lshl_b64 s[0:1], s[0:1], 3
	s_add_u32 s4, s4, s0
	s_addc_u32 s5, s5, s1
	v_mad_u64_u32 v[6:7], s[0:1], v9, s16, 0
	v_mov_b32_e32 v10, v7
	v_mad_u64_u32 v[10:11], s[0:1], v9, s17, v[10:11]
	v_mov_b32_e32 v7, v10
	v_lshlrev_b64 v[6:7], 3, v[6:7]
	v_mov_b32_e32 v10, s5
	v_add_co_u32_e64 v6, s[0:1], s4, v6
	v_addc_co_u32_e64 v7, s[0:1], v10, v7, s[0:1]
	v_lshlrev_b32_e32 v10, 3, v8
	v_add_co_u32_e64 v6, s[0:1], v6, v10
	v_addc_co_u32_e64 v7, s[0:1], 0, v7, s[0:1]
	s_lshl_b64 s[4:5], s[16:17], 5
	v_mov_b32_e32 v11, s5
	v_add_co_u32_e64 v12, s[0:1], s4, v6
	v_addc_co_u32_e64 v13, s[0:1], v7, v11, s[0:1]
	global_load_dwordx2 v[18:19], v[6:7], off
	global_load_dwordx2 v[20:21], v[12:13], off
	v_add_co_u32_e64 v6, s[0:1], s4, v12
	v_addc_co_u32_e64 v7, s[0:1], v13, v11, s[0:1]
	global_load_dwordx2 v[22:23], v[6:7], off
	v_add_co_u32_e64 v6, s[0:1], s4, v6
	v_addc_co_u32_e64 v7, s[0:1], v7, v11, s[0:1]
	global_load_dwordx2 v[24:25], v[6:7], off
	v_add_u32_e32 v17, 4, v9
	v_add_u32_e32 v16, 8, v9
	;; [unrolled: 1-line block ×3, first 2 shown]
	v_lshl_add_u32 v11, v9, 5, v8
	v_lshlrev_b32_e32 v12, 5, v17
	v_lshlrev_b32_e32 v13, 5, v16
	;; [unrolled: 1-line block ×4, first 2 shown]
	v_add_lshl_u32 v14, v12, v8, 3
	v_add_lshl_u32 v13, v13, v8, 3
	;; [unrolled: 1-line block ×3, first 2 shown]
	v_cmp_lt_u32_e64 s[0:1], 15, v8
	s_waitcnt vmcnt(3)
	ds_write_b64 v11, v[18:19]
	s_waitcnt vmcnt(2)
	ds_write_b64 v14, v[20:21]
	;; [unrolled: 2-line block ×4, first 2 shown]
	s_and_saveexec_b64 s[6:7], s[0:1]
	s_cbranch_execz .LBB102_16
; %bb.15:
	v_mov_b32_e32 v24, s5
	v_add_co_u32_e64 v6, s[0:1], s4, v6
	s_lshl_b64 s[8:9], s[16:17], 2
	v_addc_co_u32_e64 v7, s[0:1], v7, v24, s[0:1]
	s_lshl_b64 s[0:1], s[8:9], 3
	global_load_dwordx2 v[18:19], v[6:7], off
	v_mov_b32_e32 v20, s1
	v_add_co_u32_e64 v6, s[0:1], s0, v6
	v_addc_co_u32_e64 v7, s[0:1], v7, v20, s[0:1]
	global_load_dwordx2 v[20:21], v[6:7], off
	v_add_co_u32_e64 v6, s[0:1], s4, v6
	v_addc_co_u32_e64 v7, s[0:1], v7, v24, s[0:1]
	global_load_dwordx2 v[22:23], v[6:7], off
	v_add_co_u32_e64 v6, s[0:1], s4, v6
	v_addc_co_u32_e64 v7, s[0:1], v7, v24, s[0:1]
	global_load_dwordx2 v[6:7], v[6:7], off
	s_waitcnt vmcnt(2)
	ds_write2st64_b64 v11, v[18:19], v[20:21] offset0:8 offset1:10
	s_waitcnt vmcnt(0)
	ds_write2st64_b64 v11, v[22:23], v[6:7] offset0:12 offset1:14
.LBB102_16:
	s_or_b64 exec, exec, s[6:7]
	v_cmp_lt_u32_e64 s[0:1], v8, v9
	v_lshlrev_b32_e32 v6, 5, v8
	s_waitcnt lgkmcnt(0)
	s_barrier
	s_and_saveexec_b64 s[4:5], s[0:1]
	s_cbranch_execz .LBB102_18
; %bb.17:
	v_add_lshl_u32 v7, v6, v9, 3
	ds_read_b64 v[18:19], v7
	s_waitcnt lgkmcnt(0)
	ds_write_b64 v11, v[18:19]
.LBB102_18:
	s_or_b64 exec, exec, s[4:5]
	v_sub_u32_e32 v7, v8, v9
	v_sub_u32_e32 v18, 0, v7
	v_max_i32_e32 v18, v7, v18
	v_cmp_gt_u32_e64 s[0:1], 4, v18
	v_add_lshl_u32 v19, v9, v6, 3
	s_and_saveexec_b64 s[4:5], s[0:1]
	s_cbranch_execnz .LBB102_33
; %bb.19:
	s_or_b64 exec, exec, s[4:5]
	v_cmp_gt_u32_e64 s[0:1], 8, v18
	s_and_saveexec_b64 s[4:5], s[0:1]
	s_cbranch_execnz .LBB102_34
.LBB102_20:
	s_or_b64 exec, exec, s[4:5]
	v_cmp_gt_u32_e64 s[0:1], 12, v18
	s_and_saveexec_b64 s[4:5], s[0:1]
	s_cbranch_execz .LBB102_22
.LBB102_21:
	ds_read_b64 v[20:21], v19 offset:96
	s_waitcnt lgkmcnt(0)
	ds_write_b64 v12, v[20:21]
.LBB102_22:
	s_or_b64 exec, exec, s[4:5]
	v_add_u32_e32 v7, 16, v9
	v_cmp_gt_u32_e64 s[0:1], 16, v18
	v_lshlrev_b32_e32 v7, 5, v7
	s_and_saveexec_b64 s[4:5], s[0:1]
	s_cbranch_execnz .LBB102_35
; %bb.23:
	s_or_b64 exec, exec, s[4:5]
	v_cmp_gt_u32_e64 s[0:1], 20, v18
	s_and_saveexec_b64 s[4:5], s[0:1]
	s_cbranch_execnz .LBB102_36
.LBB102_24:
	s_or_b64 exec, exec, s[4:5]
	v_cmp_gt_u32_e64 s[0:1], 24, v18
	s_and_saveexec_b64 s[4:5], s[0:1]
	s_cbranch_execz .LBB102_26
.LBB102_25:
	v_add_lshl_u32 v16, v16, v6, 3
	ds_read_b64 v[16:17], v16 offset:128
	s_waitcnt lgkmcnt(0)
	ds_write_b64 v11, v[16:17] offset:6144
.LBB102_26:
	s_or_b64 exec, exec, s[4:5]
	v_cmp_lt_u32_e64 s[0:1], 27, v18
	v_add_u32_e32 v16, 28, v9
                                        ; implicit-def: $vgpr17
	s_and_saveexec_b64 s[4:5], s[0:1]
	s_xor_b64 s[0:1], exec, s[4:5]
; %bb.27:
	v_add_u32_e32 v16, 28, v9
	v_lshl_add_u32 v17, v16, 5, v8
                                        ; implicit-def: $vgpr15
                                        ; implicit-def: $vgpr6
; %bb.28:
	s_andn2_saveexec_b64 s[0:1], s[0:1]
	s_cbranch_execz .LBB102_30
; %bb.29:
	v_add_lshl_u32 v6, v15, v6, 3
	ds_read_b64 v[18:19], v6 offset:128
	v_lshl_add_u32 v17, v16, 5, v8
	v_lshlrev_b32_e32 v6, 3, v17
	s_waitcnt lgkmcnt(0)
	ds_write_b64 v6, v[18:19]
.LBB102_30:
	s_or_b64 exec, exec, s[0:1]
	v_lshlrev_b32_e32 v34, 3, v9
	v_add_u32_e32 v6, 0x2800, v34
	s_waitcnt lgkmcnt(0)
	s_barrier
	ds_read2_b64 v[18:21], v6 offset1:4
	ds_read_b64 v[22:23], v11
	ds_read_b64 v[14:15], v14
	;; [unrolled: 1-line block ×4, first 2 shown]
	v_add_lshl_u32 v7, v7, v8, 3
	s_waitcnt lgkmcnt(3)
	v_fma_f64 v[30:31], v[22:23], v[18:19], 0
	s_waitcnt lgkmcnt(2)
	v_fmac_f64_e32 v[30:31], v[14:15], v[20:21]
	ds_read2_b64 v[12:15], v6 offset0:8 offset1:12
	ds_read2_b64 v[18:21], v6 offset0:16 offset1:20
	v_lshlrev_b32_e32 v6, 5, v9
	v_add_lshl_u32 v6, v6, v8, 3
	ds_read2st64_b64 v[22:25], v6 offset0:10 offset1:12
	v_lshlrev_b32_e32 v32, 3, v16
	v_lshlrev_b32_e32 v9, 3, v17
	ds_read_b64 v[6:7], v7
	ds_read_b64 v[16:17], v9
	ds_read_b64 v[32:33], v32 offset:10240
	ds_read_b64 v[34:35], v34 offset:10432
	s_waitcnt lgkmcnt(6)
	v_fmac_f64_e32 v[30:31], v[26:27], v[12:13]
	v_fmac_f64_e32 v[30:31], v[28:29], v[14:15]
	s_waitcnt lgkmcnt(3)
	v_fmac_f64_e32 v[30:31], v[6:7], v[18:19]
	v_fmac_f64_e32 v[30:31], v[22:23], v[20:21]
	;; [unrolled: 3-line block ×3, first 2 shown]
	ds_write_b64 v11, v[30:31] offset:8192
	s_waitcnt lgkmcnt(0)
	s_barrier
	s_and_saveexec_b64 s[0:1], vcc
	s_cbranch_execz .LBB102_32
; %bb.31:
	v_add_u32_e32 v6, 0x2000, v10
	ds_read2_b64 v[10:13], v6 offset1:32
	ds_read2_b64 v[14:17], v6 offset0:64 offset1:96
	v_cmp_neq_f64_e32 vcc, 0, v[4:5]
	s_waitcnt lgkmcnt(1)
	v_add_f64 v[6:7], v[10:11], 0
	v_add_f64 v[6:7], v[6:7], v[12:13]
	s_waitcnt lgkmcnt(0)
	v_add_f64 v[6:7], v[6:7], v[14:15]
	v_add_f64 v[6:7], v[6:7], v[16:17]
	v_mul_f64 v[10:11], v[2:3], v[6:7]
	v_fmac_f64_e32 v[0:1], v[2:3], v[6:7]
	v_mad_u64_u32 v[2:3], s[0:1], v8, s2, 0
	v_mov_b32_e32 v4, v3
	v_mad_u64_u32 v[4:5], s[0:1], v8, s3, v[4:5]
	v_mov_b32_e32 v3, v4
	v_lshlrev_b64 v[2:3], 3, v[2:3]
	v_cndmask_b32_e32 v1, v11, v1, vcc
	v_cndmask_b32_e32 v0, v10, v0, vcc
	v_mov_b32_e32 v4, s11
	v_add_co_u32_e32 v2, vcc, s10, v2
	v_addc_co_u32_e32 v3, vcc, v4, v3, vcc
	global_store_dwordx2 v[2:3], v[0:1], off
.LBB102_32:
	s_endpgm
.LBB102_33:
	ds_read_b64 v[20:21], v19 offset:32
	s_waitcnt lgkmcnt(0)
	ds_write_b64 v14, v[20:21]
	s_or_b64 exec, exec, s[4:5]
	v_cmp_gt_u32_e64 s[0:1], 8, v18
	s_and_saveexec_b64 s[4:5], s[0:1]
	s_cbranch_execz .LBB102_20
.LBB102_34:
	ds_read_b64 v[20:21], v19 offset:64
	s_waitcnt lgkmcnt(0)
	ds_write_b64 v13, v[20:21]
	s_or_b64 exec, exec, s[4:5]
	v_cmp_gt_u32_e64 s[0:1], 12, v18
	s_and_saveexec_b64 s[4:5], s[0:1]
	s_cbranch_execnz .LBB102_21
	s_branch .LBB102_22
.LBB102_35:
	ds_read_b64 v[20:21], v19 offset:128
	v_add_lshl_u32 v19, v7, v8, 3
	s_waitcnt lgkmcnt(0)
	ds_write_b64 v19, v[20:21]
	s_or_b64 exec, exec, s[4:5]
	v_cmp_gt_u32_e64 s[0:1], 20, v18
	s_and_saveexec_b64 s[4:5], s[0:1]
	s_cbranch_execz .LBB102_24
.LBB102_36:
	v_add_lshl_u32 v17, v17, v6, 3
	ds_read_b64 v[20:21], v17 offset:128
	s_waitcnt lgkmcnt(0)
	ds_write_b64 v11, v[20:21] offset:5120
	s_or_b64 exec, exec, s[4:5]
	v_cmp_gt_u32_e64 s[0:1], 24, v18
	s_and_saveexec_b64 s[4:5], s[0:1]
	s_cbranch_execnz .LBB102_25
	s_branch .LBB102_26
	.section	.rodata,"a",@progbits
	.p2align	6, 0x0
	.amdhsa_kernel _ZL50rocblas_symv_kernel_lower_double_buffered_diagonalILi32ELi4E24rocblas_internal_val_ptrIdEPKdPdEvbiT1_lT2_lllS6_lllS5_lT3_llli
		.amdhsa_group_segment_fixed_size 10496
		.amdhsa_private_segment_fixed_size 0
		.amdhsa_kernarg_size 140
		.amdhsa_user_sgpr_count 6
		.amdhsa_user_sgpr_private_segment_buffer 1
		.amdhsa_user_sgpr_dispatch_ptr 0
		.amdhsa_user_sgpr_queue_ptr 0
		.amdhsa_user_sgpr_kernarg_segment_ptr 1
		.amdhsa_user_sgpr_dispatch_id 0
		.amdhsa_user_sgpr_flat_scratch_init 0
		.amdhsa_user_sgpr_kernarg_preload_length 0
		.amdhsa_user_sgpr_kernarg_preload_offset 0
		.amdhsa_user_sgpr_private_segment_size 0
		.amdhsa_uses_dynamic_stack 0
		.amdhsa_system_sgpr_private_segment_wavefront_offset 0
		.amdhsa_system_sgpr_workgroup_id_x 1
		.amdhsa_system_sgpr_workgroup_id_y 0
		.amdhsa_system_sgpr_workgroup_id_z 1
		.amdhsa_system_sgpr_workgroup_info 0
		.amdhsa_system_vgpr_workitem_id 1
		.amdhsa_next_free_vgpr 36
		.amdhsa_next_free_sgpr 32
		.amdhsa_accum_offset 36
		.amdhsa_reserve_vcc 1
		.amdhsa_reserve_flat_scratch 0
		.amdhsa_float_round_mode_32 0
		.amdhsa_float_round_mode_16_64 0
		.amdhsa_float_denorm_mode_32 3
		.amdhsa_float_denorm_mode_16_64 3
		.amdhsa_dx10_clamp 1
		.amdhsa_ieee_mode 1
		.amdhsa_fp16_overflow 0
		.amdhsa_tg_split 0
		.amdhsa_exception_fp_ieee_invalid_op 0
		.amdhsa_exception_fp_denorm_src 0
		.amdhsa_exception_fp_ieee_div_zero 0
		.amdhsa_exception_fp_ieee_overflow 0
		.amdhsa_exception_fp_ieee_underflow 0
		.amdhsa_exception_fp_ieee_inexact 0
		.amdhsa_exception_int_div_zero 0
	.end_amdhsa_kernel
	.section	.text._ZL50rocblas_symv_kernel_lower_double_buffered_diagonalILi32ELi4E24rocblas_internal_val_ptrIdEPKdPdEvbiT1_lT2_lllS6_lllS5_lT3_llli,"axG",@progbits,_ZL50rocblas_symv_kernel_lower_double_buffered_diagonalILi32ELi4E24rocblas_internal_val_ptrIdEPKdPdEvbiT1_lT2_lllS6_lllS5_lT3_llli,comdat
.Lfunc_end102:
	.size	_ZL50rocblas_symv_kernel_lower_double_buffered_diagonalILi32ELi4E24rocblas_internal_val_ptrIdEPKdPdEvbiT1_lT2_lllS6_lllS5_lT3_llli, .Lfunc_end102-_ZL50rocblas_symv_kernel_lower_double_buffered_diagonalILi32ELi4E24rocblas_internal_val_ptrIdEPKdPdEvbiT1_lT2_lllS6_lllS5_lT3_llli
                                        ; -- End function
	.section	.AMDGPU.csdata,"",@progbits
; Kernel info:
; codeLenInByte = 2104
; NumSgprs: 36
; NumVgprs: 36
; NumAgprs: 0
; TotalNumVgprs: 36
; ScratchSize: 0
; MemoryBound: 0
; FloatMode: 240
; IeeeMode: 1
; LDSByteSize: 10496 bytes/workgroup (compile time only)
; SGPRBlocks: 4
; VGPRBlocks: 4
; NumSGPRsForWavesPerEU: 36
; NumVGPRsForWavesPerEU: 36
; AccumOffset: 36
; Occupancy: 3
; WaveLimiterHint : 0
; COMPUTE_PGM_RSRC2:SCRATCH_EN: 0
; COMPUTE_PGM_RSRC2:USER_SGPR: 6
; COMPUTE_PGM_RSRC2:TRAP_HANDLER: 0
; COMPUTE_PGM_RSRC2:TGID_X_EN: 1
; COMPUTE_PGM_RSRC2:TGID_Y_EN: 0
; COMPUTE_PGM_RSRC2:TGID_Z_EN: 1
; COMPUTE_PGM_RSRC2:TIDIG_COMP_CNT: 1
; COMPUTE_PGM_RSRC3_GFX90A:ACCUM_OFFSET: 8
; COMPUTE_PGM_RSRC3_GFX90A:TG_SPLIT: 0
	.section	.text._ZL54rocblas_symv_kernel_lower_double_buffered_non_diagonalILi32ELi4ELi4E24rocblas_internal_val_ptrIdEPKdPdEvbiT2_lT3_lllS6_lllT4_llli,"axG",@progbits,_ZL54rocblas_symv_kernel_lower_double_buffered_non_diagonalILi32ELi4ELi4E24rocblas_internal_val_ptrIdEPKdPdEvbiT2_lT3_lllS6_lllT4_llli,comdat
	.globl	_ZL54rocblas_symv_kernel_lower_double_buffered_non_diagonalILi32ELi4ELi4E24rocblas_internal_val_ptrIdEPKdPdEvbiT2_lT3_lllS6_lllT4_llli ; -- Begin function _ZL54rocblas_symv_kernel_lower_double_buffered_non_diagonalILi32ELi4ELi4E24rocblas_internal_val_ptrIdEPKdPdEvbiT2_lT3_lllS6_lllT4_llli
	.p2align	8
	.type	_ZL54rocblas_symv_kernel_lower_double_buffered_non_diagonalILi32ELi4ELi4E24rocblas_internal_val_ptrIdEPKdPdEvbiT2_lT3_lllS6_lllT4_llli,@function
_ZL54rocblas_symv_kernel_lower_double_buffered_non_diagonalILi32ELi4ELi4E24rocblas_internal_val_ptrIdEPKdPdEvbiT2_lT3_lllS6_lllT4_llli: ; @_ZL54rocblas_symv_kernel_lower_double_buffered_non_diagonalILi32ELi4ELi4E24rocblas_internal_val_ptrIdEPKdPdEvbiT2_lT3_lllS6_lllT4_llli
; %bb.0:
	s_load_dword s0, s[4:5], 0x0
	s_load_dwordx16 s[12:27], s[4:5], 0x8
	s_waitcnt lgkmcnt(0)
	s_bitcmp1_b32 s0, 0
	s_cselect_b64 s[0:1], -1, 0
	s_and_b64 vcc, exec, s[0:1]
	v_pk_mov_b32 v[8:9], s[12:13], s[12:13] op_sel:[0,1]
	s_cbranch_vccnz .LBB103_2
; %bb.1:
	s_mul_i32 s0, s8, s15
	s_mul_hi_u32 s1, s8, s14
	s_add_i32 s1, s1, s0
	s_mul_i32 s0, s8, s14
	s_lshl_b64 s[0:1], s[0:1], 3
	s_add_u32 s0, s12, s0
	s_addc_u32 s1, s13, s1
	v_pk_mov_b32 v[2:3], s[0:1], s[0:1] op_sel:[0,1]
	flat_load_dwordx2 v[8:9], v[2:3]
.LBB103_2:
	s_waitcnt vmcnt(0) lgkmcnt(0)
	v_cmp_neq_f64_e32 vcc, 0, v[8:9]
	s_and_saveexec_b64 s[0:1], vcc
	s_cbranch_execz .LBB103_22
; %bb.3:
	s_load_dwordx2 s[2:3], s[4:5], 0x80
	s_waitcnt lgkmcnt(0)
	v_cvt_f32_u32_e32 v1, s3
	s_add_i32 s0, s2, -1
	s_cmp_eq_u32 s6, s0
	v_rcp_iflag_f32_e32 v1, v1
	v_mul_f32_e32 v1, 0x4f7ffffe, v1
	v_cvt_u32_f32_e32 v1, v1
	v_readfirstlane_b32 s0, v1
	s_cbranch_scc1 .LBB103_22
; %bb.4:
	s_not_b32 s1, s6
	s_load_dwordx4 s[28:31], s[4:5], 0x48
	s_add_i32 s2, s2, s1
	s_sub_i32 s1, 0, s3
	s_mul_i32 s1, s1, s0
	s_mul_hi_u32 s1, s0, s1
	s_add_i32 s0, s0, s1
	s_mul_hi_u32 s12, s2, s0
	s_waitcnt lgkmcnt(0)
	s_mul_i32 s0, s8, s31
	s_mul_hi_u32 s1, s8, s30
	s_add_i32 s1, s1, s0
	s_mul_i32 s0, s8, s30
	s_lshl_b64 s[0:1], s[0:1], 3
	s_add_u32 s9, s24, s0
	s_addc_u32 s10, s25, s1
	s_lshl_b64 s[0:1], s[26:27], 3
	s_add_u32 s9, s9, s0
	s_addc_u32 s10, s10, s1
	s_lshl_b32 s25, s6, 5
	s_ashr_i32 s26, s25, 31
	s_mul_i32 s0, s25, s29
	s_mul_hi_u32 s1, s25, s28
	s_add_i32 s0, s1, s0
	s_mul_i32 s1, s26, s28
	s_add_i32 s1, s0, s1
	s_mul_i32 s0, s25, s28
	s_lshl_b64 s[0:1], s[0:1], 3
	v_and_b32_e32 v66, 0x3ff, v0
	v_bfe_u32 v0, v0, 10, 10
	s_add_u32 s6, s9, s0
	s_addc_u32 s9, s10, s1
	v_cmp_eq_u32_e32 vcc, 0, v0
	s_and_saveexec_b64 s[10:11], vcc
	s_cbranch_execz .LBB103_6
; %bb.5:
	v_mad_u64_u32 v[2:3], s[0:1], v66, s28, 0
	v_mov_b32_e32 v4, v3
	v_mad_u64_u32 v[4:5], s[0:1], v66, s29, v[4:5]
	v_mov_b32_e32 v3, v4
	v_lshlrev_b64 v[2:3], 3, v[2:3]
	v_mov_b32_e32 v1, s9
	v_add_co_u32_e64 v2, s[0:1], s6, v2
	v_addc_co_u32_e64 v3, s[0:1], v1, v3, s[0:1]
	global_load_dwordx2 v[2:3], v[2:3], off
	v_lshlrev_b32_e32 v1, 3, v66
	s_waitcnt vmcnt(0)
	ds_write_b64 v1, v[2:3] offset:6144
.LBB103_6:
	s_or_b64 exec, exec, s[10:11]
	s_mul_i32 s0, s12, s3
	s_sub_i32 s0, s2, s0
	s_add_i32 s1, s12, 1
	s_sub_i32 s10, s0, s3
	s_cmp_ge_u32 s0, s3
	s_cselect_b32 s1, s1, s12
	s_cselect_b32 s0, s10, s0
	s_add_i32 s10, s1, 1
	s_cmp_ge_u32 s0, s3
	s_cselect_b32 s0, s10, s1
	s_add_i32 s1, s3, -1
	s_cmp_lg_u32 s7, s1
	s_mov_b32 s24, s0
	s_cbranch_scc1 .LBB103_8
; %bb.7:
	s_mul_i32 s1, s0, s3
	s_sub_i32 s1, s2, s1
	s_add_i32 s24, s1, s0
.LBB103_8:
	s_cmp_eq_u32 s24, 0
	s_cbranch_scc1 .LBB103_22
; %bb.9:
	s_load_dwordx2 s[2:3], s[4:5], 0x70
	s_load_dwordx2 s[10:11], s[4:5], 0x58
	s_load_dwordx4 s[12:15], s[4:5], 0x60
	v_lshl_add_u32 v0, v0, 5, v66
	v_pk_mov_b32 v[16:17], 0, 0
	s_waitcnt lgkmcnt(0)
	s_mul_i32 s1, s8, s3
	s_mul_hi_u32 s3, s8, s2
	s_mul_i32 s2, s8, s2
	s_add_i32 s3, s3, s1
	s_lshl_b64 s[2:3], s[2:3], 3
	s_add_u32 s1, s10, s2
	s_addc_u32 s4, s11, s3
	s_lshl_b64 s[2:3], s[12:13], 3
	s_add_u32 s1, s1, s2
	s_addc_u32 s4, s4, s3
	s_mul_i32 s2, s25, s15
	s_mul_hi_u32 s3, s25, s14
	s_add_i32 s2, s3, s2
	s_mul_i32 s3, s26, s14
	s_add_i32 s3, s2, s3
	s_mul_i32 s2, s25, s14
	s_lshl_b64 s[2:3], s[2:3], 3
	s_add_u32 s12, s1, s2
	s_addc_u32 s13, s4, s3
	v_and_b32_e32 v10, 15, v66
	v_lshrrev_b32_e32 v67, 4, v0
	s_cmp_lt_i32 s24, 1
	v_pk_mov_b32 v[20:21], v[16:17], v[16:17] op_sel:[0,1]
	v_pk_mov_b32 v[22:23], v[16:17], v[16:17] op_sel:[0,1]
	v_pk_mov_b32 v[14:15], v[16:17], v[16:17] op_sel:[0,1]
	s_barrier
	s_cbranch_scc1 .LBB103_19
; %bb.10:
	v_lshlrev_b32_e32 v3, 2, v67
	v_mov_b32_e32 v11, 0
	v_mad_u64_u32 v[0:1], s[2:3], v3, s20, v[10:11]
	v_mov_b32_e32 v2, v1
	s_mul_i32 s7, s7, s0
	v_mad_u64_u32 v[2:3], s[2:3], v3, s21, v[2:3]
	s_lshl_b32 s0, s7, 5
	s_ashr_i32 s1, s0, 31
	s_mul_i32 s2, s0, s15
	s_mul_hi_u32 s3, s0, s14
	s_add_i32 s2, s3, s2
	s_mul_i32 s3, s1, s14
	s_add_i32 s3, s2, s3
	s_mul_i32 s2, s0, s14
	s_lshl_b64 s[10:11], s[28:29], 8
	s_lshl_b64 s[2:3], s[2:3], 3
	s_add_u32 s2, s12, s2
	s_mul_i32 s4, s8, s23
	s_mul_hi_u32 s5, s8, s22
	s_addc_u32 s3, s13, s3
	s_add_i32 s5, s5, s4
	s_mul_i32 s4, s8, s22
	s_lshl_b64 s[4:5], s[4:5], 3
	s_add_u32 s7, s16, s4
	s_addc_u32 s8, s17, s5
	s_lshl_b64 s[4:5], s[18:19], 3
	s_add_u32 s7, s7, s4
	s_addc_u32 s8, s8, s5
	s_add_u32 s4, s20, 1
	s_addc_u32 s5, s21, 0
	s_mul_i32 s16, s4, s26
	s_mul_hi_u32 s17, s4, s25
	s_add_i32 s16, s17, s16
	s_mul_i32 s5, s5, s25
	s_add_i32 s5, s16, s5
	s_mul_i32 s4, s4, s25
	s_lshl_b64 s[4:5], s[4:5], 3
	s_add_u32 s7, s7, s4
	s_addc_u32 s8, s8, s5
	s_lshl_b64 s[4:5], s[0:1], 3
	s_add_u32 s4, s7, s4
	s_addc_u32 s5, s8, s5
	s_mul_i32 s7, s0, s29
	s_mul_hi_u32 s8, s0, s28
	s_add_i32 s7, s8, s7
	s_mul_i32 s1, s1, s28
	s_add_i32 s1, s7, s1
	s_mul_i32 s0, s0, s28
	s_lshl_b64 s[0:1], s[0:1], 3
	v_mov_b32_e32 v1, v2
	s_add_u32 s16, s6, s0
	s_addc_u32 s17, s9, s1
	v_lshlrev_b64 v[12:13], 3, v[0:1]
	s_add_u32 s18, s4, 0x100
	v_mov_b32_e32 v1, s5
	v_add_co_u32_e64 v0, s[0:1], s4, v12
	s_addc_u32 s19, s5, 0
	v_addc_co_u32_e64 v1, s[0:1], v1, v13, s[0:1]
	s_lshl_b64 s[6:7], s[20:21], 3
	global_load_dwordx2 v[18:19], v[0:1], off offset:256
	v_mov_b32_e32 v11, s7
	v_add_co_u32_e64 v0, s[0:1], s6, v0
	v_addc_co_u32_e64 v1, s[0:1], v1, v11, s[0:1]
	global_load_dwordx2 v[24:25], v[0:1], off offset:256
	v_add_co_u32_e64 v0, s[0:1], s6, v0
	v_addc_co_u32_e64 v1, s[0:1], v1, v11, s[0:1]
	global_load_dwordx2 v[26:27], v[0:1], off offset:256
	;; [unrolled: 3-line block ×3, first 2 shown]
	v_mad_u64_u32 v[0:1], s[0:1], v10, s28, 0
	v_mov_b32_e32 v2, v1
	v_mad_u64_u32 v[2:3], s[0:1], v10, s29, v[2:3]
	v_or_b32_e32 v5, 16, v10
	v_mov_b32_e32 v1, v2
	v_mad_u64_u32 v[2:3], s[0:1], v5, s28, 0
	v_mov_b32_e32 v4, v3
	v_mad_u64_u32 v[4:5], s[0:1], v5, s29, v[4:5]
	v_lshlrev_b32_e32 v14, 5, v67
	v_mov_b32_e32 v3, v4
	v_or_b32_e32 v4, v14, v10
	v_mov_b32_e32 v15, 0x1000
	v_lshl_add_u32 v68, v4, 3, v15
	v_mad_u64_u32 v[4:5], s[0:1], v66, s14, 0
	v_mov_b32_e32 v6, v5
	v_mad_u64_u32 v[6:7], s[0:1], v66, s15, v[6:7]
	v_mov_b32_e32 v5, v6
	v_add_u32_e32 v69, 0x1800, v14
	v_lshl_add_u32 v70, v66, 3, v15
	v_pk_mov_b32 v[14:15], 0, 0
	s_add_i32 s20, s24, -1
	s_lshl_b64 s[8:9], s[14:15], 8
	s_mov_b32 s21, 0
	v_pk_mov_b32 v[28:29], s[2:3], s[2:3] op_sel:[0,1]
	v_lshlrev_b64 v[30:31], 3, v[0:1]
	v_lshlrev_b64 v[32:33], 3, v[2:3]
	;; [unrolled: 1-line block ×3, first 2 shown]
	v_pk_mov_b32 v[22:23], v[14:15], v[14:15] op_sel:[0,1]
	v_pk_mov_b32 v[20:21], v[14:15], v[14:15] op_sel:[0,1]
	;; [unrolled: 1-line block ×3, first 2 shown]
	s_waitcnt vmcnt(3)
	v_pk_mov_b32 v[38:39], v[18:19], v[18:19] op_sel:[0,1]
	s_waitcnt vmcnt(2)
	v_pk_mov_b32 v[40:41], v[24:25], v[24:25] op_sel:[0,1]
	;; [unrolled: 2-line block ×4, first 2 shown]
.LBB103_11:                             ; =>This Loop Header: Depth=1
                                        ;     Child Loop BB103_15 Depth 2
	s_add_u32 s16, s16, s10
	s_addc_u32 s17, s17, s11
	v_mov_b32_e32 v1, s17
	v_add_co_u32_e64 v0, s[0:1], s16, v30
	v_addc_co_u32_e64 v1, s[0:1], v1, v31, s[0:1]
	v_mov_b32_e32 v3, s17
	v_add_co_u32_e64 v2, s[0:1], s16, v32
	v_addc_co_u32_e64 v3, s[0:1], v3, v33, s[0:1]
	global_load_dwordx2 v[48:49], v[0:1], off
	global_load_dwordx2 v[46:47], v[2:3], off
	v_mov_b32_e32 v0, s19
	v_add_co_u32_e64 v58, s[0:1], s18, v12
	v_addc_co_u32_e64 v59, s[0:1], v0, v13, s[0:1]
	v_add_co_u32_e64 v60, s[0:1], s6, v58
	v_addc_co_u32_e64 v61, s[0:1], v59, v11, s[0:1]
	;; [unrolled: 2-line block ×3, first 2 shown]
	v_add_co_u32_e64 v64, s[2:3], s6, v62
	global_load_dwordx2 v[50:51], v[58:59], off offset:128
	global_load_dwordx2 v[52:53], v[60:61], off offset:128
	v_addc_co_u32_e64 v65, s[4:5], v63, v11, s[2:3]
	global_load_dwordx2 v[54:55], v[62:63], off offset:128
	global_load_dwordx2 v[56:57], v[64:65], off offset:128
	ds_read_b128 v[4:7], v69
	ds_read_b128 v[0:3], v69 offset:16
	s_cmp_eq_u32 s21, s20
	s_cbranch_scc1 .LBB103_13
; %bb.12:                               ;   in Loop: Header=BB103_11 Depth=1
	v_mov_b32_e32 v38, s7
	v_addc_co_u32_e64 v63, s[0:1], v61, v38, s[0:1]
	v_addc_co_u32_e64 v65, s[0:1], v63, v38, s[2:3]
	global_load_dwordx2 v[38:39], v[58:59], off offset:256
	global_load_dwordx2 v[40:41], v[60:61], off offset:256
	;; [unrolled: 1-line block ×4, first 2 shown]
.LBB103_13:                             ;   in Loop: Header=BB103_11 Depth=1
	s_waitcnt lgkmcnt(1)
	v_fma_f64 v[58:59], v[18:19], v[4:5], 0
	s_waitcnt vmcnt(3)
	v_fma_f64 v[4:5], v[50:51], v[4:5], 0
	v_fmac_f64_e32 v[58:59], v[24:25], v[6:7]
	s_waitcnt vmcnt(2)
	v_fmac_f64_e32 v[4:5], v[52:53], v[6:7]
	s_waitcnt lgkmcnt(0)
	v_fmac_f64_e32 v[58:59], v[26:27], v[0:1]
	s_waitcnt vmcnt(1)
	v_fmac_f64_e32 v[4:5], v[54:55], v[0:1]
	v_fmac_f64_e32 v[58:59], v[36:37], v[2:3]
	s_waitcnt vmcnt(0)
	v_fmac_f64_e32 v[4:5], v[56:57], v[2:3]
	s_barrier
	ds_write2_b64 v68, v[58:59], v[4:5] offset1:16
	s_waitcnt lgkmcnt(0)
	s_barrier
	s_and_saveexec_b64 s[2:3], vcc
	s_cbranch_execz .LBB103_17
; %bb.14:                               ;   in Loop: Header=BB103_11 Depth=1
	v_mov_b32_e32 v0, s9
	v_add_co_u32_e64 v28, s[0:1], s8, v28
	v_addc_co_u32_e64 v29, s[0:1], v29, v0, s[0:1]
	v_add_co_u32_e64 v4, s[0:1], v28, v34
	v_addc_co_u32_e64 v5, s[0:1], v29, v35, s[0:1]
	global_load_dwordx2 v[2:3], v[4:5], off
	ds_read2_b64 v[58:61], v70 offset1:32
	ds_read2_b64 v[62:65], v70 offset0:64 offset1:96
	ds_read2_b64 v[72:75], v70 offset0:128 offset1:160
	s_mov_b64 s[4:5], 0
	s_waitcnt lgkmcnt(2)
	v_add_f64 v[0:1], v[58:59], 0
	v_add_f64 v[0:1], v[0:1], v[60:61]
	ds_read2_b64 v[58:61], v70 offset0:192 offset1:224
	s_waitcnt lgkmcnt(2)
	v_add_f64 v[0:1], v[0:1], v[62:63]
	v_add_f64 v[0:1], v[0:1], v[64:65]
	s_waitcnt lgkmcnt(1)
	v_add_f64 v[0:1], v[0:1], v[72:73]
	v_add_f64 v[0:1], v[0:1], v[74:75]
	;; [unrolled: 3-line block ×3, first 2 shown]
	v_mul_f64 v[6:7], v[8:9], v[0:1]
.LBB103_15:                             ;   Parent Loop BB103_11 Depth=1
                                        ; =>  This Inner Loop Header: Depth=2
	s_waitcnt vmcnt(0)
	v_add_f64 v[0:1], v[2:3], v[6:7]
	global_atomic_cmpswap_x2 v[0:1], v[4:5], v[0:3], off glc
	s_waitcnt vmcnt(0)
	v_cmp_eq_u64_e64 s[0:1], v[0:1], v[2:3]
	s_or_b64 s[4:5], s[0:1], s[4:5]
	v_pk_mov_b32 v[2:3], v[0:1], v[0:1] op_sel:[0,1]
	s_andn2_b64 exec, exec, s[4:5]
	s_cbranch_execnz .LBB103_15
; %bb.16:                               ;   in Loop: Header=BB103_11 Depth=1
	s_or_b64 exec, exec, s[4:5]
.LBB103_17:                             ;   in Loop: Header=BB103_11 Depth=1
	s_or_b64 exec, exec, s[2:3]
	s_add_u32 s18, s18, 0x100
	v_fmac_f64_e32 v[14:15], v[48:49], v[18:19]
	v_fmac_f64_e32 v[22:23], v[48:49], v[24:25]
	;; [unrolled: 1-line block ×4, first 2 shown]
	s_addc_u32 s19, s19, 0
	s_add_i32 s21, s21, 1
	v_fmac_f64_e32 v[14:15], v[46:47], v[50:51]
	v_fmac_f64_e32 v[22:23], v[46:47], v[52:53]
	v_fmac_f64_e32 v[20:21], v[46:47], v[54:55]
	v_fmac_f64_e32 v[16:17], v[46:47], v[56:57]
	s_cmp_eq_u32 s21, s24
	s_cbranch_scc1 .LBB103_19
; %bb.18:                               ;   in Loop: Header=BB103_11 Depth=1
	v_pk_mov_b32 v[18:19], v[38:39], v[38:39] op_sel:[0,1]
	v_pk_mov_b32 v[24:25], v[40:41], v[40:41] op_sel:[0,1]
	;; [unrolled: 1-line block ×4, first 2 shown]
	s_branch .LBB103_11
.LBB103_19:
	v_lshlrev_b32_e32 v0, 3, v10
	v_lshl_or_b32 v0, v67, 9, v0
	ds_write2_b64 v0, v[14:15], v[22:23] offset1:16
	ds_write2_b64 v0, v[20:21], v[16:17] offset0:32 offset1:48
	s_waitcnt lgkmcnt(0)
	s_barrier
	s_and_b64 exec, exec, vcc
	s_cbranch_execz .LBB103_22
; %bb.20:
	v_mad_u64_u32 v[0:1], s[0:1], v66, s14, 0
	v_mov_b32_e32 v2, v1
	v_mad_u64_u32 v[2:3], s[0:1], v66, s15, v[2:3]
	v_mov_b32_e32 v1, v2
	v_lshlrev_b64 v[0:1], 3, v[0:1]
	v_mov_b32_e32 v2, s13
	v_add_co_u32_e32 v4, vcc, s12, v0
	v_addc_co_u32_e32 v5, vcc, v2, v1, vcc
	global_load_dwordx2 v[2:3], v[4:5], off
	v_lshlrev_b32_e32 v18, 4, v66
	v_add_u32_e32 v1, 1, v66
	v_and_or_b32 v1, v1, 15, v18
	v_lshlrev_b32_e32 v6, 3, v1
	v_add_u32_e32 v1, 2, v66
	v_or_b32_e32 v19, v10, v18
	v_and_or_b32 v1, v1, 15, v18
	v_lshlrev_b32_e32 v0, 3, v19
	v_lshlrev_b32_e32 v10, 3, v1
	v_add_u32_e32 v1, 3, v66
	v_and_or_b32 v12, v1, 15, v18
	ds_read_b64 v[0:1], v0
	ds_read_b64 v[6:7], v6
	;; [unrolled: 1-line block ×3, first 2 shown]
	v_lshlrev_b32_e32 v12, 3, v12
	ds_read_b64 v[12:13], v12
	s_waitcnt lgkmcnt(3)
	v_add_f64 v[0:1], v[0:1], 0
	s_waitcnt lgkmcnt(2)
	v_add_f64 v[0:1], v[0:1], v[6:7]
	v_add_u32_e32 v7, 5, v66
	v_and_or_b32 v7, v7, 15, v18
	s_waitcnt lgkmcnt(1)
	v_add_f64 v[0:1], v[0:1], v[10:11]
	v_lshlrev_b32_e32 v10, 3, v7
	v_add_u32_e32 v7, 6, v66
	v_and_or_b32 v7, v7, 15, v18
	v_add_u32_e32 v6, 4, v66
	v_lshlrev_b32_e32 v14, 3, v7
	v_add_u32_e32 v7, 7, v66
	v_and_or_b32 v6, v6, 15, v18
	v_and_or_b32 v7, v7, 15, v18
	v_lshlrev_b32_e32 v6, 3, v6
	v_lshlrev_b32_e32 v16, 3, v7
	ds_read_b64 v[6:7], v6
	ds_read_b64 v[10:11], v10
	;; [unrolled: 1-line block ×4, first 2 shown]
	s_waitcnt lgkmcnt(4)
	v_add_f64 v[0:1], v[0:1], v[12:13]
	s_waitcnt lgkmcnt(3)
	v_add_f64 v[0:1], v[0:1], v[6:7]
	v_add_u32_e32 v7, 9, v66
	v_and_or_b32 v7, v7, 15, v18
	s_waitcnt lgkmcnt(2)
	v_add_f64 v[0:1], v[0:1], v[10:11]
	v_lshlrev_b32_e32 v10, 3, v7
	v_add_u32_e32 v7, 10, v66
	v_xor_b32_e32 v6, 8, v19
	v_and_or_b32 v7, v7, 15, v18
	v_lshlrev_b32_e32 v6, 3, v6
	v_lshlrev_b32_e32 v12, 3, v7
	v_add_u32_e32 v7, 11, v66
	s_waitcnt lgkmcnt(1)
	v_add_f64 v[0:1], v[0:1], v[14:15]
	v_and_or_b32 v14, v7, 15, v18
	ds_read_b64 v[6:7], v6
	ds_read_b64 v[10:11], v10
	;; [unrolled: 1-line block ×3, first 2 shown]
	s_waitcnt lgkmcnt(3)
	v_add_f64 v[0:1], v[0:1], v[16:17]
	v_lshlrev_b32_e32 v14, 3, v14
	s_waitcnt lgkmcnt(2)
	v_add_f64 v[0:1], v[0:1], v[6:7]
	v_add_u32_e32 v7, 13, v66
	v_and_or_b32 v7, v7, 15, v18
	s_waitcnt lgkmcnt(1)
	v_add_f64 v[0:1], v[0:1], v[10:11]
	v_lshlrev_b32_e32 v10, 3, v7
	v_add_u32_e32 v7, 14, v66
	ds_read_b64 v[14:15], v14
	v_and_or_b32 v7, v7, 15, v18
	s_waitcnt lgkmcnt(1)
	v_add_f64 v[0:1], v[0:1], v[12:13]
	v_add_u32_e32 v6, 12, v66
	v_lshlrev_b32_e32 v12, 3, v7
	v_add_u32_e32 v7, -1, v66
	v_and_or_b32 v6, v6, 15, v18
	v_and_or_b32 v7, v7, 15, v18
	v_lshlrev_b32_e32 v6, 3, v6
	v_lshlrev_b32_e32 v16, 3, v7
	ds_read_b64 v[6:7], v6
	ds_read_b64 v[10:11], v10
	;; [unrolled: 1-line block ×4, first 2 shown]
	s_waitcnt lgkmcnt(4)
	v_add_f64 v[0:1], v[0:1], v[14:15]
	s_waitcnt lgkmcnt(3)
	v_add_f64 v[0:1], v[0:1], v[6:7]
	;; [unrolled: 2-line block ×5, first 2 shown]
	s_mov_b64 s[0:1], 0
	v_mul_f64 v[6:7], v[8:9], v[0:1]
.LBB103_21:                             ; =>This Inner Loop Header: Depth=1
	s_waitcnt vmcnt(0)
	v_add_f64 v[0:1], v[2:3], v[6:7]
	global_atomic_cmpswap_x2 v[0:1], v[4:5], v[0:3], off glc
	s_waitcnt vmcnt(0)
	v_cmp_eq_u64_e32 vcc, v[0:1], v[2:3]
	s_or_b64 s[0:1], vcc, s[0:1]
	v_pk_mov_b32 v[2:3], v[0:1], v[0:1] op_sel:[0,1]
	s_andn2_b64 exec, exec, s[0:1]
	s_cbranch_execnz .LBB103_21
.LBB103_22:
	s_endpgm
	.section	.rodata,"a",@progbits
	.p2align	6, 0x0
	.amdhsa_kernel _ZL54rocblas_symv_kernel_lower_double_buffered_non_diagonalILi32ELi4ELi4E24rocblas_internal_val_ptrIdEPKdPdEvbiT2_lT3_lllS6_lllT4_llli
		.amdhsa_group_segment_fixed_size 6400
		.amdhsa_private_segment_fixed_size 0
		.amdhsa_kernarg_size 384
		.amdhsa_user_sgpr_count 6
		.amdhsa_user_sgpr_private_segment_buffer 1
		.amdhsa_user_sgpr_dispatch_ptr 0
		.amdhsa_user_sgpr_queue_ptr 0
		.amdhsa_user_sgpr_kernarg_segment_ptr 1
		.amdhsa_user_sgpr_dispatch_id 0
		.amdhsa_user_sgpr_flat_scratch_init 0
		.amdhsa_user_sgpr_kernarg_preload_length 0
		.amdhsa_user_sgpr_kernarg_preload_offset 0
		.amdhsa_user_sgpr_private_segment_size 0
		.amdhsa_uses_dynamic_stack 0
		.amdhsa_system_sgpr_private_segment_wavefront_offset 0
		.amdhsa_system_sgpr_workgroup_id_x 1
		.amdhsa_system_sgpr_workgroup_id_y 1
		.amdhsa_system_sgpr_workgroup_id_z 1
		.amdhsa_system_sgpr_workgroup_info 0
		.amdhsa_system_vgpr_workitem_id 1
		.amdhsa_next_free_vgpr 76
		.amdhsa_next_free_sgpr 32
		.amdhsa_accum_offset 76
		.amdhsa_reserve_vcc 1
		.amdhsa_reserve_flat_scratch 0
		.amdhsa_float_round_mode_32 0
		.amdhsa_float_round_mode_16_64 0
		.amdhsa_float_denorm_mode_32 3
		.amdhsa_float_denorm_mode_16_64 3
		.amdhsa_dx10_clamp 1
		.amdhsa_ieee_mode 1
		.amdhsa_fp16_overflow 0
		.amdhsa_tg_split 0
		.amdhsa_exception_fp_ieee_invalid_op 0
		.amdhsa_exception_fp_denorm_src 0
		.amdhsa_exception_fp_ieee_div_zero 0
		.amdhsa_exception_fp_ieee_overflow 0
		.amdhsa_exception_fp_ieee_underflow 0
		.amdhsa_exception_fp_ieee_inexact 0
		.amdhsa_exception_int_div_zero 0
	.end_amdhsa_kernel
	.section	.text._ZL54rocblas_symv_kernel_lower_double_buffered_non_diagonalILi32ELi4ELi4E24rocblas_internal_val_ptrIdEPKdPdEvbiT2_lT3_lllS6_lllT4_llli,"axG",@progbits,_ZL54rocblas_symv_kernel_lower_double_buffered_non_diagonalILi32ELi4ELi4E24rocblas_internal_val_ptrIdEPKdPdEvbiT2_lT3_lllS6_lllT4_llli,comdat
.Lfunc_end103:
	.size	_ZL54rocblas_symv_kernel_lower_double_buffered_non_diagonalILi32ELi4ELi4E24rocblas_internal_val_ptrIdEPKdPdEvbiT2_lT3_lllS6_lllT4_llli, .Lfunc_end103-_ZL54rocblas_symv_kernel_lower_double_buffered_non_diagonalILi32ELi4ELi4E24rocblas_internal_val_ptrIdEPKdPdEvbiT2_lT3_lllS6_lllT4_llli
                                        ; -- End function
	.section	.AMDGPU.csdata,"",@progbits
; Kernel info:
; codeLenInByte = 2584
; NumSgprs: 36
; NumVgprs: 76
; NumAgprs: 0
; TotalNumVgprs: 76
; ScratchSize: 0
; MemoryBound: 0
; FloatMode: 240
; IeeeMode: 1
; LDSByteSize: 6400 bytes/workgroup (compile time only)
; SGPRBlocks: 4
; VGPRBlocks: 9
; NumSGPRsForWavesPerEU: 36
; NumVGPRsForWavesPerEU: 76
; AccumOffset: 76
; Occupancy: 5
; WaveLimiterHint : 0
; COMPUTE_PGM_RSRC2:SCRATCH_EN: 0
; COMPUTE_PGM_RSRC2:USER_SGPR: 6
; COMPUTE_PGM_RSRC2:TRAP_HANDLER: 0
; COMPUTE_PGM_RSRC2:TGID_X_EN: 1
; COMPUTE_PGM_RSRC2:TGID_Y_EN: 1
; COMPUTE_PGM_RSRC2:TGID_Z_EN: 1
; COMPUTE_PGM_RSRC2:TIDIG_COMP_CNT: 1
; COMPUTE_PGM_RSRC3_GFX90A:ACCUM_OFFSET: 18
; COMPUTE_PGM_RSRC3_GFX90A:TG_SPLIT: 0
	.section	.text._ZL58rocblas_symv_kernel_lower_double_buffered_diagonal_genericILi32ELi4E24rocblas_internal_val_ptrIdEPKdPdEvbiT1_lT2_lllS6_lllS5_lT3_lllii,"axG",@progbits,_ZL58rocblas_symv_kernel_lower_double_buffered_diagonal_genericILi32ELi4E24rocblas_internal_val_ptrIdEPKdPdEvbiT1_lT2_lllS6_lllS5_lT3_lllii,comdat
	.globl	_ZL58rocblas_symv_kernel_lower_double_buffered_diagonal_genericILi32ELi4E24rocblas_internal_val_ptrIdEPKdPdEvbiT1_lT2_lllS6_lllS5_lT3_lllii ; -- Begin function _ZL58rocblas_symv_kernel_lower_double_buffered_diagonal_genericILi32ELi4E24rocblas_internal_val_ptrIdEPKdPdEvbiT1_lT2_lllS6_lllS5_lT3_lllii
	.p2align	8
	.type	_ZL58rocblas_symv_kernel_lower_double_buffered_diagonal_genericILi32ELi4E24rocblas_internal_val_ptrIdEPKdPdEvbiT1_lT2_lllS6_lllS5_lT3_lllii,@function
_ZL58rocblas_symv_kernel_lower_double_buffered_diagonal_genericILi32ELi4E24rocblas_internal_val_ptrIdEPKdPdEvbiT1_lT2_lllS6_lllS5_lT3_lllii: ; @_ZL58rocblas_symv_kernel_lower_double_buffered_diagonal_genericILi32ELi4E24rocblas_internal_val_ptrIdEPKdPdEvbiT1_lT2_lllS6_lllS5_lT3_lllii
; %bb.0:
	s_load_dword s0, s[4:5], 0x0
	s_load_dwordx16 s[8:23], s[4:5], 0x8
	s_load_dwordx8 s[24:31], s[4:5], 0x48
	s_waitcnt lgkmcnt(0)
	s_bitcmp1_b32 s0, 0
	s_cselect_b64 s[2:3], -1, 0
	s_xor_b64 s[0:1], s[2:3], -1
	s_and_b64 vcc, exec, s[2:3]
	v_pk_mov_b32 v[4:5], s[8:9], s[8:9] op_sel:[0,1]
	s_cbranch_vccnz .LBB104_2
; %bb.1:
	s_mul_i32 s2, s7, s11
	s_mul_hi_u32 s3, s7, s10
	s_add_i32 s3, s3, s2
	s_mul_i32 s2, s7, s10
	s_lshl_b64 s[2:3], s[2:3], 3
	s_add_u32 s2, s8, s2
	s_addc_u32 s3, s9, s3
	v_pk_mov_b32 v[2:3], s[2:3], s[2:3] op_sel:[0,1]
	flat_load_dwordx2 v[4:5], v[2:3]
.LBB104_2:
	s_andn2_b64 vcc, exec, s[0:1]
	v_pk_mov_b32 v[2:3], s[28:29], s[28:29] op_sel:[0,1]
	s_cbranch_vccnz .LBB104_4
; %bb.3:
	s_mul_i32 s0, s7, s31
	s_mul_hi_u32 s1, s7, s30
	s_add_i32 s1, s1, s0
	s_mul_i32 s0, s7, s30
	s_lshl_b64 s[0:1], s[0:1], 3
	s_add_u32 s0, s28, s0
	s_addc_u32 s1, s29, s1
	v_pk_mov_b32 v[2:3], s[0:1], s[0:1] op_sel:[0,1]
	flat_load_dwordx2 v[2:3], v[2:3]
.LBB104_4:
	s_waitcnt vmcnt(0) lgkmcnt(0)
	v_cmp_neq_f64_e32 vcc, 0, v[4:5]
	v_cmp_neq_f64_e64 s[0:1], 1.0, v[2:3]
	s_or_b64 s[0:1], vcc, s[0:1]
	s_and_saveexec_b64 s[2:3], s[0:1]
	s_cbranch_execz .LBB104_68
; %bb.5:
	s_load_dwordx2 s[8:9], s[4:5], 0x80
	s_load_dwordx2 s[10:11], s[4:5], 0x68
	s_load_dwordx4 s[0:3], s[4:5], 0x70
	s_load_dword s30, s[4:5], 0x88
	v_and_b32_e32 v18, 0x3ff, v0
	s_waitcnt lgkmcnt(0)
	s_mul_i32 s9, s7, s9
	s_mul_hi_u32 s28, s7, s8
	s_add_i32 s9, s28, s9
	s_mul_i32 s8, s7, s8
	s_lshl_b64 s[8:9], s[8:9], 3
	s_add_u32 s8, s10, s8
	s_addc_u32 s9, s11, s9
	s_lshl_b64 s[0:1], s[0:1], 3
	s_add_u32 s8, s8, s0
	s_addc_u32 s9, s9, s1
	s_lshl_b32 s34, s6, 5
	s_ashr_i32 s35, s34, 31
	s_mul_i32 s0, s34, s3
	s_mul_hi_u32 s1, s34, s2
	s_add_i32 s0, s1, s0
	s_mul_i32 s1, s35, s2
	s_add_i32 s1, s0, s1
	s_mul_i32 s0, s34, s2
	s_lshl_b64 s[0:1], s[0:1], 3
	s_add_u32 s31, s8, s0
	v_bfe_u32 v19, v0, 10, 10
	s_addc_u32 s33, s9, s1
	v_cmp_eq_f64_e32 vcc, 0, v[4:5]
	s_and_saveexec_b64 s[0:1], vcc
	s_xor_b64 s[0:1], exec, s[0:1]
	s_cbranch_execz .LBB104_12
; %bb.6:
	v_cmp_eq_u32_e32 vcc, 0, v19
	s_and_saveexec_b64 s[8:9], vcc
	s_cbranch_execz .LBB104_11
; %bb.7:
	v_cmp_gt_i32_e64 s[10:11], s30, v18
	v_cmp_le_i32_e32 vcc, s30, v18
	s_and_saveexec_b64 s[28:29], vcc
	s_cbranch_execz .LBB104_9
; %bb.8:
	s_load_dword s36, s[4:5], 0x90
	s_waitcnt lgkmcnt(0)
	s_add_i32 s36, s36, -1
	s_cmp_lt_u32 s6, s36
	s_cselect_b64 s[36:37], -1, 0
	s_andn2_b64 s[10:11], s[10:11], exec
	s_and_b64 s[36:37], s[36:37], exec
	s_or_b64 s[10:11], s[10:11], s[36:37]
.LBB104_9:
	s_or_b64 exec, exec, s[28:29]
	s_and_b64 exec, exec, s[10:11]
	s_cbranch_execz .LBB104_11
; %bb.10:
	v_mad_u64_u32 v[0:1], s[10:11], v18, s2, 0
	v_mov_b32_e32 v4, v1
	v_mad_u64_u32 v[4:5], s[10:11], v18, s3, v[4:5]
	v_mov_b32_e32 v1, v4
	v_lshlrev_b64 v[0:1], 3, v[0:1]
	v_mov_b32_e32 v4, s33
	v_add_co_u32_e32 v0, vcc, s31, v0
	v_addc_co_u32_e32 v1, vcc, v4, v1, vcc
	global_load_dwordx2 v[4:5], v[0:1], off
	s_waitcnt vmcnt(0)
	v_mul_f64 v[2:3], v[2:3], v[4:5]
	global_store_dwordx2 v[0:1], v[2:3], off
.LBB104_11:
	s_or_b64 exec, exec, s[8:9]
                                        ; implicit-def: $vgpr19
                                        ; implicit-def: $vgpr18
                                        ; implicit-def: $vgpr4_vgpr5
                                        ; implicit-def: $vgpr2_vgpr3
.LBB104_12:
	s_andn2_saveexec_b64 s[0:1], s[0:1]
	s_cbranch_execz .LBB104_68
; %bb.13:
	s_mul_i32 s0, s7, s27
	s_mul_hi_u32 s1, s7, s26
	s_add_i32 s1, s1, s0
	s_mul_i32 s0, s7, s26
	s_lshl_b64 s[0:1], s[0:1], 3
	s_add_u32 s8, s20, s0
	s_addc_u32 s9, s21, s1
	s_lshl_b64 s[0:1], s[22:23], 3
	s_add_u32 s8, s8, s0
	s_addc_u32 s9, s9, s1
	s_mul_i32 s0, s34, s25
	s_mul_hi_u32 s1, s34, s24
	s_load_dword s4, s[4:5], 0x90
	s_add_i32 s0, s1, s0
	s_mul_i32 s1, s35, s24
	s_add_i32 s1, s0, s1
	s_mul_i32 s0, s34, s24
	s_lshl_b64 s[0:1], s[0:1], 3
	s_add_u32 s22, s8, s0
	s_addc_u32 s23, s9, s1
	s_waitcnt lgkmcnt(0)
	s_add_i32 s4, s4, -1
	s_cmp_lg_u32 s6, s4
	s_cselect_b64 s[4:5], -1, 0
	v_cmp_eq_u32_e64 s[0:1], 0, v19
	s_and_b64 vcc, exec, s[4:5]
	s_cbranch_vccz .LBB104_19
; %bb.14:
	v_pk_mov_b32 v[0:1], 0, 0
	s_and_saveexec_b64 s[8:9], s[0:1]
	s_cbranch_execz .LBB104_18
; %bb.15:
	v_mad_u64_u32 v[0:1], s[10:11], v18, s24, 0
	v_mov_b32_e32 v6, v1
	v_mad_u64_u32 v[6:7], s[10:11], v18, s25, v[6:7]
	v_mov_b32_e32 v1, v6
	v_lshlrev_b64 v[0:1], 3, v[0:1]
	v_mov_b32_e32 v6, s23
	v_add_co_u32_e32 v0, vcc, s22, v0
	v_addc_co_u32_e32 v1, vcc, v6, v1, vcc
	global_load_dwordx2 v[0:1], v[0:1], off
	v_lshlrev_b32_e32 v6, 3, v18
	v_cmp_neq_f64_e32 vcc, 0, v[2:3]
	s_waitcnt vmcnt(0)
	ds_write_b64 v6, v[0:1] offset:10240
	v_pk_mov_b32 v[0:1], 0, 0
	s_and_saveexec_b64 s[10:11], vcc
	s_cbranch_execz .LBB104_17
; %bb.16:
	v_mad_u64_u32 v[0:1], s[20:21], v18, s2, 0
	v_mov_b32_e32 v6, v1
	v_mad_u64_u32 v[6:7], s[20:21], v18, s3, v[6:7]
	v_mov_b32_e32 v1, v6
	v_lshlrev_b64 v[0:1], 3, v[0:1]
	v_mov_b32_e32 v6, s33
	v_add_co_u32_e32 v0, vcc, s31, v0
	v_addc_co_u32_e32 v1, vcc, v6, v1, vcc
	global_load_dwordx2 v[0:1], v[0:1], off
	s_waitcnt vmcnt(0)
	v_mul_f64 v[0:1], v[2:3], v[0:1]
.LBB104_17:
	s_or_b64 exec, exec, s[10:11]
.LBB104_18:
	s_or_b64 exec, exec, s[8:9]
	s_cbranch_execz .LBB104_20
	s_branch .LBB104_29
.LBB104_19:
                                        ; implicit-def: $vgpr0_vgpr1
.LBB104_20:
	v_pk_mov_b32 v[0:1], 0, 0
	s_and_saveexec_b64 s[8:9], s[0:1]
	s_cbranch_execz .LBB104_28
; %bb.21:
	v_cmp_le_i32_e32 vcc, s30, v18
                                        ; implicit-def: $sgpr20_sgpr21
	s_and_saveexec_b64 s[10:11], vcc
	s_xor_b64 s[10:11], exec, s[10:11]
	s_cbranch_execz .LBB104_23
; %bb.22:
	v_mov_b32_e32 v0, 0
	v_lshlrev_b32_e32 v6, 3, v18
	v_mov_b32_e32 v1, v0
	ds_write_b64 v6, v[0:1] offset:10240
	s_mov_b64 s[20:21], 0
.LBB104_23:
	s_or_saveexec_b64 s[10:11], s[10:11]
	v_pk_mov_b32 v[0:1], s[20:21], s[20:21] op_sel:[0,1]
	s_xor_b64 exec, exec, s[10:11]
	s_cbranch_execz .LBB104_27
; %bb.24:
	v_mad_u64_u32 v[0:1], s[20:21], v18, s24, 0
	v_mov_b32_e32 v6, v1
	v_mad_u64_u32 v[6:7], s[20:21], v18, s25, v[6:7]
	v_mov_b32_e32 v1, v6
	v_lshlrev_b64 v[0:1], 3, v[0:1]
	v_mov_b32_e32 v6, s23
	v_add_co_u32_e32 v0, vcc, s22, v0
	v_addc_co_u32_e32 v1, vcc, v6, v1, vcc
	global_load_dwordx2 v[0:1], v[0:1], off
	v_lshlrev_b32_e32 v6, 3, v18
	v_cmp_neq_f64_e32 vcc, 0, v[2:3]
	s_waitcnt vmcnt(0)
	ds_write_b64 v6, v[0:1] offset:10240
	v_pk_mov_b32 v[0:1], 0, 0
	s_and_saveexec_b64 s[20:21], vcc
	s_cbranch_execz .LBB104_26
; %bb.25:
	v_mad_u64_u32 v[0:1], s[22:23], v18, s2, 0
	v_mov_b32_e32 v6, v1
	v_mad_u64_u32 v[6:7], s[22:23], v18, s3, v[6:7]
	v_mov_b32_e32 v1, v6
	v_lshlrev_b64 v[0:1], 3, v[0:1]
	v_mov_b32_e32 v6, s33
	v_add_co_u32_e32 v0, vcc, s31, v0
	v_addc_co_u32_e32 v1, vcc, v6, v1, vcc
	global_load_dwordx2 v[0:1], v[0:1], off
	s_waitcnt vmcnt(0)
	v_mul_f64 v[0:1], v[2:3], v[0:1]
.LBB104_26:
	s_or_b64 exec, exec, s[20:21]
.LBB104_27:
	s_or_b64 exec, exec, s[10:11]
.LBB104_28:
	s_or_b64 exec, exec, s[8:9]
.LBB104_29:
	s_mul_i32 s6, s7, s19
	s_mul_hi_u32 s8, s7, s18
	s_add_i32 s9, s8, s6
	s_mul_i32 s8, s7, s18
	s_lshl_b64 s[10:11], s[8:9], 3
	s_add_u32 s8, s12, s10
	s_addc_u32 s9, s13, s11
	s_lshl_b64 s[6:7], s[14:15], 3
	s_add_u32 s18, s8, s6
	s_addc_u32 s19, s9, s7
	s_add_u32 s8, s16, 1
	s_addc_u32 s9, s17, 0
	s_mul_i32 s14, s8, s35
	s_mul_hi_u32 s15, s8, s34
	s_add_i32 s14, s15, s14
	s_mul_i32 s9, s9, s34
	s_add_i32 s9, s14, s9
	s_mul_i32 s8, s8, s34
	s_lshl_b64 s[14:15], s[8:9], 3
	v_mad_u64_u32 v[6:7], s[8:9], v19, s16, 0
	v_mov_b32_e32 v8, v7
	v_mad_u64_u32 v[8:9], s[8:9], v19, s17, v[8:9]
	s_add_u32 s18, s18, s14
	v_mov_b32_e32 v7, v8
	s_addc_u32 s19, s19, s15
	v_lshlrev_b64 v[6:7], 3, v[6:7]
	v_mov_b32_e32 v8, s19
	v_add_co_u32_e32 v10, vcc, s18, v6
	v_addc_co_u32_e32 v7, vcc, v8, v7, vcc
	v_lshlrev_b32_e32 v6, 3, v18
	v_add_co_u32_e32 v8, vcc, v10, v6
	v_addc_co_u32_e32 v9, vcc, 0, v7, vcc
	v_lshl_add_u32 v21, v19, 5, v18
	s_andn2_b64 vcc, exec, s[4:5]
	v_lshlrev_b32_e32 v20, 3, v21
	s_cbranch_vccnz .LBB104_31
; %bb.30:
	s_lshl_b64 s[8:9], s[16:17], 5
	v_mov_b32_e32 v11, s9
	v_add_co_u32_e32 v12, vcc, s8, v8
	v_addc_co_u32_e32 v13, vcc, v9, v11, vcc
	global_load_dwordx2 v[14:15], v[8:9], off
	global_load_dwordx2 v[16:17], v[12:13], off
	v_add_co_u32_e32 v12, vcc, s8, v12
	v_addc_co_u32_e32 v13, vcc, v13, v11, vcc
	v_mov_b32_e32 v11, 0x60
	v_mad_u64_u32 v[24:25], s[8:9], s16, v11, v[8:9]
	s_mul_i32 s8, s17, 0x60
	v_add_u32_e32 v25, s8, v25
	s_lshl_b64 s[8:9], s[16:17], 6
	v_mov_b32_e32 v26, 0xa0
	v_mov_b32_e32 v11, s9
	v_mad_u64_u32 v[26:27], s[18:19], s16, v26, v[8:9]
	s_mul_i32 s9, s17, 0xa0
	v_mov_b32_e32 v28, 0xc0
	v_add_u32_e32 v27, s9, v27
	v_mad_u64_u32 v[28:29], s[18:19], s16, v28, v[8:9]
	s_mul_i32 s9, s17, 0xc0
	global_load_dwordx2 v[22:23], v[12:13], off
	v_add_u32_e32 v29, s9, v29
	global_load_dwordx2 v[30:31], v[24:25], off
	global_load_dwordx2 v[32:33], v[26:27], off
	;; [unrolled: 1-line block ×3, first 2 shown]
	v_add_co_u32_e32 v12, vcc, s8, v12
	v_addc_co_u32_e32 v13, vcc, v13, v11, vcc
	global_load_dwordx2 v[24:25], v[12:13], off
	v_mov_b32_e32 v12, 0xe0
	s_mul_i32 s20, s17, 0xe0
	v_mad_u64_u32 v[12:13], s[8:9], s16, v12, v[8:9]
	v_lshlrev_b32_e32 v26, 3, v21
	v_add_u32_e32 v11, 0x380, v21
	v_add_u32_e32 v13, s20, v13
	s_mov_b64 s[8:9], -1
	s_waitcnt vmcnt(5)
	ds_write2st64_b64 v26, v[14:15], v[16:17] offset1:2
	s_waitcnt vmcnt(1)
	ds_write_b64 v26, v[34:35] offset:6144
	ds_write2st64_b64 v26, v[22:23], v[30:31] offset0:4 offset1:6
	s_waitcnt vmcnt(0)
	ds_write2st64_b64 v26, v[24:25], v[32:33] offset0:8 offset1:10
	s_cbranch_execz .LBB104_32
	s_branch .LBB104_44
.LBB104_31:
	s_mov_b64 s[8:9], 0
                                        ; implicit-def: $vgpr12_vgpr13
                                        ; implicit-def: $vgpr11
.LBB104_32:
	s_mov_b32 s20, 0
	s_mov_b32 s21, s20
	v_pk_mov_b32 v[12:13], s[20:21], s[20:21] op_sel:[0,1]
	v_cmp_gt_i32_e32 vcc, s30, v18
	ds_write2st64_b64 v20, v[12:13], v[12:13] offset1:2
	ds_write2st64_b64 v20, v[12:13], v[12:13] offset0:4 offset1:6
	ds_write2st64_b64 v20, v[12:13], v[12:13] offset0:8 offset1:10
	;; [unrolled: 1-line block ×3, first 2 shown]
                                        ; implicit-def: $vgpr12_vgpr13
                                        ; implicit-def: $vgpr11
	s_and_saveexec_b64 s[18:19], vcc
	s_cbranch_execz .LBB104_43
; %bb.33:
	s_cmp_lt_u32 s30, 4
	s_cbranch_scc1 .LBB104_40
; %bb.34:
	s_lshr_b32 s20, s30, 2
	s_add_i32 s21, s20, -1
	s_cmp_lt_u32 s21, 3
	s_mov_b32 s21, 0
	s_cbranch_scc1 .LBB104_37
; %bb.35:
	s_and_b32 s21, s20, 0x3ffffffc
	s_add_u32 s22, s14, s10
	s_addc_u32 s23, s15, s11
	s_add_u32 s24, s12, s6
	s_addc_u32 s25, s13, s7
	s_add_u32 s22, s24, s22
	v_lshlrev_b32_e32 v24, 3, v19
	s_addc_u32 s23, s25, s23
	v_add_u32_e32 v11, 0x60, v24
	v_pk_mov_b32 v[16:17], s[22:23], s[22:23] op_sel:[0,1]
	v_mad_u64_u32 v[12:13], s[22:23], s16, v11, v[16:17]
	v_mov_b32_e32 v14, v13
	v_mad_u64_u32 v[14:15], s[22:23], s17, v11, v[14:15]
	v_add_u32_e32 v13, 64, v24
	v_mov_b32_e32 v11, v14
	v_mad_u64_u32 v[14:15], s[24:25], s16, v13, v[16:17]
	v_mov_b32_e32 v22, v15
	v_add_u32_e32 v15, 32, v24
	v_mad_u64_u32 v[22:23], s[24:25], s17, v13, v[22:23]
	v_mad_u64_u32 v[16:17], s[24:25], s16, v15, v[16:17]
	v_mov_b32_e32 v13, v22
	v_mov_b32_e32 v22, v17
	s_lshl_b64 s[22:23], s[16:17], 7
	v_mad_u64_u32 v[22:23], s[24:25], s17, v15, v[22:23]
	v_mov_b32_e32 v15, v22
	s_mov_b32 s24, 0
	v_mov_b32_e32 v17, s23
	v_mov_b32_e32 v22, v20
.LBB104_36:                             ; =>This Inner Loop Header: Depth=1
	v_add_co_u32_e32 v24, vcc, v10, v6
	v_addc_co_u32_e32 v25, vcc, 0, v7, vcc
	v_add_co_u32_e32 v26, vcc, v16, v6
	v_addc_co_u32_e32 v27, vcc, 0, v15, vcc
	;; [unrolled: 2-line block ×4, first 2 shown]
	global_load_dwordx2 v[32:33], v[24:25], off
	global_load_dwordx2 v[34:35], v[26:27], off
	;; [unrolled: 1-line block ×4, first 2 shown]
	v_add_co_u32_e32 v12, vcc, s22, v12
	v_addc_co_u32_e32 v11, vcc, v11, v17, vcc
	v_add_co_u32_e32 v14, vcc, s22, v14
	v_addc_co_u32_e32 v13, vcc, v13, v17, vcc
	;; [unrolled: 2-line block ×3, first 2 shown]
	s_add_i32 s24, s24, 4
	v_add_co_u32_e32 v10, vcc, s22, v10
	v_addc_co_u32_e32 v7, vcc, v7, v17, vcc
	s_cmp_lg_u32 s21, s24
	s_waitcnt vmcnt(2)
	ds_write2st64_b64 v22, v[32:33], v[34:35] offset1:2
	s_waitcnt vmcnt(0)
	ds_write2st64_b64 v22, v[36:37], v[38:39] offset0:4 offset1:6
	v_add_u32_e32 v22, 0x1000, v22
	s_cbranch_scc1 .LBB104_36
.LBB104_37:
	s_bfe_u32 s24, s30, 0x20002
	s_cmp_eq_u32 s24, 0
	s_mov_b32 s23, 0
	s_cbranch_scc1 .LBB104_40
; %bb.38:
	s_lshl_b32 s22, s21, 10
	v_lshlrev_b32_e32 v7, 8, v19
	s_add_u32 s14, s14, s10
	v_add3_u32 v7, s22, v7, v6
	s_addc_u32 s15, s15, s11
	s_lshl_b32 s22, s21, 2
	s_lshl_b64 s[10:11], s[22:23], 3
	v_lshlrev_b32_e32 v10, 3, v19
	s_add_u32 s6, s6, s14
	v_mov_b32_e32 v11, s11
	v_add_co_u32_e32 v12, vcc, s10, v10
	s_addc_u32 s7, s7, s15
	v_addc_co_u32_e32 v13, vcc, 0, v11, vcc
	v_pk_mov_b32 v[10:11], s[6:7], s[6:7] op_sel:[0,1]
	v_mad_u64_u32 v[10:11], s[6:7], s16, v12, v[10:11]
	v_mul_lo_u32 v13, s16, v13
	v_mul_lo_u32 v12, s17, v12
	v_add3_u32 v11, v12, v11, v13
	v_add_co_u32_e32 v10, vcc, v10, v6
	v_addc_co_u32_e32 v11, vcc, 0, v11, vcc
	v_mov_b32_e32 v12, s13
	v_add_co_u32_e32 v10, vcc, s12, v10
	s_lshl_b64 s[6:7], s[16:17], 5
	v_addc_co_u32_e32 v11, vcc, v12, v11, vcc
	v_mov_b32_e32 v12, s7
.LBB104_39:                             ; =>This Inner Loop Header: Depth=1
	global_load_dwordx2 v[14:15], v[10:11], off
	v_add_co_u32_e32 v10, vcc, s6, v10
	s_add_i32 s24, s24, -1
	v_addc_co_u32_e32 v11, vcc, v11, v12, vcc
	s_cmp_lg_u32 s24, 0
	s_waitcnt vmcnt(0)
	ds_write_b64 v7, v[14:15]
	v_add_u32_e32 v7, 0x400, v7
	s_cbranch_scc1 .LBB104_39
.LBB104_40:
	s_and_b32 s6, s30, 3
	v_cmp_gt_u32_e32 vcc, s6, v19
	s_mov_b64 s[10:11], s[8:9]
                                        ; implicit-def: $vgpr12_vgpr13
                                        ; implicit-def: $vgpr11
	s_and_saveexec_b64 s[6:7], vcc
; %bb.41:
	s_lshl_b32 s10, s20, 2
	s_mul_i32 s11, s10, s17
	s_mul_hi_u32 s12, s10, s16
	s_add_i32 s11, s12, s11
	s_mul_i32 s10, s10, s16
	s_lshl_b64 s[10:11], s[10:11], 3
	v_mov_b32_e32 v7, s11
	v_add_co_u32_e32 v12, vcc, s10, v8
	v_addc_co_u32_e32 v13, vcc, v9, v7, vcc
	v_lshl_add_u32 v11, s20, 7, v21
	s_or_b64 s[10:11], s[8:9], exec
; %bb.42:
	s_or_b64 exec, exec, s[6:7]
	s_andn2_b64 s[6:7], s[8:9], exec
	s_and_b64 s[8:9], s[10:11], exec
	s_or_b64 s[8:9], s[6:7], s[8:9]
.LBB104_43:
	s_or_b64 exec, exec, s[18:19]
.LBB104_44:
	s_and_saveexec_b64 s[6:7], s[8:9]
	s_cbranch_execz .LBB104_46
; %bb.45:
	global_load_dwordx2 v[8:9], v[12:13], off
	v_lshlrev_b32_e32 v7, 3, v11
	s_waitcnt vmcnt(0)
	ds_write_b64 v7, v[8:9]
.LBB104_46:
	s_or_b64 exec, exec, s[6:7]
	v_cmp_ge_u32_e32 vcc, v18, v19
	v_lshlrev_b32_e32 v8, 5, v18
	s_waitcnt lgkmcnt(0)
	s_barrier
	s_and_saveexec_b64 s[6:7], vcc
	s_xor_b64 s[6:7], exec, s[6:7]
; %bb.47:
	v_lshlrev_b32_e32 v8, 5, v18
; %bb.48:
	s_andn2_saveexec_b64 s[6:7], s[6:7]
	s_cbranch_execz .LBB104_50
; %bb.49:
	v_add_lshl_u32 v7, v8, v19, 3
	ds_read_b64 v[10:11], v7
	s_waitcnt lgkmcnt(0)
	ds_write_b64 v20, v[10:11]
.LBB104_50:
	s_or_b64 exec, exec, s[6:7]
	v_sub_u32_e32 v7, v18, v19
	v_sub_u32_e32 v9, 0, v7
	v_max_i32_e32 v10, v7, v9
	v_cmp_gt_u32_e32 vcc, 4, v10
	v_lshlrev_b32_e32 v7, 5, v19
	v_add_lshl_u32 v9, v8, v19, 3
	s_and_saveexec_b64 s[6:7], vcc
	s_cbranch_execnz .LBB104_69
; %bb.51:
	s_or_b64 exec, exec, s[6:7]
	v_cmp_gt_u32_e32 vcc, 8, v10
	s_and_saveexec_b64 s[6:7], vcc
	s_cbranch_execnz .LBB104_70
.LBB104_52:
	s_or_b64 exec, exec, s[6:7]
	v_cmp_gt_u32_e32 vcc, 12, v10
	s_and_saveexec_b64 s[6:7], vcc
	s_cbranch_execz .LBB104_54
.LBB104_53:
	ds_read_b64 v[12:13], v9 offset:96
	v_add_lshl_u32 v8, v7, v18, 3
	s_waitcnt lgkmcnt(0)
	ds_write_b64 v8, v[12:13] offset:3072
.LBB104_54:
	s_or_b64 exec, exec, s[6:7]
	v_add_u32_e32 v8, 16, v19
	v_cmp_gt_u32_e32 vcc, 16, v10
	v_lshlrev_b32_e32 v8, 5, v8
	s_and_saveexec_b64 s[6:7], vcc
	s_cbranch_execnz .LBB104_71
; %bb.55:
	s_or_b64 exec, exec, s[6:7]
	v_cmp_gt_u32_e32 vcc, 20, v10
	s_and_saveexec_b64 s[6:7], vcc
	s_cbranch_execnz .LBB104_72
.LBB104_56:
	s_or_b64 exec, exec, s[6:7]
	v_cmp_gt_u32_e32 vcc, 24, v10
	s_and_saveexec_b64 s[6:7], vcc
	s_cbranch_execz .LBB104_58
.LBB104_57:
	ds_read_b64 v[12:13], v9 offset:192
	s_waitcnt lgkmcnt(0)
	ds_write_b64 v20, v[12:13] offset:6144
.LBB104_58:
	s_or_b64 exec, exec, s[6:7]
	v_cmp_lt_u32_e32 vcc, 27, v10
	v_add_u32_e32 v11, 28, v19
                                        ; implicit-def: $vgpr10
	s_and_saveexec_b64 s[6:7], vcc
	s_xor_b64 s[6:7], exec, s[6:7]
; %bb.59:
	v_add_u32_e32 v11, 28, v19
	v_lshl_add_u32 v10, v11, 5, v18
                                        ; implicit-def: $vgpr9
; %bb.60:
	s_andn2_saveexec_b64 s[6:7], s[6:7]
	s_cbranch_execz .LBB104_62
; %bb.61:
	ds_read_b64 v[12:13], v9 offset:224
	v_lshl_add_u32 v10, v11, 5, v18
	v_lshlrev_b32_e32 v9, 3, v10
	s_waitcnt lgkmcnt(0)
	ds_write_b64 v9, v[12:13]
.LBB104_62:
	s_or_b64 exec, exec, s[6:7]
	v_lshlrev_b32_e32 v19, 3, v19
	v_add_u32_e32 v9, 0x2800, v19
	s_waitcnt lgkmcnt(0)
	s_barrier
	ds_read2_b64 v[12:15], v9 offset1:4
	v_add_lshl_u32 v7, v7, v18, 3
	ds_read_b64 v[16:17], v20
	ds_read2st64_b64 v[22:25], v7 offset0:2 offset1:4
	v_lshlrev_b32_e32 v11, 3, v11
	ds_read_b64 v[34:35], v11 offset:10240
	v_add_lshl_u32 v11, v8, v18, 3
	s_waitcnt lgkmcnt(2)
	v_fma_f64 v[16:17], v[16:17], v[12:13], 0
	s_waitcnt lgkmcnt(1)
	v_fmac_f64_e32 v[16:17], v[22:23], v[14:15]
	ds_read2_b64 v[12:15], v9 offset0:8 offset1:12
	ds_read2st64_b64 v[26:29], v7 offset0:6 offset1:10
	ds_read2_b64 v[30:33], v9 offset0:16 offset1:20
	v_lshlrev_b32_e32 v8, 3, v10
	ds_read_b64 v[8:9], v8
	ds_read_b64 v[10:11], v11
	ds_read_b64 v[22:23], v7 offset:6144
	ds_read_b64 v[36:37], v19 offset:10432
	s_waitcnt lgkmcnt(6)
	v_fmac_f64_e32 v[16:17], v[24:25], v[12:13]
	s_waitcnt lgkmcnt(5)
	v_fmac_f64_e32 v[16:17], v[26:27], v[14:15]
	;; [unrolled: 2-line block ×3, first 2 shown]
	v_fmac_f64_e32 v[16:17], v[28:29], v[32:33]
	s_waitcnt lgkmcnt(0)
	v_fmac_f64_e32 v[16:17], v[22:23], v[36:37]
	v_fmac_f64_e32 v[16:17], v[8:9], v[34:35]
	ds_write_b64 v20, v[16:17] offset:8192
	s_waitcnt lgkmcnt(0)
	s_barrier
	s_and_saveexec_b64 s[6:7], s[0:1]
	s_cbranch_execz .LBB104_68
; %bb.63:
	v_add_u32_e32 v10, 0x2000, v6
	ds_read2_b64 v[6:9], v10 offset1:32
	ds_read2_b64 v[10:13], v10 offset0:64 offset1:96
	v_cmp_neq_f64_e32 vcc, 0, v[2:3]
	s_mov_b64 s[0:1], -1
	s_waitcnt lgkmcnt(1)
	v_add_f64 v[6:7], v[6:7], 0
	v_add_f64 v[6:7], v[6:7], v[8:9]
	s_waitcnt lgkmcnt(0)
	v_add_f64 v[6:7], v[6:7], v[10:11]
	v_add_f64 v[6:7], v[6:7], v[12:13]
	v_mul_f64 v[8:9], v[4:5], v[6:7]
	v_fmac_f64_e32 v[0:1], v[4:5], v[6:7]
	v_cndmask_b32_e32 v1, v9, v1, vcc
	v_cndmask_b32_e32 v0, v8, v0, vcc
	s_and_b64 vcc, exec, s[4:5]
	s_cbranch_vccz .LBB104_65
; %bb.64:
	v_mad_u64_u32 v[2:3], s[0:1], v18, s2, 0
	v_mov_b32_e32 v4, v3
	v_mad_u64_u32 v[4:5], s[0:1], v18, s3, v[4:5]
	v_mov_b32_e32 v3, v4
	v_lshlrev_b64 v[2:3], 3, v[2:3]
	v_mov_b32_e32 v4, s33
	v_add_co_u32_e32 v2, vcc, s31, v2
	v_addc_co_u32_e32 v3, vcc, v4, v3, vcc
	global_store_dwordx2 v[2:3], v[0:1], off
	s_mov_b64 s[0:1], 0
.LBB104_65:
	s_andn2_b64 vcc, exec, s[0:1]
	s_cbranch_vccnz .LBB104_68
; %bb.66:
	v_cmp_gt_i32_e32 vcc, s30, v18
	s_and_b64 exec, exec, vcc
	s_cbranch_execz .LBB104_68
; %bb.67:
	v_mad_u64_u32 v[2:3], s[0:1], v18, s2, 0
	v_mov_b32_e32 v4, v3
	v_mad_u64_u32 v[4:5], s[0:1], v18, s3, v[4:5]
	v_mov_b32_e32 v3, v4
	v_lshlrev_b64 v[2:3], 3, v[2:3]
	v_mov_b32_e32 v4, s33
	v_add_co_u32_e32 v2, vcc, s31, v2
	v_addc_co_u32_e32 v3, vcc, v4, v3, vcc
	global_store_dwordx2 v[2:3], v[0:1], off
.LBB104_68:
	s_endpgm
.LBB104_69:
	ds_read_b64 v[12:13], v9 offset:32
	v_add_lshl_u32 v8, v7, v18, 3
	s_waitcnt lgkmcnt(0)
	ds_write_b64 v8, v[12:13] offset:1024
	s_or_b64 exec, exec, s[6:7]
	v_cmp_gt_u32_e32 vcc, 8, v10
	s_and_saveexec_b64 s[6:7], vcc
	s_cbranch_execz .LBB104_52
.LBB104_70:
	ds_read_b64 v[12:13], v9 offset:64
	v_add_lshl_u32 v8, v7, v18, 3
	s_waitcnt lgkmcnt(0)
	ds_write_b64 v8, v[12:13] offset:2048
	s_or_b64 exec, exec, s[6:7]
	v_cmp_gt_u32_e32 vcc, 12, v10
	s_and_saveexec_b64 s[6:7], vcc
	s_cbranch_execnz .LBB104_53
	s_branch .LBB104_54
.LBB104_71:
	ds_read_b64 v[12:13], v9 offset:128
	v_add_lshl_u32 v11, v8, v18, 3
	s_waitcnt lgkmcnt(0)
	ds_write_b64 v11, v[12:13]
	s_or_b64 exec, exec, s[6:7]
	v_cmp_gt_u32_e32 vcc, 20, v10
	s_and_saveexec_b64 s[6:7], vcc
	s_cbranch_execz .LBB104_56
.LBB104_72:
	ds_read_b64 v[12:13], v9 offset:160
	s_waitcnt lgkmcnt(0)
	ds_write_b64 v20, v[12:13] offset:5120
	s_or_b64 exec, exec, s[6:7]
	v_cmp_gt_u32_e32 vcc, 24, v10
	s_and_saveexec_b64 s[6:7], vcc
	s_cbranch_execnz .LBB104_57
	s_branch .LBB104_58
	.section	.rodata,"a",@progbits
	.p2align	6, 0x0
	.amdhsa_kernel _ZL58rocblas_symv_kernel_lower_double_buffered_diagonal_genericILi32ELi4E24rocblas_internal_val_ptrIdEPKdPdEvbiT1_lT2_lllS6_lllS5_lT3_lllii
		.amdhsa_group_segment_fixed_size 10496
		.amdhsa_private_segment_fixed_size 0
		.amdhsa_kernarg_size 400
		.amdhsa_user_sgpr_count 6
		.amdhsa_user_sgpr_private_segment_buffer 1
		.amdhsa_user_sgpr_dispatch_ptr 0
		.amdhsa_user_sgpr_queue_ptr 0
		.amdhsa_user_sgpr_kernarg_segment_ptr 1
		.amdhsa_user_sgpr_dispatch_id 0
		.amdhsa_user_sgpr_flat_scratch_init 0
		.amdhsa_user_sgpr_kernarg_preload_length 0
		.amdhsa_user_sgpr_kernarg_preload_offset 0
		.amdhsa_user_sgpr_private_segment_size 0
		.amdhsa_uses_dynamic_stack 0
		.amdhsa_system_sgpr_private_segment_wavefront_offset 0
		.amdhsa_system_sgpr_workgroup_id_x 1
		.amdhsa_system_sgpr_workgroup_id_y 0
		.amdhsa_system_sgpr_workgroup_id_z 1
		.amdhsa_system_sgpr_workgroup_info 0
		.amdhsa_system_vgpr_workitem_id 1
		.amdhsa_next_free_vgpr 40
		.amdhsa_next_free_sgpr 38
		.amdhsa_accum_offset 40
		.amdhsa_reserve_vcc 1
		.amdhsa_reserve_flat_scratch 0
		.amdhsa_float_round_mode_32 0
		.amdhsa_float_round_mode_16_64 0
		.amdhsa_float_denorm_mode_32 3
		.amdhsa_float_denorm_mode_16_64 3
		.amdhsa_dx10_clamp 1
		.amdhsa_ieee_mode 1
		.amdhsa_fp16_overflow 0
		.amdhsa_tg_split 0
		.amdhsa_exception_fp_ieee_invalid_op 0
		.amdhsa_exception_fp_denorm_src 0
		.amdhsa_exception_fp_ieee_div_zero 0
		.amdhsa_exception_fp_ieee_overflow 0
		.amdhsa_exception_fp_ieee_underflow 0
		.amdhsa_exception_fp_ieee_inexact 0
		.amdhsa_exception_int_div_zero 0
	.end_amdhsa_kernel
	.section	.text._ZL58rocblas_symv_kernel_lower_double_buffered_diagonal_genericILi32ELi4E24rocblas_internal_val_ptrIdEPKdPdEvbiT1_lT2_lllS6_lllS5_lT3_lllii,"axG",@progbits,_ZL58rocblas_symv_kernel_lower_double_buffered_diagonal_genericILi32ELi4E24rocblas_internal_val_ptrIdEPKdPdEvbiT1_lT2_lllS6_lllS5_lT3_lllii,comdat
.Lfunc_end104:
	.size	_ZL58rocblas_symv_kernel_lower_double_buffered_diagonal_genericILi32ELi4E24rocblas_internal_val_ptrIdEPKdPdEvbiT1_lT2_lllS6_lllS5_lT3_lllii, .Lfunc_end104-_ZL58rocblas_symv_kernel_lower_double_buffered_diagonal_genericILi32ELi4E24rocblas_internal_val_ptrIdEPKdPdEvbiT1_lT2_lllS6_lllS5_lT3_lllii
                                        ; -- End function
	.section	.AMDGPU.csdata,"",@progbits
; Kernel info:
; codeLenInByte = 3112
; NumSgprs: 42
; NumVgprs: 40
; NumAgprs: 0
; TotalNumVgprs: 40
; ScratchSize: 0
; MemoryBound: 0
; FloatMode: 240
; IeeeMode: 1
; LDSByteSize: 10496 bytes/workgroup (compile time only)
; SGPRBlocks: 5
; VGPRBlocks: 4
; NumSGPRsForWavesPerEU: 42
; NumVGPRsForWavesPerEU: 40
; AccumOffset: 40
; Occupancy: 3
; WaveLimiterHint : 0
; COMPUTE_PGM_RSRC2:SCRATCH_EN: 0
; COMPUTE_PGM_RSRC2:USER_SGPR: 6
; COMPUTE_PGM_RSRC2:TRAP_HANDLER: 0
; COMPUTE_PGM_RSRC2:TGID_X_EN: 1
; COMPUTE_PGM_RSRC2:TGID_Y_EN: 0
; COMPUTE_PGM_RSRC2:TGID_Z_EN: 1
; COMPUTE_PGM_RSRC2:TIDIG_COMP_CNT: 1
; COMPUTE_PGM_RSRC3_GFX90A:ACCUM_OFFSET: 9
; COMPUTE_PGM_RSRC3_GFX90A:TG_SPLIT: 0
	.section	.text._ZL62rocblas_symv_kernel_lower_double_buffered_non_diagonal_genericILi32ELi4ELi4E24rocblas_internal_val_ptrIdEPKdPdEvbiT2_lT3_lllS6_lllT4_lllii,"axG",@progbits,_ZL62rocblas_symv_kernel_lower_double_buffered_non_diagonal_genericILi32ELi4ELi4E24rocblas_internal_val_ptrIdEPKdPdEvbiT2_lT3_lllS6_lllT4_lllii,comdat
	.globl	_ZL62rocblas_symv_kernel_lower_double_buffered_non_diagonal_genericILi32ELi4ELi4E24rocblas_internal_val_ptrIdEPKdPdEvbiT2_lT3_lllS6_lllT4_lllii ; -- Begin function _ZL62rocblas_symv_kernel_lower_double_buffered_non_diagonal_genericILi32ELi4ELi4E24rocblas_internal_val_ptrIdEPKdPdEvbiT2_lT3_lllS6_lllT4_lllii
	.p2align	8
	.type	_ZL62rocblas_symv_kernel_lower_double_buffered_non_diagonal_genericILi32ELi4ELi4E24rocblas_internal_val_ptrIdEPKdPdEvbiT2_lT3_lllS6_lllT4_lllii,@function
_ZL62rocblas_symv_kernel_lower_double_buffered_non_diagonal_genericILi32ELi4ELi4E24rocblas_internal_val_ptrIdEPKdPdEvbiT2_lT3_lllS6_lllT4_lllii: ; @_ZL62rocblas_symv_kernel_lower_double_buffered_non_diagonal_genericILi32ELi4ELi4E24rocblas_internal_val_ptrIdEPKdPdEvbiT2_lT3_lllS6_lllT4_lllii
; %bb.0:
	s_load_dword s0, s[4:5], 0x0
	s_load_dwordx16 s[12:27], s[4:5], 0x8
	s_waitcnt lgkmcnt(0)
	s_bitcmp1_b32 s0, 0
	s_cselect_b64 s[0:1], -1, 0
	s_and_b64 vcc, exec, s[0:1]
	v_pk_mov_b32 v[8:9], s[12:13], s[12:13] op_sel:[0,1]
	s_cbranch_vccnz .LBB105_2
; %bb.1:
	s_mul_i32 s0, s8, s15
	s_mul_hi_u32 s1, s8, s14
	s_add_i32 s1, s1, s0
	s_mul_i32 s0, s8, s14
	s_lshl_b64 s[0:1], s[0:1], 3
	s_add_u32 s0, s12, s0
	s_addc_u32 s1, s13, s1
	v_pk_mov_b32 v[2:3], s[0:1], s[0:1] op_sel:[0,1]
	flat_load_dwordx2 v[8:9], v[2:3]
.LBB105_2:
	s_waitcnt vmcnt(0) lgkmcnt(0)
	v_cmp_neq_f64_e32 vcc, 0, v[8:9]
	s_and_saveexec_b64 s[0:1], vcc
	s_cbranch_execz .LBB105_35
; %bb.3:
	s_load_dwordx2 s[12:13], s[4:5], 0x80
	s_waitcnt lgkmcnt(0)
	v_cvt_f32_u32_e32 v1, s13
	s_add_i32 s14, s12, -1
	s_cmp_eq_u32 s6, s14
	v_rcp_iflag_f32_e32 v1, v1
	v_mul_f32_e32 v1, 0x4f7ffffe, v1
	v_cvt_u32_f32_e32 v1, v1
	v_readfirstlane_b32 s0, v1
	s_cbranch_scc1 .LBB105_35
; %bb.4:
	s_not_b32 s1, s6
	s_load_dwordx4 s[28:31], s[4:5], 0x48
	s_add_i32 s14, s14, s1
	s_sub_i32 s1, 0, s13
	s_mul_i32 s1, s1, s0
	s_mul_hi_u32 s1, s0, s1
	s_add_i32 s0, s0, s1
	s_mul_hi_u32 s15, s14, s0
	s_waitcnt lgkmcnt(0)
	s_mul_i32 s0, s8, s31
	s_mul_hi_u32 s1, s8, s30
	s_add_i32 s1, s1, s0
	s_mul_i32 s0, s8, s30
	s_lshl_b64 s[0:1], s[0:1], 3
	s_add_u32 s2, s24, s0
	s_addc_u32 s3, s25, s1
	s_lshl_b64 s[0:1], s[26:27], 3
	s_add_u32 s2, s2, s0
	s_addc_u32 s3, s3, s1
	s_lshl_b32 s9, s6, 5
	s_ashr_i32 s36, s9, 31
	s_mul_i32 s0, s9, s29
	s_mul_hi_u32 s1, s9, s28
	s_add_i32 s0, s1, s0
	s_mul_i32 s1, s36, s28
	s_add_i32 s1, s0, s1
	s_mul_i32 s0, s9, s28
	s_lshl_b64 s[0:1], s[0:1], 3
	v_and_b32_e32 v66, 0x3ff, v0
	v_bfe_u32 v0, v0, 10, 10
	s_add_u32 s10, s2, s0
	s_addc_u32 s11, s3, s1
	v_cmp_eq_u32_e64 s[0:1], 0, v0
	s_and_saveexec_b64 s[2:3], s[0:1]
	s_cbranch_execz .LBB105_6
; %bb.5:
	v_mad_u64_u32 v[2:3], s[24:25], v66, s28, 0
	v_mov_b32_e32 v4, v3
	v_mad_u64_u32 v[4:5], s[24:25], v66, s29, v[4:5]
	v_mov_b32_e32 v3, v4
	v_lshlrev_b64 v[2:3], 3, v[2:3]
	v_mov_b32_e32 v1, s11
	v_add_co_u32_e32 v2, vcc, s10, v2
	v_addc_co_u32_e32 v3, vcc, v1, v3, vcc
	global_load_dwordx2 v[2:3], v[2:3], off
	v_lshlrev_b32_e32 v1, 3, v66
	s_waitcnt vmcnt(0)
	ds_write_b64 v1, v[2:3] offset:6144
.LBB105_6:
	s_or_b64 exec, exec, s[2:3]
	s_mul_i32 s2, s15, s13
	s_sub_i32 s2, s14, s2
	s_add_i32 s3, s15, 1
	s_sub_i32 s24, s2, s13
	s_cmp_ge_u32 s2, s13
	s_cselect_b32 s3, s3, s15
	s_cselect_b32 s2, s24, s2
	s_add_i32 s15, s3, 1
	s_cmp_ge_u32 s2, s13
	s_cselect_b32 s15, s15, s3
	s_add_i32 s24, s13, -1
	s_cmp_eq_u32 s7, s24
	s_cselect_b64 s[2:3], -1, 0
	s_cmp_lg_u32 s7, s24
	s_mov_b32 s33, s15
	s_cbranch_scc1 .LBB105_8
; %bb.7:
	s_mul_i32 s13, s15, s13
	s_sub_i32 s13, s14, s13
	s_add_i32 s33, s13, s15
.LBB105_8:
	s_cmp_lg_u32 s7, s24
	s_cselect_b64 s[24:25], -1, 0
	s_cmp_eq_u32 s33, 0
	s_cselect_b64 s[26:27], -1, 0
	s_and_b64 s[24:25], s[24:25], s[26:27]
	s_and_b64 vcc, exec, s[24:25]
	s_cbranch_vccnz .LBB105_35
; %bb.9:
	s_mul_i32 s7, s7, s15
	s_lshl_b32 s24, s7, 5
	s_mul_i32 s7, s8, s23
	s_mul_hi_u32 s13, s8, s22
	s_add_i32 s15, s13, s7
	s_mul_i32 s14, s8, s22
	s_ashr_i32 s25, s24, 31
	s_lshl_b64 s[14:15], s[14:15], 3
	s_add_u32 s7, s16, s14
	s_addc_u32 s13, s17, s15
	s_lshl_b64 s[14:15], s[18:19], 3
	s_add_u32 s7, s7, s14
	s_addc_u32 s13, s13, s15
	s_add_u32 s14, s20, 1
	s_addc_u32 s15, s21, 0
	s_mul_i32 s16, s14, s36
	s_mul_hi_u32 s17, s14, s9
	s_add_i32 s16, s17, s16
	s_mul_i32 s15, s15, s9
	s_add_i32 s15, s16, s15
	s_mul_i32 s14, s14, s9
	s_lshl_b64 s[14:15], s[14:15], 3
	s_add_u32 s7, s7, s14
	s_addc_u32 s13, s13, s15
	s_lshl_b64 s[14:15], s[24:25], 3
	s_add_u32 s30, s7, s14
	s_addc_u32 s31, s13, s15
	s_mul_i32 s7, s24, s29
	s_mul_hi_u32 s13, s24, s28
	s_add_i32 s7, s13, s7
	s_mul_i32 s13, s25, s28
	s_add_i32 s15, s7, s13
	s_mul_i32 s14, s24, s28
	v_lshl_add_u32 v0, v0, 5, v66
	s_lshl_b64 s[14:15], s[14:15], 3
	v_lshrrev_b32_e32 v67, 4, v0
	s_add_u32 s34, s10, s14
	v_and_b32_e32 v10, 15, v66
	v_lshlrev_b32_e32 v68, 2, v67
	v_mov_b32_e32 v11, 0
	s_load_dwordx2 s[26:27], s[4:5], 0x58
	s_addc_u32 s35, s11, s15
	v_mad_u64_u32 v[20:21], s[10:11], v68, s20, v[10:11]
	v_mov_b32_e32 v0, v21
	v_mad_u64_u32 v[0:1], s[10:11], v68, s21, v[0:1]
	s_lshl_b64 s[10:11], s[28:29], 5
	s_add_i32 s7, s12, -2
	v_mov_b32_e32 v21, v0
	s_cmp_ge_u32 s6, s7
	s_waitcnt lgkmcnt(0)
	s_barrier
	s_cbranch_scc1 .LBB105_11
; %bb.10:
	s_lshl_b64 s[6:7], s[10:11], 3
	v_lshlrev_b64 v[0:1], 3, v[20:21]
	s_add_u32 s12, s34, s6
	v_mov_b32_e32 v2, s31
	v_add_co_u32_e32 v0, vcc, s30, v0
	s_addc_u32 s13, s35, s7
	v_addc_co_u32_e32 v1, vcc, v2, v1, vcc
	s_lshl_b64 s[6:7], s[20:21], 3
	v_mov_b32_e32 v3, s7
	v_add_co_u32_e32 v2, vcc, s6, v0
	v_addc_co_u32_e32 v3, vcc, v1, v3, vcc
	s_lshl_b64 s[6:7], s[20:21], 4
	v_mov_b32_e32 v5, s7
	v_add_co_u32_e32 v4, vcc, s6, v0
	global_load_dwordx2 v[28:29], v[0:1], off offset:256
	v_addc_co_u32_e32 v5, vcc, v1, v5, vcc
	v_mad_u64_u32 v[0:1], s[6:7], s20, 24, v[0:1]
	global_load_dwordx2 v[30:31], v[2:3], off offset:256
	global_load_dwordx2 v[34:35], v[4:5], off offset:256
	v_mov_b32_e32 v2, v1
	v_mad_u64_u32 v[2:3], s[6:7], s21, 24, v[2:3]
	v_mov_b32_e32 v1, v2
	global_load_dwordx2 v[36:37], v[0:1], off offset:256
	v_mad_u64_u32 v[0:1], s[6:7], v10, s28, 0
	v_mov_b32_e32 v2, v1
	v_mad_u64_u32 v[2:3], s[6:7], v10, s29, v[2:3]
	v_mov_b32_e32 v1, v2
	v_lshlrev_b64 v[0:1], 3, v[0:1]
	v_mov_b32_e32 v2, s13
	v_add_co_u32_e32 v0, vcc, s12, v0
	v_addc_co_u32_e32 v1, vcc, v2, v1, vcc
	global_load_dwordx2 v[32:33], v[0:1], off
	s_branch .LBB105_12
.LBB105_11:
	v_pk_mov_b32 v[32:33], 0, 0
                                        ; implicit-def: $vgpr28_vgpr29
                                        ; implicit-def: $vgpr30_vgpr31
                                        ; implicit-def: $vgpr34_vgpr35
                                        ; implicit-def: $vgpr36_vgpr37
.LBB105_12:
	s_load_dwordx2 s[6:7], s[4:5], 0x70
	s_load_dwordx4 s[12:15], s[4:5], 0x60
	v_pk_mov_b32 v[14:15], 0, 0
	v_or_b32_e32 v69, 16, v10
	v_lshlrev_b32_e32 v11, 3, v10
	s_waitcnt lgkmcnt(0)
	s_mul_i32 s7, s8, s7
	s_mul_hi_u32 s16, s8, s6
	s_mul_i32 s6, s8, s6
	s_add_i32 s7, s16, s7
	s_lshl_b64 s[6:7], s[6:7], 3
	s_add_u32 s8, s26, s6
	s_addc_u32 s16, s27, s7
	s_lshl_b64 s[6:7], s[12:13], 3
	s_add_u32 s8, s8, s6
	s_addc_u32 s12, s16, s7
	s_mul_i32 s6, s9, s15
	s_mul_hi_u32 s7, s9, s14
	s_add_i32 s6, s7, s6
	s_mul_i32 s7, s36, s14
	s_add_i32 s7, s6, s7
	s_mul_i32 s6, s9, s14
	s_lshl_b64 s[6:7], s[6:7], 3
	s_add_u32 s22, s8, s6
	s_addc_u32 s23, s12, s7
	s_mul_i32 s6, s24, s15
	s_mul_hi_u32 s7, s24, s14
	s_add_i32 s6, s7, s6
	s_mul_i32 s7, s25, s14
	s_add_i32 s7, s6, s7
	s_mul_i32 s6, s24, s14
	s_lshl_b64 s[6:7], s[6:7], 3
	s_add_u32 s12, s22, s6
	s_addc_u32 s13, s23, s7
	s_cmp_lt_i32 s33, 1
	s_cbranch_scc1 .LBB105_22
; %bb.13:
	v_mad_u64_u32 v[0:1], s[6:7], v69, s28, 0
	v_mov_b32_e32 v2, v1
	v_mad_u64_u32 v[2:3], s[6:7], v69, s29, v[2:3]
	v_mov_b32_e32 v1, v2
	;; [unrolled: 2-line block ×4, first 2 shown]
	v_lshl_or_b32 v4, v67, 8, v11
	v_add_u32_e32 v70, 0x1000, v4
	v_mad_u64_u32 v[4:5], s[8:9], v66, s14, 0
	v_mov_b32_e32 v6, v5
	v_mad_u64_u32 v[6:7], s[8:9], v66, s15, v[6:7]
	s_add_i32 s24, s33, -1
	s_lshl_b64 s[6:7], s[14:15], 8
	v_mov_b32_e32 v5, v6
	v_mov_b32_e32 v6, 0x1800
	s_lshl_b64 s[8:9], s[20:21], 3
	s_lshl_b64 s[16:17], s[20:21], 4
	v_lshl_add_u32 v71, v68, 3, v6
	v_mov_b32_e32 v6, 0x1000
	s_sub_u32 s25, 0, s16
	v_pk_mov_b32 v[12:13], 0, 0
	v_lshl_add_u32 v72, v66, 3, v6
	s_subb_u32 s26, 0, s17
	s_mov_b32 s27, 0
	v_pk_mov_b32 v[22:23], s[12:13], s[12:13] op_sel:[0,1]
	s_lshl_b64 s[12:13], s[10:11], 3
	v_lshlrev_b64 v[38:39], 3, v[0:1]
	v_lshlrev_b64 v[40:41], 3, v[20:21]
	v_mov_b32_e32 v73, s9
	v_lshlrev_b64 v[42:43], 3, v[2:3]
	v_lshlrev_b64 v[44:45], 3, v[4:5]
	v_pk_mov_b32 v[18:19], v[12:13], v[12:13] op_sel:[0,1]
	v_pk_mov_b32 v[16:17], v[12:13], v[12:13] op_sel:[0,1]
	;; [unrolled: 1-line block ×3, first 2 shown]
	s_waitcnt vmcnt(0)
	v_pk_mov_b32 v[26:27], v[32:33], v[32:33] op_sel:[0,1]
	v_pk_mov_b32 v[46:47], v[28:29], v[28:29] op_sel:[0,1]
	;; [unrolled: 1-line block ×5, first 2 shown]
.LBB105_14:                             ; =>This Loop Header: Depth=1
                                        ;     Child Loop BB105_18 Depth 2
	s_add_u32 s34, s34, s12
	s_addc_u32 s35, s35, s13
	v_mov_b32_e32 v1, s35
	v_add_co_u32_e32 v0, vcc, s34, v38
	v_addc_co_u32_e32 v1, vcc, v1, v39, vcc
	global_load_dwordx2 v[24:25], v[0:1], off
	v_mov_b32_e32 v0, s31
	v_add_co_u32_e32 v62, vcc, s30, v40
	v_addc_co_u32_e32 v63, vcc, v0, v41, vcc
	v_add_co_u32_e32 v0, vcc, s8, v62
	v_addc_co_u32_e32 v1, vcc, v63, v73, vcc
	;; [unrolled: 2-line block ×3, first 2 shown]
	v_add_co_u32_e32 v64, vcc, s8, v2
	global_load_dwordx2 v[54:55], v[0:1], off offset:384
	global_load_dwordx2 v[56:57], v[2:3], off offset:384
	v_addc_co_u32_e32 v65, vcc, v3, v73, vcc
	global_load_dwordx2 v[60:61], v[62:63], off offset:384
	global_load_dwordx2 v[58:59], v[64:65], off offset:384
	ds_read_b128 v[4:7], v71
	ds_read_b128 v[0:3], v71 offset:16
	s_cmp_eq_u32 s27, s24
	s_cbranch_scc1 .LBB105_16
; %bb.15:                               ;   in Loop: Header=BB105_14 Depth=1
	v_mov_b32_e32 v27, s26
	v_add_co_u32_e32 v26, vcc, s25, v64
	v_addc_co_u32_e32 v27, vcc, v65, v27, vcc
	global_load_dwordx2 v[46:47], v[62:63], off offset:512
	global_load_dwordx2 v[48:49], v[26:27], off offset:512
	v_mov_b32_e32 v52, s9
	v_add_co_u32_e32 v26, vcc, s8, v26
	v_addc_co_u32_e32 v27, vcc, v27, v52, vcc
	s_add_u32 s16, s34, s12
	global_load_dwordx2 v[50:51], v[26:27], off offset:512
	v_add_co_u32_e32 v26, vcc, s8, v26
	s_addc_u32 s17, s35, s13
	v_addc_co_u32_e32 v27, vcc, v27, v52, vcc
	global_load_dwordx2 v[52:53], v[26:27], off offset:512
	v_mov_b32_e32 v27, s17
	v_add_co_u32_e32 v26, vcc, s16, v42
	v_addc_co_u32_e32 v27, vcc, v27, v43, vcc
	global_load_dwordx2 v[26:27], v[26:27], off
.LBB105_16:                             ;   in Loop: Header=BB105_14 Depth=1
	s_waitcnt lgkmcnt(1)
	v_fma_f64 v[62:63], v[28:29], v[4:5], 0
	s_waitcnt vmcnt(1)
	v_fma_f64 v[4:5], v[60:61], v[4:5], 0
	v_fmac_f64_e32 v[62:63], v[30:31], v[6:7]
	v_fmac_f64_e32 v[4:5], v[54:55], v[6:7]
	s_waitcnt lgkmcnt(0)
	v_fmac_f64_e32 v[62:63], v[34:35], v[0:1]
	v_fmac_f64_e32 v[4:5], v[56:57], v[0:1]
	;; [unrolled: 1-line block ×3, first 2 shown]
	s_waitcnt vmcnt(0)
	v_fmac_f64_e32 v[4:5], v[58:59], v[2:3]
	s_barrier
	ds_write2_b64 v70, v[62:63], v[4:5] offset1:16
	s_waitcnt lgkmcnt(0)
	s_barrier
	s_and_saveexec_b64 s[16:17], s[0:1]
	s_cbranch_execz .LBB105_20
; %bb.17:                               ;   in Loop: Header=BB105_14 Depth=1
	v_mov_b32_e32 v0, s7
	v_add_co_u32_e32 v22, vcc, s6, v22
	v_addc_co_u32_e32 v23, vcc, v23, v0, vcc
	v_add_co_u32_e32 v4, vcc, v22, v44
	v_addc_co_u32_e32 v5, vcc, v23, v45, vcc
	global_load_dwordx2 v[2:3], v[4:5], off
	ds_read2_b64 v[62:65], v72 offset1:32
	ds_read2_b64 v[74:77], v72 offset0:64 offset1:96
	ds_read2_b64 v[78:81], v72 offset0:128 offset1:160
	s_mov_b64 s[18:19], 0
	s_waitcnt lgkmcnt(2)
	v_add_f64 v[0:1], v[62:63], 0
	v_add_f64 v[0:1], v[0:1], v[64:65]
	ds_read2_b64 v[62:65], v72 offset0:192 offset1:224
	s_waitcnt lgkmcnt(2)
	v_add_f64 v[0:1], v[0:1], v[74:75]
	v_add_f64 v[0:1], v[0:1], v[76:77]
	s_waitcnt lgkmcnt(1)
	v_add_f64 v[0:1], v[0:1], v[78:79]
	v_add_f64 v[0:1], v[0:1], v[80:81]
	;; [unrolled: 3-line block ×3, first 2 shown]
	v_mul_f64 v[6:7], v[8:9], v[0:1]
.LBB105_18:                             ;   Parent Loop BB105_14 Depth=1
                                        ; =>  This Inner Loop Header: Depth=2
	s_waitcnt vmcnt(0)
	v_add_f64 v[0:1], v[2:3], v[6:7]
	global_atomic_cmpswap_x2 v[0:1], v[4:5], v[0:3], off glc
	s_waitcnt vmcnt(0)
	v_cmp_eq_u64_e32 vcc, v[0:1], v[2:3]
	s_or_b64 s[18:19], vcc, s[18:19]
	v_pk_mov_b32 v[2:3], v[0:1], v[0:1] op_sel:[0,1]
	s_andn2_b64 exec, exec, s[18:19]
	s_cbranch_execnz .LBB105_18
; %bb.19:                               ;   in Loop: Header=BB105_14 Depth=1
	s_or_b64 exec, exec, s[18:19]
.LBB105_20:                             ;   in Loop: Header=BB105_14 Depth=1
	s_or_b64 exec, exec, s[16:17]
	s_add_u32 s30, s30, 0x100
	v_fmac_f64_e32 v[12:13], v[32:33], v[28:29]
	v_fmac_f64_e32 v[18:19], v[32:33], v[30:31]
	;; [unrolled: 1-line block ×4, first 2 shown]
	s_addc_u32 s31, s31, 0
	s_add_i32 s27, s27, 1
	v_fmac_f64_e32 v[12:13], v[24:25], v[60:61]
	v_fmac_f64_e32 v[18:19], v[24:25], v[54:55]
	;; [unrolled: 1-line block ×4, first 2 shown]
	s_cmp_eq_u32 s27, s33
	s_cbranch_scc1 .LBB105_23
; %bb.21:                               ;   in Loop: Header=BB105_14 Depth=1
	v_pk_mov_b32 v[32:33], v[26:27], v[26:27] op_sel:[0,1]
	v_pk_mov_b32 v[28:29], v[46:47], v[46:47] op_sel:[0,1]
	;; [unrolled: 1-line block ×5, first 2 shown]
	s_branch .LBB105_14
.LBB105_22:
	v_pk_mov_b32 v[22:23], s[12:13], s[12:13] op_sel:[0,1]
	v_pk_mov_b32 v[16:17], v[14:15], v[14:15] op_sel:[0,1]
	;; [unrolled: 1-line block ×5, first 2 shown]
	s_waitcnt vmcnt(0)
	v_pk_mov_b32 v[26:27], v[32:33], v[32:33] op_sel:[0,1]
.LBB105_23:
	s_and_b64 vcc, exec, s[2:3]
	s_cbranch_vccz .LBB105_32
; %bb.24:
	s_load_dword s4, s[4:5], 0x78
	s_lshl_b64 s[2:3], s[10:11], 3
	v_pk_mov_b32 v[4:5], 0, 0
	s_add_u32 s5, s34, s2
	s_addc_u32 s6, s35, s3
	s_waitcnt lgkmcnt(0)
	v_cmp_gt_i32_e32 vcc, s4, v10
	v_pk_mov_b32 v[0:1], v[4:5], v[4:5] op_sel:[0,1]
	v_pk_mov_b32 v[2:3], v[4:5], v[4:5] op_sel:[0,1]
	v_pk_mov_b32 v[32:33], v[4:5], v[4:5] op_sel:[0,1]
	v_pk_mov_b32 v[34:35], v[4:5], v[4:5] op_sel:[0,1]
	s_and_saveexec_b64 s[2:3], vcc
	s_cbranch_execz .LBB105_26
; %bb.25:
	v_lshlrev_b64 v[0:1], 3, v[20:21]
	v_mov_b32_e32 v2, s31
	v_add_co_u32_e32 v6, vcc, s30, v0
	v_addc_co_u32_e32 v7, vcc, v2, v1, vcc
	s_lshl_b64 s[8:9], s[20:21], 3
	v_mov_b32_e32 v0, s9
	v_add_co_u32_e32 v26, vcc, s8, v6
	v_addc_co_u32_e32 v27, vcc, v7, v0, vcc
	s_lshl_b64 s[8:9], s[20:21], 4
	v_mov_b32_e32 v0, s9
	v_add_co_u32_e32 v28, vcc, s8, v6
	v_addc_co_u32_e32 v29, vcc, v7, v0, vcc
	global_load_dwordx2 v[0:1], v[6:7], off offset:256
	global_load_dwordx2 v[2:3], v[26:27], off offset:256
	;; [unrolled: 1-line block ×3, first 2 shown]
	v_mad_u64_u32 v[6:7], s[8:9], s20, 24, v[6:7]
	v_mov_b32_e32 v26, v7
	v_mad_u64_u32 v[26:27], s[8:9], s21, 24, v[26:27]
	v_mov_b32_e32 v7, v26
	global_load_dwordx2 v[34:35], v[6:7], off offset:256
	v_mad_u64_u32 v[6:7], s[8:9], v10, s28, 0
	v_mov_b32_e32 v26, v7
	v_mad_u64_u32 v[26:27], s[8:9], v10, s29, v[26:27]
	v_mov_b32_e32 v7, v26
	v_lshlrev_b64 v[6:7], 3, v[6:7]
	v_mov_b32_e32 v26, s6
	v_add_co_u32_e32 v6, vcc, s5, v6
	v_addc_co_u32_e32 v7, vcc, v26, v7, vcc
	global_load_dwordx2 v[26:27], v[6:7], off
.LBB105_26:
	s_or_b64 exec, exec, s[2:3]
	v_cmp_gt_i32_e32 vcc, s4, v69
	v_pk_mov_b32 v[6:7], v[4:5], v[4:5] op_sel:[0,1]
	v_pk_mov_b32 v[28:29], v[4:5], v[4:5] op_sel:[0,1]
	;; [unrolled: 1-line block ×3, first 2 shown]
	s_and_saveexec_b64 s[2:3], vcc
	s_cbranch_execz .LBB105_28
; %bb.27:
	v_lshlrev_b64 v[4:5], 3, v[20:21]
	v_mov_b32_e32 v6, s31
	v_add_co_u32_e32 v20, vcc, s30, v4
	v_addc_co_u32_e32 v21, vcc, v6, v5, vcc
	v_add_co_u32_e32 v24, vcc, 0x100, v20
	v_addc_co_u32_e32 v25, vcc, 0, v21, vcc
	s_lshl_b64 s[8:9], s[20:21], 3
	v_mov_b32_e32 v4, s9
	v_add_co_u32_e32 v30, vcc, s8, v24
	v_addc_co_u32_e32 v31, vcc, v25, v4, vcc
	s_lshl_b64 s[8:9], s[20:21], 4
	v_mov_b32_e32 v4, s9
	v_add_co_u32_e32 v36, vcc, s8, v24
	v_addc_co_u32_e32 v37, vcc, v25, v4, vcc
	global_load_dwordx2 v[4:5], v[20:21], off offset:384
	global_load_dwordx2 v[6:7], v[30:31], off offset:128
	;; [unrolled: 1-line block ×3, first 2 shown]
	v_mad_u64_u32 v[20:21], s[8:9], s20, 24, v[24:25]
	v_mov_b32_e32 v24, v21
	v_mad_u64_u32 v[24:25], s[8:9], s21, 24, v[24:25]
	v_mov_b32_e32 v21, v24
	global_load_dwordx2 v[30:31], v[20:21], off offset:128
	v_mad_u64_u32 v[20:21], s[8:9], v69, s28, 0
	v_mov_b32_e32 v24, v21
	v_mad_u64_u32 v[24:25], s[8:9], v69, s29, v[24:25]
	v_mov_b32_e32 v21, v24
	v_lshlrev_b64 v[20:21], 3, v[20:21]
	v_mov_b32_e32 v24, s6
	v_add_co_u32_e32 v20, vcc, s5, v20
	v_addc_co_u32_e32 v21, vcc, v24, v21, vcc
	global_load_dwordx2 v[24:25], v[20:21], off
.LBB105_28:
	s_or_b64 exec, exec, s[2:3]
	v_lshlrev_b32_e32 v20, 3, v68
	ds_read_b128 v[36:39], v20 offset:6144
	ds_read_b128 v[40:43], v20 offset:6160
	s_waitcnt vmcnt(0)
	v_fmac_f64_e32 v[12:13], v[26:27], v[0:1]
	v_fmac_f64_e32 v[18:19], v[26:27], v[2:3]
	v_cmp_gt_i32_e32 vcc, s4, v66
	s_waitcnt lgkmcnt(1)
	v_fma_f64 v[20:21], v[4:5], v[36:37], 0
	v_fma_f64 v[0:1], v[0:1], v[36:37], 0
	v_fmac_f64_e32 v[20:21], v[6:7], v[38:39]
	v_fmac_f64_e32 v[0:1], v[2:3], v[38:39]
	s_waitcnt lgkmcnt(0)
	v_fmac_f64_e32 v[20:21], v[28:29], v[40:41]
	v_fmac_f64_e32 v[0:1], v[32:33], v[40:41]
	v_lshl_or_b32 v2, v67, 8, v11
	v_fmac_f64_e32 v[16:17], v[26:27], v[32:33]
	v_fmac_f64_e32 v[14:15], v[26:27], v[34:35]
	;; [unrolled: 1-line block ×4, first 2 shown]
	v_add_u32_e32 v2, 0x1000, v2
	s_and_b64 s[4:5], s[0:1], vcc
	s_barrier
	ds_write2_b64 v2, v[0:1], v[20:21] offset1:16
	s_waitcnt lgkmcnt(0)
	s_barrier
	s_and_saveexec_b64 s[2:3], s[4:5]
	s_cbranch_execz .LBB105_31
; %bb.29:
	s_lshl_b64 s[4:5], s[14:15], 8
	v_mov_b32_e32 v0, s5
	v_add_co_u32_e32 v20, vcc, s4, v22
	v_addc_co_u32_e32 v21, vcc, v23, v0, vcc
	v_mad_u64_u32 v[0:1], s[4:5], v66, s14, 0
	v_mov_b32_e32 v2, v1
	v_mad_u64_u32 v[2:3], s[4:5], v66, s15, v[2:3]
	v_mov_b32_e32 v1, v2
	v_lshlrev_b64 v[0:1], 3, v[0:1]
	v_add_co_u32_e32 v20, vcc, v20, v0
	v_addc_co_u32_e32 v21, vcc, v21, v1, vcc
	global_load_dwordx2 v[2:3], v[20:21], off
	v_lshlrev_b32_e32 v0, 3, v66
	v_add_u32_e32 v22, 0x1000, v0
	ds_read2_b64 v[32:35], v22 offset1:32
	ds_read2_b64 v[36:39], v22 offset0:64 offset1:96
	ds_read2_b64 v[40:43], v22 offset0:128 offset1:160
	s_mov_b64 s[4:5], 0
	s_waitcnt lgkmcnt(2)
	v_add_f64 v[0:1], v[32:33], 0
	v_add_f64 v[0:1], v[0:1], v[34:35]
	ds_read2_b64 v[32:35], v22 offset0:192 offset1:224
	s_waitcnt lgkmcnt(2)
	v_add_f64 v[0:1], v[0:1], v[36:37]
	v_add_f64 v[0:1], v[0:1], v[38:39]
	s_waitcnt lgkmcnt(1)
	v_add_f64 v[0:1], v[0:1], v[40:41]
	v_add_f64 v[0:1], v[0:1], v[42:43]
	;; [unrolled: 3-line block ×3, first 2 shown]
	v_mul_f64 v[22:23], v[8:9], v[0:1]
.LBB105_30:                             ; =>This Inner Loop Header: Depth=1
	s_waitcnt vmcnt(0)
	v_add_f64 v[0:1], v[2:3], v[22:23]
	global_atomic_cmpswap_x2 v[0:1], v[20:21], v[0:3], off glc
	s_waitcnt vmcnt(0)
	v_cmp_eq_u64_e32 vcc, v[0:1], v[2:3]
	s_or_b64 s[4:5], vcc, s[4:5]
	v_pk_mov_b32 v[2:3], v[0:1], v[0:1] op_sel:[0,1]
	s_andn2_b64 exec, exec, s[4:5]
	s_cbranch_execnz .LBB105_30
.LBB105_31:
	s_or_b64 exec, exec, s[2:3]
	v_fmac_f64_e32 v[12:13], v[24:25], v[4:5]
	v_fmac_f64_e32 v[18:19], v[24:25], v[6:7]
	v_fmac_f64_e32 v[16:17], v[24:25], v[28:29]
	v_fmac_f64_e32 v[14:15], v[24:25], v[30:31]
.LBB105_32:
	v_lshl_or_b32 v0, v67, 9, v11
	ds_write2_b64 v0, v[12:13], v[18:19] offset1:16
	ds_write2_b64 v0, v[16:17], v[14:15] offset0:32 offset1:48
	s_waitcnt lgkmcnt(0)
	s_barrier
	s_and_b64 exec, exec, s[0:1]
	s_cbranch_execz .LBB105_35
; %bb.33:
	v_mad_u64_u32 v[0:1], s[0:1], v66, s14, 0
	v_mov_b32_e32 v2, v1
	v_mad_u64_u32 v[2:3], s[0:1], v66, s15, v[2:3]
	v_mov_b32_e32 v1, v2
	v_lshlrev_b64 v[0:1], 3, v[0:1]
	v_mov_b32_e32 v2, s23
	v_add_co_u32_e32 v4, vcc, s22, v0
	v_addc_co_u32_e32 v5, vcc, v2, v1, vcc
	global_load_dwordx2 v[2:3], v[4:5], off
	v_lshlrev_b32_e32 v18, 4, v66
	v_add_u32_e32 v1, 1, v66
	v_and_or_b32 v1, v1, 15, v18
	v_lshlrev_b32_e32 v6, 3, v1
	v_add_u32_e32 v1, 2, v66
	v_or_b32_e32 v19, v10, v18
	v_and_or_b32 v1, v1, 15, v18
	v_lshlrev_b32_e32 v0, 3, v19
	v_lshlrev_b32_e32 v10, 3, v1
	v_add_u32_e32 v1, 3, v66
	v_and_or_b32 v12, v1, 15, v18
	ds_read_b64 v[0:1], v0
	ds_read_b64 v[6:7], v6
	;; [unrolled: 1-line block ×3, first 2 shown]
	v_lshlrev_b32_e32 v12, 3, v12
	ds_read_b64 v[12:13], v12
	s_waitcnt lgkmcnt(3)
	v_add_f64 v[0:1], v[0:1], 0
	s_waitcnt lgkmcnt(2)
	v_add_f64 v[0:1], v[0:1], v[6:7]
	v_add_u32_e32 v7, 5, v66
	v_and_or_b32 v7, v7, 15, v18
	s_waitcnt lgkmcnt(1)
	v_add_f64 v[0:1], v[0:1], v[10:11]
	v_lshlrev_b32_e32 v10, 3, v7
	v_add_u32_e32 v7, 6, v66
	v_and_or_b32 v7, v7, 15, v18
	v_add_u32_e32 v6, 4, v66
	v_lshlrev_b32_e32 v14, 3, v7
	v_add_u32_e32 v7, 7, v66
	v_and_or_b32 v6, v6, 15, v18
	v_and_or_b32 v7, v7, 15, v18
	v_lshlrev_b32_e32 v6, 3, v6
	v_lshlrev_b32_e32 v16, 3, v7
	ds_read_b64 v[6:7], v6
	ds_read_b64 v[10:11], v10
	;; [unrolled: 1-line block ×4, first 2 shown]
	s_waitcnt lgkmcnt(4)
	v_add_f64 v[0:1], v[0:1], v[12:13]
	s_waitcnt lgkmcnt(3)
	v_add_f64 v[0:1], v[0:1], v[6:7]
	v_add_u32_e32 v7, 9, v66
	v_and_or_b32 v7, v7, 15, v18
	s_waitcnt lgkmcnt(2)
	v_add_f64 v[0:1], v[0:1], v[10:11]
	v_lshlrev_b32_e32 v10, 3, v7
	v_add_u32_e32 v7, 10, v66
	v_xor_b32_e32 v6, 8, v19
	v_and_or_b32 v7, v7, 15, v18
	v_lshlrev_b32_e32 v6, 3, v6
	v_lshlrev_b32_e32 v12, 3, v7
	v_add_u32_e32 v7, 11, v66
	s_waitcnt lgkmcnt(1)
	v_add_f64 v[0:1], v[0:1], v[14:15]
	v_and_or_b32 v14, v7, 15, v18
	ds_read_b64 v[6:7], v6
	ds_read_b64 v[10:11], v10
	;; [unrolled: 1-line block ×3, first 2 shown]
	s_waitcnt lgkmcnt(3)
	v_add_f64 v[0:1], v[0:1], v[16:17]
	v_lshlrev_b32_e32 v14, 3, v14
	s_waitcnt lgkmcnt(2)
	v_add_f64 v[0:1], v[0:1], v[6:7]
	v_add_u32_e32 v7, 13, v66
	v_and_or_b32 v7, v7, 15, v18
	s_waitcnt lgkmcnt(1)
	v_add_f64 v[0:1], v[0:1], v[10:11]
	v_lshlrev_b32_e32 v10, 3, v7
	v_add_u32_e32 v7, 14, v66
	ds_read_b64 v[14:15], v14
	v_and_or_b32 v7, v7, 15, v18
	s_waitcnt lgkmcnt(1)
	v_add_f64 v[0:1], v[0:1], v[12:13]
	v_add_u32_e32 v6, 12, v66
	v_lshlrev_b32_e32 v12, 3, v7
	v_add_u32_e32 v7, -1, v66
	v_and_or_b32 v6, v6, 15, v18
	v_and_or_b32 v7, v7, 15, v18
	v_lshlrev_b32_e32 v6, 3, v6
	v_lshlrev_b32_e32 v16, 3, v7
	ds_read_b64 v[6:7], v6
	ds_read_b64 v[10:11], v10
	;; [unrolled: 1-line block ×4, first 2 shown]
	s_waitcnt lgkmcnt(4)
	v_add_f64 v[0:1], v[0:1], v[14:15]
	s_waitcnt lgkmcnt(3)
	v_add_f64 v[0:1], v[0:1], v[6:7]
	;; [unrolled: 2-line block ×5, first 2 shown]
	s_mov_b64 s[0:1], 0
	v_mul_f64 v[6:7], v[8:9], v[0:1]
.LBB105_34:                             ; =>This Inner Loop Header: Depth=1
	s_waitcnt vmcnt(0)
	v_add_f64 v[0:1], v[2:3], v[6:7]
	global_atomic_cmpswap_x2 v[0:1], v[4:5], v[0:3], off glc
	s_waitcnt vmcnt(0)
	v_cmp_eq_u64_e32 vcc, v[0:1], v[2:3]
	s_or_b64 s[0:1], vcc, s[0:1]
	v_pk_mov_b32 v[2:3], v[0:1], v[0:1] op_sel:[0,1]
	s_andn2_b64 exec, exec, s[0:1]
	s_cbranch_execnz .LBB105_34
.LBB105_35:
	s_endpgm
	.section	.rodata,"a",@progbits
	.p2align	6, 0x0
	.amdhsa_kernel _ZL62rocblas_symv_kernel_lower_double_buffered_non_diagonal_genericILi32ELi4ELi4E24rocblas_internal_val_ptrIdEPKdPdEvbiT2_lT3_lllS6_lllT4_lllii
		.amdhsa_group_segment_fixed_size 6400
		.amdhsa_private_segment_fixed_size 0
		.amdhsa_kernarg_size 384
		.amdhsa_user_sgpr_count 6
		.amdhsa_user_sgpr_private_segment_buffer 1
		.amdhsa_user_sgpr_dispatch_ptr 0
		.amdhsa_user_sgpr_queue_ptr 0
		.amdhsa_user_sgpr_kernarg_segment_ptr 1
		.amdhsa_user_sgpr_dispatch_id 0
		.amdhsa_user_sgpr_flat_scratch_init 0
		.amdhsa_user_sgpr_kernarg_preload_length 0
		.amdhsa_user_sgpr_kernarg_preload_offset 0
		.amdhsa_user_sgpr_private_segment_size 0
		.amdhsa_uses_dynamic_stack 0
		.amdhsa_system_sgpr_private_segment_wavefront_offset 0
		.amdhsa_system_sgpr_workgroup_id_x 1
		.amdhsa_system_sgpr_workgroup_id_y 1
		.amdhsa_system_sgpr_workgroup_id_z 1
		.amdhsa_system_sgpr_workgroup_info 0
		.amdhsa_system_vgpr_workitem_id 1
		.amdhsa_next_free_vgpr 82
		.amdhsa_next_free_sgpr 37
		.amdhsa_accum_offset 84
		.amdhsa_reserve_vcc 1
		.amdhsa_reserve_flat_scratch 0
		.amdhsa_float_round_mode_32 0
		.amdhsa_float_round_mode_16_64 0
		.amdhsa_float_denorm_mode_32 3
		.amdhsa_float_denorm_mode_16_64 3
		.amdhsa_dx10_clamp 1
		.amdhsa_ieee_mode 1
		.amdhsa_fp16_overflow 0
		.amdhsa_tg_split 0
		.amdhsa_exception_fp_ieee_invalid_op 0
		.amdhsa_exception_fp_denorm_src 0
		.amdhsa_exception_fp_ieee_div_zero 0
		.amdhsa_exception_fp_ieee_overflow 0
		.amdhsa_exception_fp_ieee_underflow 0
		.amdhsa_exception_fp_ieee_inexact 0
		.amdhsa_exception_int_div_zero 0
	.end_amdhsa_kernel
	.section	.text._ZL62rocblas_symv_kernel_lower_double_buffered_non_diagonal_genericILi32ELi4ELi4E24rocblas_internal_val_ptrIdEPKdPdEvbiT2_lT3_lllS6_lllT4_lllii,"axG",@progbits,_ZL62rocblas_symv_kernel_lower_double_buffered_non_diagonal_genericILi32ELi4ELi4E24rocblas_internal_val_ptrIdEPKdPdEvbiT2_lT3_lllS6_lllT4_lllii,comdat
.Lfunc_end105:
	.size	_ZL62rocblas_symv_kernel_lower_double_buffered_non_diagonal_genericILi32ELi4ELi4E24rocblas_internal_val_ptrIdEPKdPdEvbiT2_lT3_lllS6_lllT4_lllii, .Lfunc_end105-_ZL62rocblas_symv_kernel_lower_double_buffered_non_diagonal_genericILi32ELi4ELi4E24rocblas_internal_val_ptrIdEPKdPdEvbiT2_lT3_lllS6_lllT4_lllii
                                        ; -- End function
	.section	.AMDGPU.csdata,"",@progbits
; Kernel info:
; codeLenInByte = 3564
; NumSgprs: 41
; NumVgprs: 82
; NumAgprs: 0
; TotalNumVgprs: 82
; ScratchSize: 0
; MemoryBound: 0
; FloatMode: 240
; IeeeMode: 1
; LDSByteSize: 6400 bytes/workgroup (compile time only)
; SGPRBlocks: 5
; VGPRBlocks: 10
; NumSGPRsForWavesPerEU: 41
; NumVGPRsForWavesPerEU: 82
; AccumOffset: 84
; Occupancy: 5
; WaveLimiterHint : 0
; COMPUTE_PGM_RSRC2:SCRATCH_EN: 0
; COMPUTE_PGM_RSRC2:USER_SGPR: 6
; COMPUTE_PGM_RSRC2:TRAP_HANDLER: 0
; COMPUTE_PGM_RSRC2:TGID_X_EN: 1
; COMPUTE_PGM_RSRC2:TGID_Y_EN: 1
; COMPUTE_PGM_RSRC2:TGID_Z_EN: 1
; COMPUTE_PGM_RSRC2:TIDIG_COMP_CNT: 1
; COMPUTE_PGM_RSRC3_GFX90A:ACCUM_OFFSET: 20
; COMPUTE_PGM_RSRC3_GFX90A:TG_SPLIT: 0
	.section	.text._ZL26rocblas_hemvn_kernel_lowerILb0ELi64ELi4ELi33ELi32ELi16ElPKdS1_PdEviT6_lT7_lT5_lS4_lS5_lS3_lT8_i,"axG",@progbits,_ZL26rocblas_hemvn_kernel_lowerILb0ELi64ELi4ELi33ELi32ELi16ElPKdS1_PdEviT6_lT7_lT5_lS4_lS5_lS3_lT8_i,comdat
	.globl	_ZL26rocblas_hemvn_kernel_lowerILb0ELi64ELi4ELi33ELi32ELi16ElPKdS1_PdEviT6_lT7_lT5_lS4_lS5_lS3_lT8_i ; -- Begin function _ZL26rocblas_hemvn_kernel_lowerILb0ELi64ELi4ELi33ELi32ELi16ElPKdS1_PdEviT6_lT7_lT5_lS4_lS5_lS3_lT8_i
	.p2align	8
	.type	_ZL26rocblas_hemvn_kernel_lowerILb0ELi64ELi4ELi33ELi32ELi16ElPKdS1_PdEviT6_lT7_lT5_lS4_lS5_lS3_lT8_i,@function
_ZL26rocblas_hemvn_kernel_lowerILb0ELi64ELi4ELi33ELi32ELi16ElPKdS1_PdEviT6_lT7_lT5_lS4_lS5_lS3_lT8_i: ; @_ZL26rocblas_hemvn_kernel_lowerILb0ELi64ELi4ELi33ELi32ELi16ElPKdS1_PdEviT6_lT7_lT5_lS4_lS5_lS3_lT8_i
; %bb.0:
	s_load_dwordx2 s[2:3], s[4:5], 0x84
	s_add_u32 s0, s4, 0x78
	s_addc_u32 s1, s5, 0
	s_waitcnt lgkmcnt(0)
	s_lshr_b32 s8, s2, 16
	s_and_b32 s2, s2, 0xffff
	s_and_b32 s3, s3, 0xffff
	s_mul_i32 s2, s8, s2
	s_mul_i32 s2, s2, s3
	s_cmpk_lg_i32 s2, 0x100
	s_cbranch_scc1 .LBB106_76
; %bb.1:
	s_load_dwordx16 s[12:27], s[4:5], 0x8
	s_load_dwordx8 s[36:43], s[4:5], 0x48
	s_waitcnt lgkmcnt(0)
	s_mul_i32 s3, s7, s15
	s_mul_hi_u32 s8, s7, s14
	s_mul_i32 s2, s7, s14
	s_add_i32 s3, s8, s3
	s_lshl_b64 s[2:3], s[2:3], 3
	s_mul_i32 s9, s7, s43
	s_add_u32 s2, s12, s2
	s_mul_hi_u32 s8, s7, s42
	s_addc_u32 s3, s13, s3
	s_add_i32 s9, s8, s9
	s_mul_i32 s8, s7, s42
	s_lshl_b64 s[8:9], s[8:9], 3
	s_add_u32 s8, s40, s8
	s_addc_u32 s9, s41, s9
	s_load_dwordx2 s[2:3], s[2:3], 0x0
	s_waitcnt lgkmcnt(0)
	v_cmp_eq_f64_e64 s[2:3], s[2:3], 0
	s_load_dwordx2 s[8:9], s[8:9], 0x0
	s_waitcnt lgkmcnt(0)
	v_cmp_eq_f64_e64 s[8:9], s[8:9], 1.0
	s_and_b64 s[8:9], s[2:3], s[8:9]
	s_and_b64 vcc, exec, s[8:9]
	s_cbranch_vccnz .LBB106_76
; %bb.2:
	s_and_b64 vcc, exec, s[2:3]
	s_cbranch_vccnz .LBB106_76
; %bb.3:
	s_load_dword s42, s[0:1], 0x0
	s_load_dwordx2 s[28:29], s[4:5], 0x68
	s_load_dword s33, s[4:5], 0x0
	s_mul_i32 s0, s7, s39
	s_mul_hi_u32 s1, s7, s38
	s_add_i32 s1, s1, s0
	s_mul_i32 s0, s7, s38
	s_lshl_b64 s[0:1], s[0:1], 3
	s_add_u32 s2, s24, s0
	s_addc_u32 s3, s25, s1
	s_lshl_b64 s[0:1], s[26:27], 3
	s_add_u32 s2, s2, s0
	s_addc_u32 s3, s3, s1
	s_waitcnt lgkmcnt(0)
	s_ashr_i32 s43, s33, 31
	s_lshr_b32 s1, s43, 26
	s_add_i32 s1, s33, s1
	v_and_b32_e32 v26, 0x3ff, v0
	s_lshl_b32 s26, s6, 6
	s_andn2_b32 s1, s1, 63
	s_add_i32 s0, s42, -1
	s_sub_i32 s1, s33, s1
	v_add_u32_e32 v16, s26, v26
	s_cmp_eq_u32 s6, s0
	v_ashrrev_i32_e32 v17, 31, v16
	v_bfe_u32 v72, v0, 10, 10
	s_cselect_b32 s24, s1, 0
	v_mul_lo_u32 v2, v17, s36
	v_mul_lo_u32 v3, v16, s37
	v_mad_u64_u32 v[0:1], s[0:1], v16, s36, 0
	v_add3_u32 v1, v1, v3, v2
	v_lshlrev_b64 v[0:1], 3, v[0:1]
	v_mov_b32_e32 v2, s3
	v_add_co_u32_e32 v20, vcc, s2, v0
	v_addc_co_u32_e32 v21, vcc, v2, v1, vcc
	v_cmp_ne_u32_e64 s[0:1], 0, v72
	v_cmp_eq_u32_e64 s[2:3], 0, v72
	s_and_saveexec_b64 s[4:5], s[2:3]
	s_cbranch_execz .LBB106_7
; %bb.4:
	s_cmp_eq_u32 s24, 0
	s_cselect_b64 s[8:9], -1, 0
	v_cmp_gt_i32_e32 vcc, s24, v26
	s_or_b64 s[10:11], s[8:9], vcc
	v_pk_mov_b32 v[0:1], 0, 0
	s_and_saveexec_b64 s[8:9], s[10:11]
	s_cbranch_execz .LBB106_6
; %bb.5:
	global_load_dwordx2 v[0:1], v[20:21], off
.LBB106_6:
	s_or_b64 exec, exec, s[8:9]
	v_lshlrev_b32_e32 v2, 3, v26
	s_waitcnt vmcnt(0)
	ds_write_b64 v2, v[0:1] offset:9088
.LBB106_7:
	s_or_b64 exec, exec, s[4:5]
	s_mul_i32 s4, s7, s23
	s_mul_hi_u32 s5, s7, s22
	s_add_i32 s5, s5, s4
	s_mul_i32 s4, s7, s22
	s_lshl_b64 s[4:5], s[4:5], 3
	s_add_u32 s8, s16, s4
	s_addc_u32 s9, s17, s5
	s_lshl_b64 s[4:5], s[18:19], 3
	s_add_u32 s8, s8, s4
	s_addc_u32 s9, s9, s5
	s_ashr_i32 s27, s26, 31
	v_lshl_add_u32 v27, v72, 6, v26
	s_lshl_b64 s[4:5], s[26:27], 3
	v_and_b32_e32 v0, 31, v26
	v_lshrrev_b32_e32 v10, 5, v27
	s_add_u32 s8, s8, s4
	v_mov_b32_e32 v1, 0
	s_addc_u32 s9, s9, s5
	v_mad_u64_u32 v[2:3], s[4:5], v10, s20, v[0:1]
	v_mov_b32_e32 v4, v3
	v_mad_u64_u32 v[4:5], s[4:5], v10, s21, v[4:5]
	s_mul_i32 s4, s26, s21
	s_mul_hi_u32 s5, s26, s20
	s_add_i32 s4, s5, s4
	s_mul_i32 s5, s27, s20
	s_add_i32 s5, s4, s5
	s_mul_i32 s4, s26, s20
	s_lshl_b64 s[30:31], s[4:5], 3
	v_mov_b32_e32 v3, v4
	s_add_u32 s4, s30, s8
	v_lshlrev_b64 v[22:23], 3, v[2:3]
	s_addc_u32 s5, s31, s9
	v_mov_b32_e32 v1, s5
	v_add_co_u32_e32 v2, vcc, s4, v22
	s_cmp_lg_u32 s24, 0
	v_addc_co_u32_e32 v3, vcc, v1, v23, vcc
	s_cselect_b64 s[34:35], -1, 0
	s_cmp_eq_u32 s24, 0
	s_cselect_b64 s[38:39], -1, 0
	s_and_b64 vcc, exec, s[34:35]
	s_cbranch_vccnz .LBB106_9
; %bb.8:
	s_lshl_b64 s[4:5], s[20:21], 6
	v_mov_b32_e32 v1, s5
	v_add_co_u32_e32 v4, vcc, s4, v2
	v_addc_co_u32_e32 v5, vcc, v3, v1, vcc
	global_load_dwordx2 v[6:7], v[4:5], off
	global_load_dwordx2 v[12:13], v[2:3], off
	v_add_co_u32_e32 v4, vcc, s4, v4
	v_addc_co_u32_e32 v5, vcc, v5, v1, vcc
	v_mov_b32_e32 v1, 0xc0
	v_mad_u64_u32 v[8:9], s[4:5], s20, v1, v[2:3]
	s_mul_i32 s4, s21, 0xc0
	v_add_u32_e32 v9, s4, v9
	global_load_dwordx2 v[14:15], v[8:9], off
	global_load_dwordx2 v[18:19], v[4:5], off
	v_mul_u32_u24_e32 v1, 33, v10
	v_add_lshl_u32 v1, v1, v0, 3
	s_waitcnt vmcnt(2)
	ds_write_b64 v1, v[12:13]
	ds_write_b64 v1, v[6:7] offset:2112
	s_waitcnt vmcnt(1)
	ds_write_b64 v1, v[14:15] offset:6336
	s_waitcnt vmcnt(0)
	ds_write_b64 v1, v[18:19] offset:4224
	s_cbranch_execz .LBB106_10
	s_branch .LBB106_19
.LBB106_9:
.LBB106_10:
	v_lshlrev_b32_e32 v1, 3, v0
	v_sub_co_u32_e32 v4, vcc, v2, v1
	s_ashr_i32 s25, s24, 31
	v_subbrev_co_u32_e32 v5, vcc, 0, v3, vcc
	s_lshl_b64 s[8:9], s[24:25], 3
	v_mov_b32_e32 v6, s9
	v_add_co_u32_e32 v4, vcc, s8, v4
	v_addc_co_u32_e32 v5, vcc, v5, v6, vcc
	v_add_co_u32_e32 v4, vcc, -8, v4
	v_addc_co_u32_e32 v5, vcc, -1, v5, vcc
	v_cmp_gt_i32_e32 vcc, s24, v0
	v_pk_mov_b32 v[6:7], 0, 0
	v_cndmask_b32_e32 v5, v5, v3, vcc
	v_cndmask_b32_e32 v4, v4, v2, vcc
	v_cmp_gt_i32_e64 s[4:5], s24, v10
	v_pk_mov_b32 v[8:9], v[6:7], v[6:7] op_sel:[0,1]
	s_and_saveexec_b64 s[10:11], s[4:5]
	s_cbranch_execz .LBB106_12
; %bb.11:
	global_load_dwordx2 v[8:9], v[4:5], off
.LBB106_12:
	s_or_b64 exec, exec, s[10:11]
	v_mul_u32_u24_e32 v11, 33, v10
	v_add_lshl_u32 v11, v11, v0, 3
	s_waitcnt vmcnt(0)
	ds_write_b64 v11, v[8:9]
	v_add_u32_e32 v8, 8, v10
	v_cmp_gt_i32_e64 s[4:5], s24, v8
	s_and_saveexec_b64 s[10:11], s[4:5]
	s_cbranch_execz .LBB106_14
; %bb.13:
	s_lshl_b64 s[4:5], s[20:21], 6
	v_mov_b32_e32 v7, s5
	v_add_co_u32_e64 v6, s[4:5], s4, v4
	v_addc_co_u32_e64 v7, s[4:5], v5, v7, s[4:5]
	global_load_dwordx2 v[6:7], v[6:7], off
.LBB106_14:
	s_or_b64 exec, exec, s[10:11]
	s_waitcnt vmcnt(0)
	ds_write_b64 v11, v[6:7] offset:2112
	v_add_u32_e32 v6, 16, v10
	v_cmp_gt_i32_e64 s[4:5], s24, v6
	v_pk_mov_b32 v[6:7], 0, 0
	v_pk_mov_b32 v[8:9], v[6:7], v[6:7] op_sel:[0,1]
	s_and_saveexec_b64 s[10:11], s[4:5]
	s_cbranch_execz .LBB106_16
; %bb.15:
	s_lshl_b64 s[4:5], s[20:21], 7
	v_mov_b32_e32 v9, s5
	v_add_co_u32_e64 v8, s[4:5], s4, v4
	v_addc_co_u32_e64 v9, s[4:5], v5, v9, s[4:5]
	global_load_dwordx2 v[8:9], v[8:9], off
.LBB106_16:
	s_or_b64 exec, exec, s[10:11]
	s_waitcnt vmcnt(0)
	ds_write_b64 v11, v[8:9] offset:4224
	v_add_u32_e32 v8, 24, v10
	v_cmp_gt_i32_e64 s[4:5], s24, v8
	s_and_saveexec_b64 s[10:11], s[4:5]
	s_cbranch_execz .LBB106_18
; %bb.17:
	v_mov_b32_e32 v6, 0xc0
	v_mad_u64_u32 v[6:7], s[4:5], s20, v6, v[4:5]
	s_mul_i32 s4, s21, 0xc0
	v_add_u32_e32 v7, s4, v7
	global_load_dwordx2 v[6:7], v[6:7], off
.LBB106_18:
	s_or_b64 exec, exec, s[10:11]
	v_add_co_u32_e64 v1, s[4:5], v4, v1
	v_addc_co_u32_e64 v4, s[4:5], 0, v5, s[4:5]
	v_mov_b32_e32 v5, s9
	v_subrev_co_u32_e64 v1, s[4:5], s8, v1
	v_subb_co_u32_e64 v4, s[4:5], v4, v5, s[4:5]
	v_add_co_u32_e64 v1, s[4:5], 8, v1
	v_addc_co_u32_e64 v4, s[4:5], 0, v4, s[4:5]
	v_cndmask_b32_e32 v3, v4, v3, vcc
	v_cndmask_b32_e32 v2, v1, v2, vcc
	s_waitcnt vmcnt(0)
	ds_write_b64 v11, v[6:7] offset:6336
.LBB106_19:
	v_lshlrev_b32_e32 v1, 2, v10
	v_mul_u32_u24_e32 v28, 33, v0
	v_cmp_lt_u32_e64 s[18:19], v1, v0
	v_add_lshl_u32 v30, v1, v28, 3
	s_waitcnt lgkmcnt(0)
	s_barrier
	s_and_saveexec_b64 s[4:5], s[18:19]
	s_cbranch_execz .LBB106_21
; %bb.20:
	v_mul_u32_u24_e32 v4, 0x84, v10
	v_add_lshl_u32 v4, v4, v0, 3
	ds_read_b64 v[4:5], v4
	s_waitcnt lgkmcnt(0)
	ds_write_b64 v30, v[4:5]
.LBB106_21:
	s_or_b64 exec, exec, s[4:5]
	v_or_b32_e32 v4, 1, v1
	v_cmp_lt_u32_e64 s[8:9], v4, v0
	s_and_saveexec_b64 s[4:5], s[8:9]
	s_cbranch_execz .LBB106_23
; %bb.22:
	v_mul_u32_u24_e32 v4, 33, v4
	v_add_lshl_u32 v4, v4, v0, 3
	ds_read_b64 v[4:5], v4
	s_waitcnt lgkmcnt(0)
	ds_write_b64 v30, v[4:5] offset:8
.LBB106_23:
	s_or_b64 exec, exec, s[4:5]
	v_or_b32_e32 v4, 2, v1
	v_cmp_lt_u32_e64 s[10:11], v4, v0
	s_and_saveexec_b64 s[4:5], s[10:11]
	s_cbranch_execz .LBB106_25
; %bb.24:
	v_mul_u32_u24_e32 v4, 33, v4
	v_add_lshl_u32 v4, v4, v0, 3
	ds_read_b64 v[4:5], v4
	s_waitcnt lgkmcnt(0)
	ds_write_b64 v30, v[4:5] offset:16
.LBB106_25:
	s_or_b64 exec, exec, s[4:5]
	v_or_b32_e32 v4, 3, v1
	v_cmp_lt_u32_e64 s[12:13], v4, v0
	v_mad_u32_u24 v4, v4, 33, v0
	v_lshlrev_b32_e32 v11, 3, v4
	s_and_saveexec_b64 s[4:5], s[12:13]
	s_cbranch_execz .LBB106_27
; %bb.26:
	ds_read_b64 v[4:5], v11
	s_waitcnt lgkmcnt(0)
	ds_write_b64 v30, v[4:5] offset:24
.LBB106_27:
	s_or_b64 exec, exec, s[4:5]
	v_mul_u32_u24_e32 v4, 0x84, v10
	v_add_lshl_u32 v13, v4, v0, 3
	s_waitcnt lgkmcnt(0)
	s_barrier
	v_lshlrev_b32_e32 v12, 3, v1
	ds_read_b64 v[8:9], v13
	ds_read_b128 v[4:7], v12 offset:9088
	v_add_u32_e32 v14, 0xfffffdf0, v11
	ds_read2_b64 v[32:35], v14 offset1:33
	ds_read_b128 v[36:39], v12 offset:9104
	ds_read_b64 v[24:25], v11
	v_pk_mov_b32 v[18:19], 0, 0
	v_add_lshl_u32 v29, v10, v28, 3
	s_waitcnt lgkmcnt(3)
	v_fma_f64 v[4:5], v[8:9], v[4:5], 0
	s_waitcnt lgkmcnt(2)
	v_fmac_f64_e32 v[4:5], v[32:33], v[6:7]
	s_waitcnt lgkmcnt(1)
	v_fmac_f64_e32 v[4:5], v[34:35], v[36:37]
	;; [unrolled: 2-line block ×3, first 2 shown]
	v_cmp_gt_u32_e64 s[4:5], 32, v27
	s_barrier
	ds_write_b64 v29, v[4:5]
	s_waitcnt lgkmcnt(0)
	s_barrier
	s_and_saveexec_b64 s[14:15], s[4:5]
	s_cbranch_execz .LBB106_29
; %bb.28:
	v_lshlrev_b32_e32 v1, 3, v28
	ds_read2_b64 v[4:7], v1 offset1:1
	ds_read2_b64 v[32:35], v1 offset0:2 offset1:3
	ds_read2_b64 v[36:39], v1 offset0:4 offset1:5
	s_waitcnt lgkmcnt(2)
	v_add_f64 v[8:9], v[4:5], v[6:7]
	ds_read2_b64 v[4:7], v1 offset0:6 offset1:7
	s_waitcnt lgkmcnt(2)
	v_add_f64 v[8:9], v[8:9], v[32:33]
	v_add_f64 v[8:9], v[8:9], v[34:35]
	s_waitcnt lgkmcnt(1)
	v_add_f64 v[8:9], v[8:9], v[36:37]
	v_add_f64 v[8:9], v[8:9], v[38:39]
	;; [unrolled: 3-line block ×3, first 2 shown]
.LBB106_29:
	s_or_b64 exec, exec, s[14:15]
	s_lshl_b64 s[22:23], s[20:21], 8
	v_mov_b32_e32 v1, s23
	v_add_co_u32_e32 v4, vcc, s22, v2
	v_addc_co_u32_e32 v5, vcc, v3, v1, vcc
	v_add_co_u32_e32 v2, vcc, 0x100, v4
	v_cndmask_b32_e64 v1, 0, 1, s[38:39]
	s_mov_b64 s[16:17], vcc
	v_cmp_ne_u32_e64 s[14:15], 1, v1
	s_andn2_b64 vcc, exec, s[38:39]
	v_addc_co_u32_e64 v1, s[16:17], 0, v5, s[16:17]
	s_barrier
	s_cbranch_vccnz .LBB106_31
; %bb.30:
	s_lshl_b64 s[16:17], s[20:21], 6
	v_mov_b32_e32 v3, s17
	v_add_co_u32_e32 v6, vcc, s16, v4
	v_addc_co_u32_e32 v7, vcc, v5, v3, vcc
	v_add_co_u32_e32 v8, vcc, s16, v6
	v_addc_co_u32_e32 v9, vcc, v7, v3, vcc
	v_mov_b32_e32 v3, 0xc0
	v_mad_u64_u32 v[24:25], s[16:17], s20, v3, v[4:5]
	s_mul_i32 s16, s21, 0xc0
	v_add_u32_e32 v25, s16, v25
	global_load_dwordx2 v[32:33], v[4:5], off offset:256
	global_load_dwordx2 v[34:35], v[6:7], off offset:256
	;; [unrolled: 1-line block ×4, first 2 shown]
	v_mul_u32_u24_e32 v3, 33, v10
	v_add_lshl_u32 v3, v3, v0, 3
	s_waitcnt vmcnt(3)
	ds_write_b64 v3, v[32:33]
	s_waitcnt vmcnt(2)
	ds_write_b64 v3, v[34:35] offset:2112
	s_waitcnt vmcnt(1)
	ds_write_b64 v3, v[36:37] offset:4224
	;; [unrolled: 2-line block ×3, first 2 shown]
	s_cbranch_execz .LBB106_32
	s_branch .LBB106_41
.LBB106_31:
.LBB106_32:
	v_lshlrev_b32_e32 v3, 3, v0
	v_sub_co_u32_e32 v5, vcc, v2, v3
	s_ashr_i32 s25, s24, 31
	v_subbrev_co_u32_e32 v6, vcc, 0, v1, vcc
	s_lshl_b64 s[38:39], s[24:25], 3
	v_mov_b32_e32 v7, s39
	v_add_co_u32_e32 v5, vcc, s38, v5
	v_or_b32_e32 v4, 32, v0
	v_addc_co_u32_e32 v6, vcc, v6, v7, vcc
	v_add_co_u32_e32 v7, vcc, 0xfffffef8, v5
	v_cmp_gt_i32_e64 s[16:17], s24, v4
	v_addc_co_u32_e32 v5, vcc, -1, v6, vcc
	v_cndmask_b32_e64 v4, v7, v2, s[16:17]
	s_sub_i32 s25, s24, 32
	v_pk_mov_b32 v[6:7], 0, 0
	v_cndmask_b32_e64 v5, v5, v1, s[16:17]
	v_cmp_gt_i32_e32 vcc, s25, v10
	v_pk_mov_b32 v[8:9], v[6:7], v[6:7] op_sel:[0,1]
	s_and_saveexec_b64 s[40:41], vcc
	s_cbranch_execz .LBB106_34
; %bb.33:
	global_load_dwordx2 v[8:9], v[4:5], off
.LBB106_34:
	s_or_b64 exec, exec, s[40:41]
	v_mul_u32_u24_e32 v15, 33, v10
	v_add_lshl_u32 v15, v15, v0, 3
	s_waitcnt vmcnt(0)
	ds_write_b64 v15, v[8:9]
	v_add_u32_e32 v8, 8, v10
	v_cmp_gt_i32_e32 vcc, s25, v8
	s_and_saveexec_b64 s[40:41], vcc
	s_cbranch_execz .LBB106_36
; %bb.35:
	s_lshl_b64 s[44:45], s[20:21], 6
	v_mov_b32_e32 v7, s45
	v_add_co_u32_e32 v6, vcc, s44, v4
	v_addc_co_u32_e32 v7, vcc, v5, v7, vcc
	global_load_dwordx2 v[6:7], v[6:7], off
.LBB106_36:
	s_or_b64 exec, exec, s[40:41]
	s_waitcnt vmcnt(0)
	ds_write_b64 v15, v[6:7] offset:2112
	v_add_u32_e32 v6, 16, v10
	v_cmp_gt_i32_e32 vcc, s25, v6
	v_pk_mov_b32 v[6:7], 0, 0
	v_pk_mov_b32 v[8:9], v[6:7], v[6:7] op_sel:[0,1]
	s_and_saveexec_b64 s[40:41], vcc
	s_cbranch_execz .LBB106_38
; %bb.37:
	s_lshl_b64 s[44:45], s[20:21], 7
	v_mov_b32_e32 v9, s45
	v_add_co_u32_e32 v8, vcc, s44, v4
	v_addc_co_u32_e32 v9, vcc, v5, v9, vcc
	global_load_dwordx2 v[8:9], v[8:9], off
.LBB106_38:
	s_or_b64 exec, exec, s[40:41]
	s_waitcnt vmcnt(0)
	ds_write_b64 v15, v[8:9] offset:4224
	v_add_u32_e32 v8, 24, v10
	v_cmp_gt_i32_e32 vcc, s25, v8
	s_and_saveexec_b64 s[40:41], vcc
	s_cbranch_execz .LBB106_40
; %bb.39:
	v_mov_b32_e32 v6, 0xc0
	v_mad_u64_u32 v[6:7], s[44:45], s20, v6, v[4:5]
	s_mul_i32 s25, s21, 0xc0
	v_add_u32_e32 v7, s25, v7
	global_load_dwordx2 v[6:7], v[6:7], off
.LBB106_40:
	s_or_b64 exec, exec, s[40:41]
	v_add_co_u32_e32 v3, vcc, v4, v3
	v_addc_co_u32_e32 v4, vcc, 0, v5, vcc
	v_mov_b32_e32 v5, s39
	v_subrev_co_u32_e32 v3, vcc, s38, v3
	v_subb_co_u32_e32 v4, vcc, v4, v5, vcc
	v_add_co_u32_e32 v3, vcc, 0x108, v3
	v_addc_co_u32_e32 v4, vcc, 0, v4, vcc
	v_cndmask_b32_e64 v1, v4, v1, s[16:17]
	v_cndmask_b32_e64 v2, v3, v2, s[16:17]
	s_waitcnt vmcnt(0)
	ds_write_b64 v15, v[6:7] offset:6336
.LBB106_41:
	v_add_u32_e32 v12, 0x2380, v12
	s_lshl_b64 s[16:17], s[20:21], 5
	s_waitcnt lgkmcnt(0)
	s_barrier
	s_and_saveexec_b64 s[38:39], s[18:19]
	s_cbranch_execnz .LBB106_50
; %bb.42:
	s_or_b64 exec, exec, s[38:39]
	s_and_saveexec_b64 s[18:19], s[8:9]
	s_cbranch_execnz .LBB106_51
.LBB106_43:
	s_or_b64 exec, exec, s[18:19]
	s_and_saveexec_b64 s[8:9], s[10:11]
	s_cbranch_execnz .LBB106_52
.LBB106_44:
	s_or_b64 exec, exec, s[8:9]
	s_and_saveexec_b64 s[8:9], s[12:13]
	s_cbranch_execz .LBB106_46
.LBB106_45:
	ds_read_b64 v[4:5], v11
	s_waitcnt lgkmcnt(0)
	ds_write_b64 v30, v[4:5] offset:24
.LBB106_46:
	s_or_b64 exec, exec, s[8:9]
	s_waitcnt lgkmcnt(0)
	s_barrier
	ds_read_b64 v[8:9], v13
	ds_read_b128 v[4:7], v12 offset:256
	ds_read2_b64 v[32:35], v14 offset1:33
	ds_read_b128 v[36:39], v12 offset:272
	ds_read_b64 v[14:15], v11
	v_cmp_eq_u32_e64 s[10:11], 1, v10
	s_waitcnt lgkmcnt(3)
	v_fma_f64 v[4:5], v[8:9], v[4:5], 0
	s_waitcnt lgkmcnt(2)
	v_fmac_f64_e32 v[4:5], v[32:33], v[6:7]
	s_waitcnt lgkmcnt(1)
	v_fmac_f64_e32 v[4:5], v[34:35], v[36:37]
	;; [unrolled: 2-line block ×3, first 2 shown]
	s_barrier
	ds_write_b64 v29, v[4:5]
	s_waitcnt lgkmcnt(0)
	s_barrier
	s_and_saveexec_b64 s[8:9], s[10:11]
	s_cbranch_execz .LBB106_48
; %bb.47:
	v_lshlrev_b32_e32 v3, 3, v28
	ds_read2_b64 v[4:7], v3 offset1:1
	ds_read2_b64 v[32:35], v3 offset0:2 offset1:3
	ds_read2_b64 v[36:39], v3 offset0:4 offset1:5
	s_waitcnt lgkmcnt(2)
	v_add_f64 v[8:9], v[4:5], v[6:7]
	ds_read2_b64 v[4:7], v3 offset0:6 offset1:7
	s_waitcnt lgkmcnt(2)
	v_add_f64 v[8:9], v[8:9], v[32:33]
	v_add_f64 v[8:9], v[8:9], v[34:35]
	s_waitcnt lgkmcnt(1)
	v_add_f64 v[8:9], v[8:9], v[36:37]
	v_add_f64 v[8:9], v[8:9], v[38:39]
	s_waitcnt lgkmcnt(0)
	v_add_f64 v[4:5], v[8:9], v[4:5]
	v_add_f64 v[18:19], v[4:5], v[6:7]
.LBB106_48:
	s_or_b64 exec, exec, s[8:9]
	s_lshl_b64 s[8:9], s[16:17], 3
	v_mov_b32_e32 v3, s9
	v_subrev_co_u32_e64 v24, s[8:9], s8, v2
	s_and_b64 vcc, exec, s[14:15]
	v_subb_co_u32_e64 v25, s[8:9], v1, v3, s[8:9]
	s_barrier
	s_cbranch_vccnz .LBB106_53
; %bb.49:
	s_lshl_b64 s[8:9], s[20:21], 6
	v_mov_b32_e32 v1, s9
	v_add_co_u32_e32 v2, vcc, s8, v24
	v_addc_co_u32_e32 v3, vcc, v25, v1, vcc
	v_add_co_u32_e32 v4, vcc, s8, v2
	v_addc_co_u32_e32 v5, vcc, v3, v1, vcc
	v_mov_b32_e32 v1, 0xc0
	v_mad_u64_u32 v[6:7], s[8:9], s20, v1, v[24:25]
	s_mul_i32 s8, s21, 0xc0
	v_add_u32_e32 v7, s8, v7
	global_load_dwordx2 v[14:15], v[24:25], off
	global_load_dwordx2 v[32:33], v[2:3], off
	;; [unrolled: 1-line block ×4, first 2 shown]
	v_mad_u32_u24 v8, v10, 33, v0
	v_add_u32_e32 v6, 8, v10
	v_add_u32_e32 v7, 16, v10
	;; [unrolled: 1-line block ×3, first 2 shown]
	v_lshlrev_b32_e32 v1, 3, v8
	v_add_u32_e32 v13, 0x108, v8
	v_add_u32_e32 v5, 0x210, v8
	;; [unrolled: 1-line block ×3, first 2 shown]
	s_waitcnt vmcnt(3)
	ds_write_b64 v1, v[14:15]
	s_waitcnt vmcnt(2)
	ds_write_b64 v1, v[32:33] offset:2112
	s_waitcnt vmcnt(1)
	ds_write_b64 v1, v[34:35] offset:4224
	s_waitcnt vmcnt(0)
	ds_write_b64 v1, v[36:37] offset:6336
	s_cbranch_execz .LBB106_54
	s_branch .LBB106_63
.LBB106_50:
	ds_read_b64 v[4:5], v13
	s_waitcnt lgkmcnt(0)
	ds_write_b64 v30, v[4:5]
	s_or_b64 exec, exec, s[38:39]
	s_and_saveexec_b64 s[18:19], s[8:9]
	s_cbranch_execz .LBB106_43
.LBB106_51:
	ds_read_b64 v[4:5], v14
	s_waitcnt lgkmcnt(0)
	ds_write_b64 v30, v[4:5] offset:8
	s_or_b64 exec, exec, s[18:19]
	s_and_saveexec_b64 s[8:9], s[10:11]
	s_cbranch_execz .LBB106_44
.LBB106_52:
	ds_read_b64 v[4:5], v14 offset:264
	s_waitcnt lgkmcnt(0)
	ds_write_b64 v30, v[4:5] offset:16
	s_or_b64 exec, exec, s[8:9]
	s_and_saveexec_b64 s[8:9], s[12:13]
	s_cbranch_execnz .LBB106_45
	s_branch .LBB106_46
.LBB106_53:
                                        ; implicit-def: $vgpr8
                                        ; implicit-def: $vgpr6
                                        ; implicit-def: $vgpr13
                                        ; implicit-def: $vgpr7
                                        ; implicit-def: $vgpr5
                                        ; implicit-def: $vgpr4
                                        ; implicit-def: $vgpr11
.LBB106_54:
	v_lshlrev_b32_e32 v9, 3, v0
	v_sub_co_u32_e32 v2, vcc, v24, v9
	s_ashr_i32 s25, s24, 31
	v_subbrev_co_u32_e32 v3, vcc, 0, v25, vcc
	s_lshl_b64 s[12:13], s[24:25], 3
	v_mov_b32_e32 v4, s13
	v_add_co_u32_e32 v2, vcc, s12, v2
	v_addc_co_u32_e32 v3, vcc, v3, v4, vcc
	v_or_b32_e32 v1, 32, v0
	v_add_co_u32_e32 v2, vcc, 0xfffffef8, v2
	v_addc_co_u32_e32 v3, vcc, -1, v3, vcc
	v_cmp_gt_i32_e64 s[8:9], s24, v1
	v_pk_mov_b32 v[4:5], 0, 0
	v_cndmask_b32_e64 v3, v3, v25, s[8:9]
	v_cndmask_b32_e64 v2, v2, v24, s[8:9]
	v_cmp_gt_i32_e32 vcc, s24, v10
	v_pk_mov_b32 v[6:7], v[4:5], v[4:5] op_sel:[0,1]
	s_and_saveexec_b64 s[14:15], vcc
	s_cbranch_execz .LBB106_56
; %bb.55:
	global_load_dwordx2 v[6:7], v[2:3], off
.LBB106_56:
	s_or_b64 exec, exec, s[14:15]
	v_mad_u32_u24 v8, v10, 33, v0
	v_lshlrev_b32_e32 v14, 3, v8
	s_waitcnt vmcnt(0)
	ds_write_b64 v14, v[6:7]
	v_add_u32_e32 v6, 8, v10
	v_cmp_gt_i32_e32 vcc, s24, v6
	s_and_saveexec_b64 s[14:15], vcc
	s_cbranch_execz .LBB106_58
; %bb.57:
	s_lshl_b64 s[16:17], s[20:21], 6
	v_mov_b32_e32 v1, s17
	v_add_co_u32_e32 v0, vcc, s16, v2
	v_addc_co_u32_e32 v1, vcc, v3, v1, vcc
	global_load_dwordx2 v[4:5], v[0:1], off
.LBB106_58:
	s_or_b64 exec, exec, s[14:15]
	v_add_u32_e32 v7, 16, v10
	v_pk_mov_b32 v[0:1], 0, 0
	s_waitcnt vmcnt(0)
	ds_write_b64 v14, v[4:5] offset:2112
	v_cmp_gt_i32_e32 vcc, s24, v7
	v_pk_mov_b32 v[4:5], v[0:1], v[0:1] op_sel:[0,1]
	s_and_saveexec_b64 s[14:15], vcc
	s_cbranch_execz .LBB106_60
; %bb.59:
	s_lshl_b64 s[16:17], s[20:21], 7
	v_mov_b32_e32 v5, s17
	v_add_co_u32_e32 v4, vcc, s16, v2
	v_addc_co_u32_e32 v5, vcc, v3, v5, vcc
	global_load_dwordx2 v[4:5], v[4:5], off
.LBB106_60:
	s_or_b64 exec, exec, s[14:15]
	s_waitcnt vmcnt(0)
	ds_write_b64 v14, v[4:5] offset:4224
	v_add_u32_e32 v4, 24, v10
	v_cmp_gt_i32_e32 vcc, s24, v4
	s_and_saveexec_b64 s[14:15], vcc
	s_cbranch_execz .LBB106_62
; %bb.61:
	v_mov_b32_e32 v0, 0xc0
	v_mad_u64_u32 v[0:1], s[16:17], s20, v0, v[2:3]
	s_mul_i32 s16, s21, 0xc0
	v_add_u32_e32 v1, s16, v1
	global_load_dwordx2 v[0:1], v[0:1], off
.LBB106_62:
	s_or_b64 exec, exec, s[14:15]
	s_waitcnt vmcnt(0)
	ds_write_b64 v14, v[0:1] offset:6336
	v_add_co_u32_e32 v0, vcc, v2, v9
	v_addc_co_u32_e32 v1, vcc, 0, v3, vcc
	v_mov_b32_e32 v2, s13
	v_subrev_co_u32_e32 v0, vcc, s12, v0
	v_subb_co_u32_e32 v1, vcc, v1, v2, vcc
	v_add_co_u32_e32 v0, vcc, 0x108, v0
	v_addc_co_u32_e32 v1, vcc, 0, v1, vcc
	v_add_u32_e32 v13, 0x108, v8
	v_add_u32_e32 v5, 0x210, v8
	;; [unrolled: 1-line block ×3, first 2 shown]
	v_cndmask_b32_e64 v25, v1, v25, s[8:9]
	v_cndmask_b32_e64 v24, v0, v24, s[8:9]
.LBB106_63:
	v_lshlrev_b32_e32 v0, 3, v8
	s_waitcnt lgkmcnt(0)
	s_barrier
	v_lshlrev_b32_e32 v1, 3, v10
	v_lshlrev_b32_e32 v2, 3, v13
	;; [unrolled: 1-line block ×3, first 2 shown]
	ds_read_b64 v[32:33], v0
	ds_read_b64 v[34:35], v1 offset:9088
	ds_read_b64 v[36:37], v2
	ds_read_b64 v[38:39], v3 offset:9088
	v_lshlrev_b32_e32 v0, 3, v5
	v_lshlrev_b32_e32 v1, 3, v7
	v_lshlrev_b32_e32 v2, 3, v11
	v_lshlrev_b32_e32 v3, 3, v4
	ds_read_b64 v[40:41], v0
	ds_read_b64 v[42:43], v1 offset:9088
	ds_read_b64 v[44:45], v2
	ds_read_b64 v[46:47], v3 offset:9088
	ds_read_b128 v[8:11], v12 offset:256
	ds_read_b128 v[0:3], v12 offset:272
	ds_read2_b64 v[12:15], v30 offset1:1
	ds_read2_b64 v[4:7], v30 offset0:2 offset1:3
	s_waitcnt lgkmcnt(10)
	v_fma_f64 v[30:31], v[32:33], v[34:35], 0
	s_waitcnt lgkmcnt(8)
	v_fmac_f64_e32 v[30:31], v[36:37], v[38:39]
	s_waitcnt lgkmcnt(6)
	v_fmac_f64_e32 v[30:31], v[40:41], v[42:43]
	;; [unrolled: 2-line block ×3, first 2 shown]
	s_waitcnt lgkmcnt(0)
	s_barrier
	ds_write_b64 v29, v[30:31]
	s_waitcnt lgkmcnt(0)
	s_barrier
	s_and_saveexec_b64 s[8:9], s[10:11]
	s_cbranch_execz .LBB106_65
; %bb.64:
	v_lshlrev_b32_e32 v42, 3, v28
	ds_read2_b64 v[30:33], v42 offset1:1
	ds_read2_b64 v[34:37], v42 offset0:2 offset1:3
	ds_read2_b64 v[38:41], v42 offset0:4 offset1:5
	s_waitcnt lgkmcnt(2)
	v_add_f64 v[18:19], v[18:19], v[30:31]
	v_add_f64 v[18:19], v[18:19], v[32:33]
	ds_read2_b64 v[30:33], v42 offset0:6 offset1:7
	s_waitcnt lgkmcnt(2)
	v_add_f64 v[18:19], v[18:19], v[34:35]
	v_add_f64 v[18:19], v[18:19], v[36:37]
	s_waitcnt lgkmcnt(1)
	v_add_f64 v[18:19], v[18:19], v[38:39]
	v_add_f64 v[18:19], v[18:19], v[40:41]
	;; [unrolled: 3-line block ×3, first 2 shown]
.LBB106_65:
	s_or_b64 exec, exec, s[8:9]
	v_fma_f64 v[8:9], v[12:13], v[8:9], 0
	v_fmac_f64_e32 v[8:9], v[14:15], v[10:11]
	v_fmac_f64_e32 v[8:9], v[4:5], v[0:1]
	;; [unrolled: 1-line block ×3, first 2 shown]
	s_barrier
	ds_write_b64 v29, v[8:9]
	s_waitcnt lgkmcnt(0)
	s_barrier
	s_and_saveexec_b64 s[8:9], s[4:5]
	s_cbranch_execz .LBB106_67
; %bb.66:
	v_lshlrev_b32_e32 v14, 3, v28
	ds_read2_b64 v[0:3], v14 offset1:1
	ds_read2_b64 v[4:7], v14 offset0:2 offset1:3
	ds_read2_b64 v[8:11], v14 offset0:4 offset1:5
	s_waitcnt lgkmcnt(2)
	v_add_f64 v[0:1], v[18:19], v[0:1]
	v_add_f64 v[12:13], v[0:1], v[2:3]
	ds_read2_b64 v[0:3], v14 offset0:6 offset1:7
	s_waitcnt lgkmcnt(2)
	v_add_f64 v[4:5], v[12:13], v[4:5]
	v_add_f64 v[4:5], v[4:5], v[6:7]
	s_waitcnt lgkmcnt(1)
	v_add_f64 v[4:5], v[4:5], v[8:9]
	v_add_f64 v[4:5], v[4:5], v[10:11]
	;; [unrolled: 3-line block ×3, first 2 shown]
.LBB106_67:
	s_or_b64 exec, exec, s[8:9]
	s_mul_hi_u32 s4, s33, s7
	s_mul_i32 s43, s43, s7
	s_add_i32 s4, s4, s43
	s_mul_i32 s7, s33, s7
	s_mul_i32 s4, s4, s42
	s_mul_hi_u32 s5, s7, s42
	s_add_i32 s5, s5, s4
	s_mul_i32 s4, s7, s42
	s_lshl_b64 s[4:5], s[4:5], 3
	s_add_u32 s7, s28, s4
	s_mul_i32 s4, s6, s33
	s_addc_u32 s8, s29, s5
	s_ashr_i32 s5, s4, 31
	s_lshl_b64 s[4:5], s[4:5], 3
	s_add_u32 s7, s7, s4
	v_cmp_le_i32_e32 vcc, s24, v26
	s_addc_u32 s28, s8, s5
	s_and_b64 vcc, s[34:35], vcc
	s_cmp_lt_i32 s6, 1
	v_lshlrev_b32_e32 v73, 3, v26
	s_barrier
	s_cbranch_scc1 .LBB106_74
; %bb.68:
	s_mul_i32 s4, s26, s37
	s_mul_hi_u32 s5, s26, s36
	s_add_i32 s4, s5, s4
	s_mul_i32 s5, s27, s36
	s_add_i32 s5, s4, s5
	s_mul_i32 s4, s26, s36
	s_lshl_b64 s[4:5], s[4:5], 3
	v_mov_b32_e32 v0, s5
	v_subrev_co_u32_e64 v74, s[4:5], s4, v20
	v_subb_co_u32_e64 v75, s[4:5], v21, v0, s[4:5]
	v_mov_b32_e32 v0, s31
	v_subrev_co_u32_e64 v1, s[4:5], s30, v24
	v_subb_co_u32_e64 v0, s[4:5], v25, v0, s[4:5]
	v_lshlrev_b32_e32 v3, 2, v72
	v_sub_co_u32_e64 v6, s[4:5], v1, v22
	v_subb_co_u32_e64 v7, s[4:5], v0, v23, s[4:5]
	v_mad_u64_u32 v[0:1], s[4:5], v3, s20, 0
	v_mov_b32_e32 v2, v1
	v_mad_u64_u32 v[2:3], s[4:5], v3, s21, v[2:3]
	v_mov_b32_e32 v1, v2
	v_lshlrev_b64 v[0:1], 3, v[0:1]
	v_add_co_u32_e64 v0, s[4:5], v6, v0
	v_addc_co_u32_e64 v1, s[4:5], v7, v1, s[4:5]
	s_ashr_i32 s25, s24, 31
	s_lshl_b64 s[4:5], s[24:25], 3
	v_mov_b32_e32 v2, s5
	v_add_co_u32_e64 v3, s[4:5], s4, v0
	v_addc_co_u32_e64 v2, s[4:5], v1, v2, s[4:5]
	s_movk_i32 s4, 0xfef8
	v_add_co_u32_e64 v3, s[4:5], s4, v3
	v_addc_co_u32_e64 v2, s[4:5], -1, v2, s[4:5]
	v_add_co_u32_e64 v0, s[4:5], v0, v73
	v_addc_co_u32_e64 v1, s[4:5], 0, v1, s[4:5]
	s_movk_i32 s4, 0xff00
	v_add_co_u32_e64 v0, s[4:5], s4, v0
	v_addc_co_u32_e64 v1, s[4:5], -1, v1, s[4:5]
	v_cndmask_b32_e32 v10, v0, v3, vcc
	v_and_b32_e32 v0, 48, v26
	v_and_b32_e32 v4, 15, v26
	v_cndmask_b32_e32 v11, v1, v2, vcc
	v_lshlrev_b32_e32 v1, 3, v0
	s_movk_i32 s8, 0x218
	v_lshrrev_b32_e32 v5, 4, v27
	v_mad_u32_u24 v78, v4, s8, v1
	v_or_b32_e32 v1, 0x78, v73
	v_mad_u32_u24 v79, v4, s8, v1
	v_lshlrev_b32_e32 v1, 5, v5
	v_mad_u32_u24 v80, v4, s8, v1
	v_mov_b32_e32 v1, 0x2180
	v_lshl_add_u32 v81, v72, 5, v1
	s_movk_i32 s9, 0x860
	v_lshlrev_b32_e32 v1, 3, v5
	v_mad_u32_u24 v82, v72, s9, v73
	v_mad_u32_u24 v83, v4, s8, v1
	s_mul_i32 s8, s21, 24
	s_mul_hi_u32 s9, s20, 24
	s_add_i32 s8, s9, s8
	s_mul_i32 s9, s21, 0x90
	s_mul_hi_u32 s16, s20, 0x90
	s_add_i32 s9, s16, s9
	;; [unrolled: 3-line block ×10, first 2 shown]
	s_mul_i32 s16, s21, 0x88
	s_mul_hi_u32 s17, s20, 0x88
	s_lshl_b64 s[10:11], s[20:21], 3
	s_lshl_b64 s[14:15], s[20:21], 4
	s_add_i32 s45, s17, s16
	s_lshl_b64 s[16:17], s[20:21], 7
	v_mov_b32_e32 v9, 0
	v_add_u32_e32 v76, 0x2180, v73
	v_add_u32_e32 v77, 0x2380, v73
	v_cmp_gt_u32_e64 s[4:5], 64, v27
	s_lshl_b64 s[12:13], s[20:21], 9
	s_mul_i32 s24, s20, 24
	s_mul_i32 s25, s20, 0x90
	;; [unrolled: 1-line block ×11, first 2 shown]
	v_or_b32_e32 v84, v0, v4
	s_mov_b32 s20, 0
	v_mov_b32_e32 v85, s11
	v_mov_b32_e32 v86, s15
	v_mov_b32_e32 v87, s8
	v_mov_b32_e32 v88, s17
	v_mov_b32_e32 v89, s45
	v_mov_b32_e32 v90, s9
	v_mov_b32_e32 v91, s18
	v_mov_b32_e32 v92, s23
	v_mov_b32_e32 v93, s44
	v_mov_b32_e32 v94, s19
	v_mov_b32_e32 v95, s39
	v_mov_b32_e32 v96, s43
	v_mov_b32_e32 v97, s42
	v_mov_b32_e32 v98, s40
	v_mov_b32_e32 v99, s41
	s_branch .LBB106_70
.LBB106_69:                             ;   in Loop: Header=BB106_70 Depth=1
	s_or_b64 exec, exec, s[18:19]
	v_fmac_f64_e32 v[18:19], v[12:13], v[24:25]
	v_fmac_f64_e32 v[18:19], v[14:15], v[26:27]
	;; [unrolled: 1-line block ×15, first 2 shown]
	v_mov_b32_e32 v0, s13
	s_add_i32 s20, s20, 64
	s_add_i32 s6, s6, -1
	v_add_co_u32_e64 v10, s[8:9], s12, v10
	v_fmac_f64_e32 v[18:19], v[64:65], v[6:7]
	s_cmp_eq_u32 s6, 0
	v_addc_co_u32_e64 v11, s[8:9], v11, v0, s[8:9]
	s_barrier
	s_cbranch_scc1 .LBB106_74
.LBB106_70:                             ; =>This Inner Loop Header: Depth=1
	s_and_saveexec_b64 s[18:19], s[2:3]
	s_cbranch_execz .LBB106_72
; %bb.71:                               ;   in Loop: Header=BB106_70 Depth=1
	s_mul_i32 s8, s20, s37
	s_mul_hi_u32 s9, s20, s36
	s_add_i32 s9, s9, s8
	s_mul_i32 s8, s20, s36
	s_lshl_b64 s[8:9], s[8:9], 3
	v_mov_b32_e32 v1, s9
	v_add_co_u32_e64 v0, s[8:9], s8, v74
	v_addc_co_u32_e64 v1, s[8:9], v75, v1, s[8:9]
	global_load_dwordx2 v[0:1], v[0:1], off
	s_waitcnt vmcnt(0)
	ds_write_b64 v76, v[0:1]
.LBB106_72:                             ;   in Loop: Header=BB106_70 Depth=1
	s_or_b64 exec, exec, s[18:19]
	v_add_co_u32_e64 v0, s[8:9], s10, v10
	v_addc_co_u32_e64 v1, s[8:9], v11, v85, s[8:9]
	v_add_co_u32_e64 v2, s[8:9], s14, v10
	s_waitcnt lgkmcnt(0)
	s_barrier
	global_load_dwordx2 v[12:13], v[10:11], off
	v_addc_co_u32_e64 v3, s[8:9], v11, v86, s[8:9]
	global_load_dwordx2 v[14:15], v[0:1], off
	global_load_dwordx2 v[20:21], v[2:3], off
	v_add_co_u32_e64 v0, s[8:9], s24, v10
	v_addc_co_u32_e64 v1, s[8:9], v11, v87, s[8:9]
	global_load_dwordx2 v[22:23], v[0:1], off
	ds_read_b64 v[0:1], v77
	ds_read_b64 v[24:25], v81
	v_add_co_u32_e64 v40, s[8:9], s16, v10
	v_addc_co_u32_e64 v41, s[8:9], v11, v88, s[8:9]
	v_add_co_u32_e64 v42, s[8:9], s38, v10
	v_addc_co_u32_e64 v43, s[8:9], v11, v89, s[8:9]
	v_add_co_u32_e64 v44, s[8:9], s25, v10
	v_addc_co_u32_e64 v45, s[8:9], v11, v90, s[8:9]
	v_add_co_u32_e64 v46, s[8:9], s26, v10
	v_addc_co_u32_e64 v47, s[8:9], v11, v91, s[8:9]
	v_add_co_u32_e64 v56, s[8:9], s22, v10
	v_addc_co_u32_e64 v57, s[8:9], v11, v92, s[8:9]
	v_add_co_u32_e64 v58, s[8:9], s35, v10
	v_addc_co_u32_e64 v59, s[8:9], v11, v93, s[8:9]
	v_add_co_u32_e64 v60, s[8:9], s27, v10
	v_addc_co_u32_e64 v61, s[8:9], v11, v94, s[8:9]
	v_add_co_u32_e64 v62, s[8:9], s29, v10
	v_addc_co_u32_e64 v63, s[8:9], v11, v95, s[8:9]
	v_add_co_u32_e64 v116, s[8:9], s34, v10
	v_addc_co_u32_e64 v117, s[8:9], v11, v96, s[8:9]
	v_add_co_u32_e64 v118, s[8:9], s33, v10
	v_addc_co_u32_e64 v119, s[8:9], v11, v97, s[8:9]
	v_add_co_u32_e64 v120, s[8:9], s30, v10
	v_addc_co_u32_e64 v121, s[8:9], v11, v98, s[8:9]
	v_add_co_u32_e64 v122, s[8:9], s31, v10
	v_addc_co_u32_e64 v123, s[8:9], v11, v99, s[8:9]
	s_waitcnt vmcnt(3) lgkmcnt(1)
	v_mul_f64 v[2:3], v[12:13], v[0:1]
	ds_write_b64 v82, v[2:3]
	s_waitcnt vmcnt(2)
	v_mul_f64 v[2:3], v[14:15], v[0:1]
	s_waitcnt vmcnt(1)
	v_mul_f64 v[4:5], v[20:21], v[0:1]
	ds_read_b64 v[26:27], v81 offset:8
	ds_write_b64 v82, v[2:3] offset:536
	ds_read_b64 v[28:29], v81 offset:16
	ds_write_b64 v82, v[4:5] offset:1072
	s_waitcnt vmcnt(0)
	v_mul_f64 v[0:1], v[22:23], v[0:1]
	ds_read_b64 v[30:31], v81 offset:24
	ds_write_b64 v82, v[0:1] offset:1608
	s_waitcnt lgkmcnt(0)
	s_barrier
	ds_read2_b64 v[4:7], v80 offset1:1
	ds_read2_b64 v[0:3], v80 offset0:2 offset1:3
	s_waitcnt lgkmcnt(0)
	s_barrier
	global_load_dwordx2 v[38:39], v[40:41], off
	global_load_dwordx2 v[34:35], v[42:43], off
	;; [unrolled: 1-line block ×4, first 2 shown]
	ds_read_b64 v[42:43], v77
	ds_read_b64 v[40:41], v81 offset:128
	v_add_f64 v[4:5], v[4:5], 0
	v_add_f64 v[4:5], v[4:5], v[6:7]
	;; [unrolled: 1-line block ×3, first 2 shown]
	s_waitcnt vmcnt(3) lgkmcnt(1)
	v_mul_f64 v[44:45], v[38:39], v[42:43]
	s_waitcnt vmcnt(2)
	v_mul_f64 v[46:47], v[34:35], v[42:43]
	ds_write_b64 v82, v[44:45]
	s_waitcnt vmcnt(1)
	v_mul_f64 v[48:49], v[32:33], v[42:43]
	s_waitcnt vmcnt(0)
	v_mul_f64 v[50:51], v[36:37], v[42:43]
	ds_read_b64 v[42:43], v81 offset:136
	ds_write_b64 v82, v[46:47] offset:536
	ds_read_b64 v[44:45], v81 offset:144
	ds_write_b64 v82, v[48:49] offset:1072
	;; [unrolled: 2-line block ×3, first 2 shown]
	s_waitcnt lgkmcnt(0)
	s_barrier
	ds_read2_b64 v[100:103], v80 offset1:1
	ds_read2_b64 v[104:107], v80 offset0:2 offset1:3
	s_waitcnt lgkmcnt(0)
	s_barrier
	global_load_dwordx2 v[54:55], v[56:57], off
	global_load_dwordx2 v[50:51], v[58:59], off
	;; [unrolled: 1-line block ×4, first 2 shown]
	ds_read_b64 v[58:59], v77
	ds_read_b64 v[56:57], v81 offset:256
	s_waitcnt vmcnt(3) lgkmcnt(1)
	v_mul_f64 v[60:61], v[54:55], v[58:59]
	s_waitcnt vmcnt(2)
	v_mul_f64 v[62:63], v[50:51], v[58:59]
	ds_write_b64 v82, v[60:61]
	s_waitcnt vmcnt(1)
	v_mul_f64 v[64:65], v[48:49], v[58:59]
	s_waitcnt vmcnt(0)
	v_mul_f64 v[66:67], v[52:53], v[58:59]
	ds_read_b64 v[58:59], v81 offset:264
	ds_write_b64 v82, v[62:63] offset:536
	ds_read_b64 v[60:61], v81 offset:272
	ds_write_b64 v82, v[64:65] offset:1072
	;; [unrolled: 2-line block ×3, first 2 shown]
	s_waitcnt lgkmcnt(0)
	s_barrier
	ds_read2_b64 v[108:111], v80 offset1:1
	ds_read2_b64 v[112:115], v80 offset0:2 offset1:3
	s_waitcnt lgkmcnt(0)
	s_barrier
	global_load_dwordx2 v[70:71], v[116:117], off
	global_load_dwordx2 v[68:69], v[118:119], off
	;; [unrolled: 1-line block ×4, first 2 shown]
	v_add_f64 v[116:117], v[0:1], v[2:3]
	v_add_f64 v[0:1], v[100:101], 0
	v_add_f64 v[0:1], v[0:1], v[102:103]
	v_add_f64 v[0:1], v[0:1], v[104:105]
	v_add_f64 v[118:119], v[0:1], v[106:107]
	ds_read_b64 v[2:3], v77
	ds_read_b64 v[0:1], v81 offset:384
	v_add_f64 v[4:5], v[108:109], 0
	v_add_f64 v[4:5], v[4:5], v[110:111]
	;; [unrolled: 1-line block ×4, first 2 shown]
	s_waitcnt vmcnt(3) lgkmcnt(1)
	v_mul_f64 v[4:5], v[70:71], v[2:3]
	s_waitcnt vmcnt(2)
	v_mul_f64 v[6:7], v[68:69], v[2:3]
	ds_write_b64 v82, v[4:5]
	s_waitcnt vmcnt(1)
	v_mul_f64 v[100:101], v[66:67], v[2:3]
	s_waitcnt vmcnt(0)
	v_mul_f64 v[102:103], v[64:65], v[2:3]
	ds_read_b64 v[2:3], v81 offset:392
	ds_write_b64 v82, v[6:7] offset:536
	ds_read_b64 v[4:5], v81 offset:400
	ds_write_b64 v82, v[100:101] offset:1072
	;; [unrolled: 2-line block ×3, first 2 shown]
	s_waitcnt lgkmcnt(0)
	s_barrier
	ds_read2_b64 v[100:103], v80 offset1:1
	ds_read2_b64 v[104:107], v80 offset0:2 offset1:3
	s_waitcnt lgkmcnt(0)
	s_barrier
	v_add_f64 v[100:101], v[100:101], 0
	v_add_f64 v[100:101], v[100:101], v[102:103]
	;; [unrolled: 1-line block ×4, first 2 shown]
	ds_write2_b64 v83, v[116:117], v[118:119] offset1:16
	ds_write2_b64 v83, v[108:109], v[100:101] offset0:32 offset1:48
	s_waitcnt lgkmcnt(0)
	s_barrier
	s_and_saveexec_b64 s[18:19], s[4:5]
	s_cbranch_execz .LBB106_69
; %bb.73:                               ;   in Loop: Header=BB106_70 Depth=1
	ds_read2_b64 v[100:103], v78 offset1:1
	ds_read2_b64 v[104:107], v78 offset0:2 offset1:3
	ds_read2_b64 v[108:111], v78 offset0:4 offset1:5
	;; [unrolled: 1-line block ×3, first 2 shown]
	v_add_u32_e32 v8, s20, v84
	s_waitcnt lgkmcnt(3)
	v_add_f64 v[100:101], v[100:101], v[102:103]
	s_waitcnt lgkmcnt(2)
	v_add_f64 v[100:101], v[100:101], v[104:105]
	v_add_f64 v[100:101], v[100:101], v[106:107]
	s_waitcnt lgkmcnt(1)
	v_add_f64 v[104:105], v[100:101], v[108:109]
	ds_read2_b64 v[100:103], v78 offset0:8 offset1:9
	v_add_f64 v[104:105], v[104:105], v[110:111]
	s_waitcnt lgkmcnt(1)
	v_add_f64 v[108:109], v[104:105], v[112:113]
	ds_read2_b64 v[104:107], v78 offset0:10 offset1:11
	v_add_f64 v[108:109], v[108:109], v[114:115]
	s_waitcnt lgkmcnt(1)
	v_add_f64 v[100:101], v[108:109], v[100:101]
	v_add_f64 v[108:109], v[100:101], v[102:103]
	ds_read2_b64 v[100:103], v78 offset0:12 offset1:13
	s_waitcnt lgkmcnt(1)
	v_add_f64 v[104:105], v[108:109], v[104:105]
	ds_read_b64 v[108:109], v78 offset:112
	ds_read_b64 v[110:111], v79
	v_add_f64 v[104:105], v[104:105], v[106:107]
	s_waitcnt lgkmcnt(2)
	v_add_f64 v[100:101], v[104:105], v[100:101]
	v_add_f64 v[100:101], v[100:101], v[102:103]
	v_lshlrev_b64 v[102:103], 3, v[8:9]
	s_waitcnt lgkmcnt(1)
	v_add_f64 v[100:101], v[100:101], v[108:109]
	v_mov_b32_e32 v8, s28
	v_add_co_u32_e64 v102, s[8:9], s7, v102
	s_waitcnt lgkmcnt(0)
	v_add_f64 v[100:101], v[100:101], v[110:111]
	v_addc_co_u32_e64 v103, s[8:9], v8, v103, s[8:9]
	global_store_dwordx2 v[102:103], v[100:101], off
	s_branch .LBB106_69
.LBB106_74:
	s_movk_i32 s2, 0x218
	s_or_b64 s[0:1], s[0:1], vcc
	v_mad_u32_u24 v0, v72, s2, v73
	s_xor_b64 s[0:1], s[0:1], -1
	ds_write_b64 v0, v[18:19]
	s_waitcnt lgkmcnt(0)
	s_barrier
	s_and_saveexec_b64 s[2:3], s[0:1]
	s_cbranch_execz .LBB106_76
; %bb.75:
	ds_read2_b64 v[0:3], v73 offset1:67
	ds_read2_b64 v[4:7], v73 offset0:134 offset1:201
	v_lshlrev_b64 v[8:9], 3, v[16:17]
	v_mov_b32_e32 v10, s28
	s_waitcnt lgkmcnt(1)
	v_add_f64 v[0:1], v[0:1], v[2:3]
	s_waitcnt lgkmcnt(0)
	v_add_f64 v[0:1], v[0:1], v[4:5]
	v_add_co_u32_e32 v2, vcc, s7, v8
	v_add_f64 v[0:1], v[0:1], v[6:7]
	v_addc_co_u32_e32 v3, vcc, v10, v9, vcc
	global_store_dwordx2 v[2:3], v[0:1], off
.LBB106_76:
	s_endpgm
	.section	.rodata,"a",@progbits
	.p2align	6, 0x0
	.amdhsa_kernel _ZL26rocblas_hemvn_kernel_lowerILb0ELi64ELi4ELi33ELi32ELi16ElPKdS1_PdEviT6_lT7_lT5_lS4_lS5_lS3_lT8_i
		.amdhsa_group_segment_fixed_size 9600
		.amdhsa_private_segment_fixed_size 0
		.amdhsa_kernarg_size 376
		.amdhsa_user_sgpr_count 6
		.amdhsa_user_sgpr_private_segment_buffer 1
		.amdhsa_user_sgpr_dispatch_ptr 0
		.amdhsa_user_sgpr_queue_ptr 0
		.amdhsa_user_sgpr_kernarg_segment_ptr 1
		.amdhsa_user_sgpr_dispatch_id 0
		.amdhsa_user_sgpr_flat_scratch_init 0
		.amdhsa_user_sgpr_kernarg_preload_length 0
		.amdhsa_user_sgpr_kernarg_preload_offset 0
		.amdhsa_user_sgpr_private_segment_size 0
		.amdhsa_uses_dynamic_stack 0
		.amdhsa_system_sgpr_private_segment_wavefront_offset 0
		.amdhsa_system_sgpr_workgroup_id_x 1
		.amdhsa_system_sgpr_workgroup_id_y 0
		.amdhsa_system_sgpr_workgroup_id_z 1
		.amdhsa_system_sgpr_workgroup_info 0
		.amdhsa_system_vgpr_workitem_id 1
		.amdhsa_next_free_vgpr 124
		.amdhsa_next_free_sgpr 46
		.amdhsa_accum_offset 124
		.amdhsa_reserve_vcc 1
		.amdhsa_reserve_flat_scratch 0
		.amdhsa_float_round_mode_32 0
		.amdhsa_float_round_mode_16_64 0
		.amdhsa_float_denorm_mode_32 3
		.amdhsa_float_denorm_mode_16_64 3
		.amdhsa_dx10_clamp 1
		.amdhsa_ieee_mode 1
		.amdhsa_fp16_overflow 0
		.amdhsa_tg_split 0
		.amdhsa_exception_fp_ieee_invalid_op 0
		.amdhsa_exception_fp_denorm_src 0
		.amdhsa_exception_fp_ieee_div_zero 0
		.amdhsa_exception_fp_ieee_overflow 0
		.amdhsa_exception_fp_ieee_underflow 0
		.amdhsa_exception_fp_ieee_inexact 0
		.amdhsa_exception_int_div_zero 0
	.end_amdhsa_kernel
	.section	.text._ZL26rocblas_hemvn_kernel_lowerILb0ELi64ELi4ELi33ELi32ELi16ElPKdS1_PdEviT6_lT7_lT5_lS4_lS5_lS3_lT8_i,"axG",@progbits,_ZL26rocblas_hemvn_kernel_lowerILb0ELi64ELi4ELi33ELi32ELi16ElPKdS1_PdEviT6_lT7_lT5_lS4_lS5_lS3_lT8_i,comdat
.Lfunc_end106:
	.size	_ZL26rocblas_hemvn_kernel_lowerILb0ELi64ELi4ELi33ELi32ELi16ElPKdS1_PdEviT6_lT7_lT5_lS4_lS5_lS3_lT8_i, .Lfunc_end106-_ZL26rocblas_hemvn_kernel_lowerILb0ELi64ELi4ELi33ELi32ELi16ElPKdS1_PdEviT6_lT7_lT5_lS4_lS5_lS3_lT8_i
                                        ; -- End function
	.section	.AMDGPU.csdata,"",@progbits
; Kernel info:
; codeLenInByte = 6404
; NumSgprs: 50
; NumVgprs: 124
; NumAgprs: 0
; TotalNumVgprs: 124
; ScratchSize: 0
; MemoryBound: 0
; FloatMode: 240
; IeeeMode: 1
; LDSByteSize: 9600 bytes/workgroup (compile time only)
; SGPRBlocks: 6
; VGPRBlocks: 15
; NumSGPRsForWavesPerEU: 50
; NumVGPRsForWavesPerEU: 124
; AccumOffset: 124
; Occupancy: 4
; WaveLimiterHint : 0
; COMPUTE_PGM_RSRC2:SCRATCH_EN: 0
; COMPUTE_PGM_RSRC2:USER_SGPR: 6
; COMPUTE_PGM_RSRC2:TRAP_HANDLER: 0
; COMPUTE_PGM_RSRC2:TGID_X_EN: 1
; COMPUTE_PGM_RSRC2:TGID_Y_EN: 0
; COMPUTE_PGM_RSRC2:TGID_Z_EN: 1
; COMPUTE_PGM_RSRC2:TIDIG_COMP_CNT: 1
; COMPUTE_PGM_RSRC3_GFX90A:ACCUM_OFFSET: 30
; COMPUTE_PGM_RSRC3_GFX90A:TG_SPLIT: 0
	.section	.text._ZL36rocblas_hemvn_kernel_lower_block_sumILi64ElPKdPddEviT1_lS3_lT2_lT0_lPT3_i,"axG",@progbits,_ZL36rocblas_hemvn_kernel_lower_block_sumILi64ElPKdPddEviT1_lS3_lT2_lT0_lPT3_i,comdat
	.globl	_ZL36rocblas_hemvn_kernel_lower_block_sumILi64ElPKdPddEviT1_lS3_lT2_lT0_lPT3_i ; -- Begin function _ZL36rocblas_hemvn_kernel_lower_block_sumILi64ElPKdPddEviT1_lS3_lT2_lT0_lPT3_i
	.p2align	8
	.type	_ZL36rocblas_hemvn_kernel_lower_block_sumILi64ElPKdPddEviT1_lS3_lT2_lT0_lPT3_i,@function
_ZL36rocblas_hemvn_kernel_lower_block_sumILi64ElPKdPddEviT1_lS3_lT2_lT0_lPT3_i: ; @_ZL36rocblas_hemvn_kernel_lower_block_sumILi64ElPKdPddEviT1_lS3_lT2_lT0_lPT3_i
; %bb.0:
	s_load_dwordx8 s[8:15], s[4:5], 0x8
	s_waitcnt lgkmcnt(0)
	s_mul_i32 s0, s7, s11
	s_mul_hi_u32 s1, s7, s10
	s_add_i32 s1, s1, s0
	s_mul_i32 s0, s7, s10
	s_lshl_b64 s[0:1], s[0:1], 3
	s_add_u32 s0, s8, s0
	s_addc_u32 s1, s9, s1
	s_load_dwordx2 s[8:9], s[0:1], 0x0
	s_mul_i32 s0, s7, s15
	s_mul_hi_u32 s1, s7, s14
	s_add_i32 s1, s1, s0
	s_mul_i32 s0, s7, s14
	s_lshl_b64 s[0:1], s[0:1], 3
	s_add_u32 s0, s12, s0
	s_addc_u32 s1, s13, s1
	s_load_dwordx2 s[10:11], s[0:1], 0x0
	s_waitcnt lgkmcnt(0)
	v_cmp_eq_f64_e64 s[0:1], s[8:9], 0
	v_cmp_eq_f64_e64 s[2:3], s[10:11], 1.0
	s_and_b64 s[0:1], s[0:1], s[2:3]
	s_and_b64 vcc, exec, s[0:1]
	s_cbranch_vccnz .LBB107_19
; %bb.1:
	s_load_dwordx2 s[12:13], s[4:5], 0x40
	s_load_dwordx4 s[0:3], s[4:5], 0x30
	s_load_dwordx2 s[16:17], s[4:5], 0x28
	s_load_dword s14, s[4:5], 0x0
	v_lshl_or_b32 v6, s6, 6, v0
	s_waitcnt lgkmcnt(0)
	s_mul_i32 s13, s7, s13
	s_mul_hi_u32 s15, s7, s12
	s_add_i32 s13, s15, s13
	s_mul_i32 s12, s7, s12
	s_lshl_b64 s[12:13], s[12:13], 3
	s_add_u32 s12, s16, s12
	s_addc_u32 s13, s17, s13
	s_lshl_b64 s[0:1], s[0:1], 3
	s_add_u32 s20, s12, s0
	s_addc_u32 s21, s13, s1
	v_cmp_neq_f64_e64 s[0:1], s[8:9], 0
	s_mov_b64 s[12:13], 0
	s_and_b64 vcc, exec, s[0:1]
	v_cmp_gt_i32_e64 s[0:1], s14, v6
	s_cbranch_vccnz .LBB107_6
; %bb.2:
	s_mov_b64 s[16:17], 0
                                        ; implicit-def: $vgpr2_vgpr3
                                        ; implicit-def: $vgpr0_vgpr1
	s_and_saveexec_b64 s[18:19], s[0:1]
	s_cbranch_execz .LBB107_7
; %bb.3:
	v_ashrrev_i32_e32 v0, 31, v6
	v_cmp_eq_f64_e64 s[0:1], s[10:11], 0
	v_mul_lo_u32 v4, v6, s3
	v_mul_lo_u32 v5, v0, s2
	v_mad_u64_u32 v[0:1], s[12:13], v6, s2, 0
	v_pk_mov_b32 v[2:3], 0, 0
	v_add3_u32 v1, v1, v4, v5
	s_and_b64 vcc, exec, s[0:1]
	s_cbranch_vccnz .LBB107_5
; %bb.4:
	v_lshlrev_b64 v[2:3], 3, v[0:1]
	v_mov_b32_e32 v4, s21
	v_add_co_u32_e32 v2, vcc, s20, v2
	v_addc_co_u32_e32 v3, vcc, v4, v3, vcc
	global_load_dwordx2 v[2:3], v[2:3], off
	s_waitcnt vmcnt(0)
	v_mul_f64 v[2:3], s[10:11], v[2:3]
.LBB107_5:
	s_mov_b64 s[12:13], exec
	s_or_b64 exec, exec, s[18:19]
	s_and_b64 vcc, exec, s[16:17]
	s_cbranch_vccnz .LBB107_8
	s_branch .LBB107_17
.LBB107_6:
                                        ; implicit-def: $vgpr2_vgpr3
                                        ; implicit-def: $vgpr0_vgpr1
	s_cbranch_execnz .LBB107_8
	s_branch .LBB107_17
.LBB107_7:
	s_or_b64 exec, exec, s[18:19]
	s_and_b64 vcc, exec, s[16:17]
	s_cbranch_vccz .LBB107_17
.LBB107_8:
	v_cmp_gt_i32_e32 vcc, s14, v6
                                        ; implicit-def: $vgpr2_vgpr3
                                        ; implicit-def: $vgpr0_vgpr1
	s_and_saveexec_b64 s[0:1], vcc
	s_cbranch_execz .LBB107_16
; %bb.9:
	s_load_dword s16, s[4:5], 0x58
	v_pk_mov_b32 v[4:5], 0, 0
	s_waitcnt lgkmcnt(0)
	s_cmp_ge_i32 s6, s16
	s_cbranch_scc1 .LBB107_12
; %bb.10:
	s_ashr_i32 s15, s14, 31
	s_mul_i32 s17, s6, s14
	s_load_dwordx2 s[4:5], s[4:5], 0x48
	v_add_u32_e32 v0, s17, v6
	s_mul_hi_u32 s17, s14, s7
	s_mul_i32 s18, s15, s7
	s_add_i32 s17, s17, s18
	s_mul_i32 s7, s14, s7
	s_mul_i32 s17, s17, s16
	s_mul_hi_u32 s18, s7, s16
	s_add_i32 s19, s18, s17
	s_mul_i32 s18, s7, s16
	s_lshl_b64 s[18:19], s[18:19], 3
	v_ashrrev_i32_e32 v1, 31, v0
	s_waitcnt lgkmcnt(0)
	s_add_u32 s4, s4, s18
	v_lshlrev_b64 v[0:1], 3, v[0:1]
	s_addc_u32 s5, s5, s19
	v_mov_b32_e32 v2, s5
	v_add_co_u32_e32 v0, vcc, s4, v0
	s_lshl_b64 s[4:5], s[14:15], 3
	v_addc_co_u32_e32 v1, vcc, v2, v1, vcc
	v_pk_mov_b32 v[4:5], 0, 0
	v_mov_b32_e32 v2, s5
.LBB107_11:                             ; =>This Inner Loop Header: Depth=1
	global_load_dwordx2 v[8:9], v[0:1], off
	s_add_i32 s6, s6, 1
	v_add_co_u32_e32 v0, vcc, s4, v0
	v_addc_co_u32_e32 v1, vcc, v1, v2, vcc
	s_cmp_ge_i32 s6, s16
	s_waitcnt vmcnt(0)
	v_add_f64 v[4:5], v[4:5], v[8:9]
	s_cbranch_scc0 .LBB107_11
.LBB107_12:
	v_cmp_eq_f64_e64 s[6:7], s[10:11], 0
	v_ashrrev_i32_e32 v0, 31, v6
	s_mov_b64 s[4:5], 0
	s_and_b64 vcc, exec, s[6:7]
	v_mul_lo_u32 v7, v6, s3
	v_mul_lo_u32 v8, v0, s2
	s_cbranch_vccz .LBB107_20
; %bb.13:
	v_mad_u64_u32 v[0:1], s[6:7], v6, s2, 0
	v_mul_f64 v[2:3], s[8:9], v[4:5]
	v_add3_u32 v1, v1, v7, v8
	s_andn2_b64 vcc, exec, s[4:5]
	s_cbranch_vccnz .LBB107_15
.LBB107_14:
	v_mad_u64_u32 v[0:1], s[2:3], v6, s2, 0
	v_add3_u32 v1, v1, v7, v8
	v_lshlrev_b64 v[2:3], 3, v[0:1]
	v_mov_b32_e32 v6, s21
	v_add_co_u32_e32 v2, vcc, s20, v2
	v_addc_co_u32_e32 v3, vcc, v6, v3, vcc
	global_load_dwordx2 v[2:3], v[2:3], off
	s_waitcnt vmcnt(0)
	v_mul_f64 v[2:3], s[10:11], v[2:3]
	v_fmac_f64_e32 v[2:3], s[8:9], v[4:5]
.LBB107_15:
	s_or_b64 s[12:13], s[12:13], exec
.LBB107_16:
	s_or_b64 exec, exec, s[0:1]
.LBB107_17:
	s_and_saveexec_b64 s[0:1], s[12:13]
	s_cbranch_execz .LBB107_19
; %bb.18:
	v_lshlrev_b64 v[0:1], 3, v[0:1]
	v_mov_b32_e32 v4, s21
	v_add_co_u32_e32 v0, vcc, s20, v0
	v_addc_co_u32_e32 v1, vcc, v4, v1, vcc
	global_store_dwordx2 v[0:1], v[2:3], off
.LBB107_19:
	s_endpgm
.LBB107_20:
                                        ; implicit-def: $vgpr2_vgpr3
                                        ; implicit-def: $vgpr0_vgpr1
	s_branch .LBB107_14
	.section	.rodata,"a",@progbits
	.p2align	6, 0x0
	.amdhsa_kernel _ZL36rocblas_hemvn_kernel_lower_block_sumILi64ElPKdPddEviT1_lS3_lT2_lT0_lPT3_i
		.amdhsa_group_segment_fixed_size 0
		.amdhsa_private_segment_fixed_size 0
		.amdhsa_kernarg_size 344
		.amdhsa_user_sgpr_count 6
		.amdhsa_user_sgpr_private_segment_buffer 1
		.amdhsa_user_sgpr_dispatch_ptr 0
		.amdhsa_user_sgpr_queue_ptr 0
		.amdhsa_user_sgpr_kernarg_segment_ptr 1
		.amdhsa_user_sgpr_dispatch_id 0
		.amdhsa_user_sgpr_flat_scratch_init 0
		.amdhsa_user_sgpr_kernarg_preload_length 0
		.amdhsa_user_sgpr_kernarg_preload_offset 0
		.amdhsa_user_sgpr_private_segment_size 0
		.amdhsa_uses_dynamic_stack 0
		.amdhsa_system_sgpr_private_segment_wavefront_offset 0
		.amdhsa_system_sgpr_workgroup_id_x 1
		.amdhsa_system_sgpr_workgroup_id_y 0
		.amdhsa_system_sgpr_workgroup_id_z 1
		.amdhsa_system_sgpr_workgroup_info 0
		.amdhsa_system_vgpr_workitem_id 0
		.amdhsa_next_free_vgpr 10
		.amdhsa_next_free_sgpr 22
		.amdhsa_accum_offset 12
		.amdhsa_reserve_vcc 1
		.amdhsa_reserve_flat_scratch 0
		.amdhsa_float_round_mode_32 0
		.amdhsa_float_round_mode_16_64 0
		.amdhsa_float_denorm_mode_32 3
		.amdhsa_float_denorm_mode_16_64 3
		.amdhsa_dx10_clamp 1
		.amdhsa_ieee_mode 1
		.amdhsa_fp16_overflow 0
		.amdhsa_tg_split 0
		.amdhsa_exception_fp_ieee_invalid_op 0
		.amdhsa_exception_fp_denorm_src 0
		.amdhsa_exception_fp_ieee_div_zero 0
		.amdhsa_exception_fp_ieee_overflow 0
		.amdhsa_exception_fp_ieee_underflow 0
		.amdhsa_exception_fp_ieee_inexact 0
		.amdhsa_exception_int_div_zero 0
	.end_amdhsa_kernel
	.section	.text._ZL36rocblas_hemvn_kernel_lower_block_sumILi64ElPKdPddEviT1_lS3_lT2_lT0_lPT3_i,"axG",@progbits,_ZL36rocblas_hemvn_kernel_lower_block_sumILi64ElPKdPddEviT1_lS3_lT2_lT0_lPT3_i,comdat
.Lfunc_end107:
	.size	_ZL36rocblas_hemvn_kernel_lower_block_sumILi64ElPKdPddEviT1_lS3_lT2_lT0_lPT3_i, .Lfunc_end107-_ZL36rocblas_hemvn_kernel_lower_block_sumILi64ElPKdPddEviT1_lS3_lT2_lT0_lPT3_i
                                        ; -- End function
	.section	.AMDGPU.csdata,"",@progbits
; Kernel info:
; codeLenInByte = 752
; NumSgprs: 26
; NumVgprs: 10
; NumAgprs: 0
; TotalNumVgprs: 10
; ScratchSize: 0
; MemoryBound: 0
; FloatMode: 240
; IeeeMode: 1
; LDSByteSize: 0 bytes/workgroup (compile time only)
; SGPRBlocks: 3
; VGPRBlocks: 1
; NumSGPRsForWavesPerEU: 26
; NumVGPRsForWavesPerEU: 10
; AccumOffset: 12
; Occupancy: 8
; WaveLimiterHint : 0
; COMPUTE_PGM_RSRC2:SCRATCH_EN: 0
; COMPUTE_PGM_RSRC2:USER_SGPR: 6
; COMPUTE_PGM_RSRC2:TRAP_HANDLER: 0
; COMPUTE_PGM_RSRC2:TGID_X_EN: 1
; COMPUTE_PGM_RSRC2:TGID_Y_EN: 0
; COMPUTE_PGM_RSRC2:TGID_Z_EN: 1
; COMPUTE_PGM_RSRC2:TIDIG_COMP_CNT: 0
; COMPUTE_PGM_RSRC3_GFX90A:ACCUM_OFFSET: 2
; COMPUTE_PGM_RSRC3_GFX90A:TG_SPLIT: 0
	.section	.text._ZL26rocblas_hemvn_kernel_lowerILb0ELi64ELi4ELi33ELi32ELi16EiPKdS1_PdEviT6_lT7_lT5_lS4_lS5_lS3_lT8_i,"axG",@progbits,_ZL26rocblas_hemvn_kernel_lowerILb0ELi64ELi4ELi33ELi32ELi16EiPKdS1_PdEviT6_lT7_lT5_lS4_lS5_lS3_lT8_i,comdat
	.globl	_ZL26rocblas_hemvn_kernel_lowerILb0ELi64ELi4ELi33ELi32ELi16EiPKdS1_PdEviT6_lT7_lT5_lS4_lS5_lS3_lT8_i ; -- Begin function _ZL26rocblas_hemvn_kernel_lowerILb0ELi64ELi4ELi33ELi32ELi16EiPKdS1_PdEviT6_lT7_lT5_lS4_lS5_lS3_lT8_i
	.p2align	8
	.type	_ZL26rocblas_hemvn_kernel_lowerILb0ELi64ELi4ELi33ELi32ELi16EiPKdS1_PdEviT6_lT7_lT5_lS4_lS5_lS3_lT8_i,@function
_ZL26rocblas_hemvn_kernel_lowerILb0ELi64ELi4ELi33ELi32ELi16EiPKdS1_PdEviT6_lT7_lT5_lS4_lS5_lS3_lT8_i: ; @_ZL26rocblas_hemvn_kernel_lowerILb0ELi64ELi4ELi33ELi32ELi16EiPKdS1_PdEviT6_lT7_lT5_lS4_lS5_lS3_lT8_i
; %bb.0:
	s_load_dwordx2 s[2:3], s[4:5], 0x84
	s_add_u32 s0, s4, 0x78
	s_addc_u32 s1, s5, 0
	s_waitcnt lgkmcnt(0)
	s_lshr_b32 s8, s2, 16
	s_and_b32 s2, s2, 0xffff
	s_and_b32 s3, s3, 0xffff
	s_mul_i32 s2, s8, s2
	s_mul_i32 s2, s2, s3
	s_cmpk_lg_i32 s2, 0x100
	s_cbranch_scc1 .LBB108_76
; %bb.1:
	s_load_dwordx8 s[8:15], s[4:5], 0x8
	s_load_dwordx8 s[16:23], s[4:5], 0x50
	s_waitcnt lgkmcnt(0)
	s_mul_i32 s3, s7, s11
	s_mul_hi_u32 s11, s7, s10
	s_mul_i32 s2, s7, s10
	s_add_i32 s3, s11, s3
	s_lshl_b64 s[2:3], s[2:3], 3
	s_mul_i32 s10, s7, s21
	s_add_u32 s2, s8, s2
	s_mul_hi_u32 s8, s7, s20
	s_addc_u32 s3, s9, s3
	s_add_i32 s9, s8, s10
	s_mul_i32 s8, s7, s20
	s_lshl_b64 s[8:9], s[8:9], 3
	s_add_u32 s8, s18, s8
	s_addc_u32 s9, s19, s9
	s_load_dwordx2 s[2:3], s[2:3], 0x0
	s_waitcnt lgkmcnt(0)
	v_cmp_eq_f64_e64 s[2:3], s[2:3], 0
	s_load_dwordx2 s[8:9], s[8:9], 0x0
	s_waitcnt lgkmcnt(0)
	v_cmp_eq_f64_e64 s[8:9], s[8:9], 1.0
	s_and_b64 s[8:9], s[2:3], s[8:9]
	s_and_b64 vcc, exec, s[8:9]
	s_cbranch_vccnz .LBB108_76
; %bb.2:
	s_and_b64 vcc, exec, s[2:3]
	s_cbranch_vccnz .LBB108_76
; %bb.3:
	s_load_dword s41, s[0:1], 0x0
	s_load_dword s40, s[4:5], 0x0
	s_load_dwordx4 s[8:11], s[4:5], 0x30
	s_load_dwordx2 s[2:3], s[4:5], 0x40
	s_load_dword s33, s[4:5], 0x48
	s_mul_i32 s0, s7, s17
	s_mul_hi_u32 s1, s7, s16
	s_add_i32 s1, s1, s0
	s_mul_i32 s0, s7, s16
	s_lshl_b64 s[0:1], s[0:1], 3
	s_waitcnt lgkmcnt(0)
	s_add_u32 s10, s10, s0
	s_addc_u32 s11, s11, s1
	s_lshl_b64 s[0:1], s[2:3], 3
	s_add_u32 s0, s10, s0
	s_addc_u32 s1, s11, s1
	v_and_b32_e32 v26, 0x3ff, v0
	s_lshl_b32 s26, s6, 6
	s_ashr_i32 s42, s40, 31
	s_lshr_b32 s3, s42, 26
	v_add_u32_e32 v16, s26, v26
	v_bfe_u32 v17, v0, 10, 10
	s_add_i32 s3, s40, s3
	v_mul_lo_u32 v0, v16, s33
	s_andn2_b32 s3, s3, 63
	v_ashrrev_i32_e32 v1, 31, v0
	s_add_i32 s2, s41, -1
	s_sub_i32 s3, s40, s3
	v_lshlrev_b64 v[0:1], 3, v[0:1]
	s_cmp_eq_u32 s6, s2
	v_mov_b32_e32 v2, s1
	v_add_co_u32_e32 v20, vcc, s0, v0
	s_cselect_b32 s24, s3, 0
	v_addc_co_u32_e32 v21, vcc, v2, v1, vcc
	v_cmp_ne_u32_e64 s[0:1], 0, v17
	v_cmp_eq_u32_e64 s[2:3], 0, v17
	s_and_saveexec_b64 s[10:11], s[2:3]
	s_cbranch_execz .LBB108_7
; %bb.4:
	s_cmp_eq_u32 s24, 0
	s_cselect_b64 s[16:17], -1, 0
	v_cmp_gt_i32_e32 vcc, s24, v26
	s_or_b64 s[18:19], s[16:17], vcc
	v_pk_mov_b32 v[0:1], 0, 0
	s_and_saveexec_b64 s[16:17], s[18:19]
	s_cbranch_execz .LBB108_6
; %bb.5:
	global_load_dwordx2 v[0:1], v[20:21], off
.LBB108_6:
	s_or_b64 exec, exec, s[16:17]
	v_lshlrev_b32_e32 v2, 3, v26
	s_waitcnt vmcnt(0)
	ds_write_b64 v2, v[0:1] offset:9088
.LBB108_7:
	s_or_b64 exec, exec, s[10:11]
	s_mul_i32 s9, s7, s9
	s_mul_hi_u32 s10, s7, s8
	s_add_i32 s9, s10, s9
	s_mul_i32 s8, s7, s8
	s_lshl_b64 s[8:9], s[8:9], 3
	s_add_u32 s10, s12, s8
	s_addc_u32 s11, s13, s9
	s_lshl_b64 s[8:9], s[14:15], 3
	s_load_dword s20, s[4:5], 0x28
	s_add_u32 s8, s10, s8
	s_addc_u32 s9, s11, s9
	s_ashr_i32 s27, s26, 31
	v_lshl_add_u32 v27, v17, 6, v26
	s_lshl_b64 s[4:5], s[26:27], 3
	v_and_b32_e32 v0, 31, v26
	v_lshrrev_b32_e32 v10, 5, v27
	s_add_u32 s8, s8, s4
	s_addc_u32 s9, s9, s5
	s_waitcnt lgkmcnt(0)
	v_mad_u64_u32 v[2:3], s[4:5], v10, s20, v[0:1]
	s_mul_i32 s4, s26, s20
	s_ashr_i32 s5, s4, 31
	s_lshl_b64 s[28:29], s[4:5], 3
	v_ashrrev_i32_e32 v3, 31, v2
	s_add_u32 s4, s28, s8
	v_lshlrev_b64 v[22:23], 3, v[2:3]
	s_addc_u32 s5, s29, s9
	v_mov_b32_e32 v1, s5
	v_add_co_u32_e32 v2, vcc, s4, v22
	s_cmp_lg_u32 s24, 0
	v_addc_co_u32_e32 v3, vcc, v1, v23, vcc
	s_cselect_b64 s[30:31], -1, 0
	s_cmp_eq_u32 s24, 0
	s_cselect_b64 s[34:35], -1, 0
	s_and_b64 vcc, exec, s[30:31]
	s_cbranch_vccnz .LBB108_9
; %bb.8:
	s_lshl_b32 s4, s20, 3
	s_ashr_i32 s5, s4, 31
	s_lshl_b64 s[4:5], s[4:5], 3
	v_mov_b32_e32 v1, s5
	v_add_co_u32_e32 v6, vcc, s4, v2
	s_ashr_i32 s21, s20, 31
	v_addc_co_u32_e32 v7, vcc, v3, v1, vcc
	s_lshl_b64 s[4:5], s[20:21], 6
	global_load_dwordx2 v[4:5], v[2:3], off
	global_load_dwordx2 v[8:9], v[6:7], off
	v_mov_b32_e32 v1, s5
	v_add_co_u32_e32 v6, vcc, s4, v6
	v_addc_co_u32_e32 v7, vcc, v7, v1, vcc
	global_load_dwordx2 v[12:13], v[6:7], off
	v_add_co_u32_e32 v6, vcc, s4, v6
	v_addc_co_u32_e32 v7, vcc, v7, v1, vcc
	global_load_dwordx2 v[6:7], v[6:7], off
	v_mul_u32_u24_e32 v1, 33, v10
	v_add_lshl_u32 v1, v1, v0, 3
	s_waitcnt vmcnt(3)
	ds_write_b64 v1, v[4:5]
	s_waitcnt vmcnt(2)
	ds_write_b64 v1, v[8:9] offset:2112
	s_waitcnt vmcnt(1)
	ds_write_b64 v1, v[12:13] offset:4224
	;; [unrolled: 2-line block ×3, first 2 shown]
	s_cbranch_execz .LBB108_10
	s_branch .LBB108_19
.LBB108_9:
.LBB108_10:
	v_lshlrev_b32_e32 v1, 3, v0
	v_sub_co_u32_e32 v4, vcc, v2, v1
	s_ashr_i32 s25, s24, 31
	v_subbrev_co_u32_e32 v5, vcc, 0, v3, vcc
	s_lshl_b64 s[8:9], s[24:25], 3
	v_mov_b32_e32 v6, s9
	v_add_co_u32_e32 v4, vcc, s8, v4
	v_addc_co_u32_e32 v5, vcc, v5, v6, vcc
	v_add_co_u32_e32 v4, vcc, -8, v4
	v_addc_co_u32_e32 v5, vcc, -1, v5, vcc
	v_cmp_gt_i32_e32 vcc, s24, v0
	v_pk_mov_b32 v[6:7], 0, 0
	v_cndmask_b32_e32 v5, v5, v3, vcc
	v_cndmask_b32_e32 v4, v4, v2, vcc
	v_cmp_gt_i32_e64 s[4:5], s24, v10
	v_pk_mov_b32 v[8:9], v[6:7], v[6:7] op_sel:[0,1]
	s_and_saveexec_b64 s[10:11], s[4:5]
	s_cbranch_execz .LBB108_12
; %bb.11:
	global_load_dwordx2 v[8:9], v[4:5], off
.LBB108_12:
	s_or_b64 exec, exec, s[10:11]
	v_mul_u32_u24_e32 v11, 33, v10
	v_add_lshl_u32 v11, v11, v0, 3
	s_waitcnt vmcnt(0)
	ds_write_b64 v11, v[8:9]
	v_add_u32_e32 v8, 8, v10
	v_cmp_gt_i32_e64 s[4:5], s24, v8
	s_and_saveexec_b64 s[10:11], s[4:5]
	s_cbranch_execz .LBB108_14
; %bb.13:
	s_lshl_b32 s4, s20, 3
	s_ashr_i32 s5, s4, 31
	s_lshl_b64 s[4:5], s[4:5], 3
	v_mov_b32_e32 v7, s5
	v_add_co_u32_e64 v6, s[4:5], s4, v4
	v_addc_co_u32_e64 v7, s[4:5], v5, v7, s[4:5]
	global_load_dwordx2 v[6:7], v[6:7], off
.LBB108_14:
	s_or_b64 exec, exec, s[10:11]
	s_waitcnt vmcnt(0)
	ds_write_b64 v11, v[6:7] offset:2112
	v_add_u32_e32 v6, 16, v10
	v_cmp_gt_i32_e64 s[4:5], s24, v6
	v_pk_mov_b32 v[6:7], 0, 0
	v_pk_mov_b32 v[8:9], v[6:7], v[6:7] op_sel:[0,1]
	s_and_saveexec_b64 s[10:11], s[4:5]
	s_cbranch_execz .LBB108_16
; %bb.15:
	s_lshl_b32 s4, s20, 4
	s_ashr_i32 s5, s4, 31
	s_lshl_b64 s[4:5], s[4:5], 3
	v_mov_b32_e32 v9, s5
	v_add_co_u32_e64 v8, s[4:5], s4, v4
	v_addc_co_u32_e64 v9, s[4:5], v5, v9, s[4:5]
	global_load_dwordx2 v[8:9], v[8:9], off
.LBB108_16:
	s_or_b64 exec, exec, s[10:11]
	s_waitcnt vmcnt(0)
	ds_write_b64 v11, v[8:9] offset:4224
	v_add_u32_e32 v8, 24, v10
	v_cmp_gt_i32_e64 s[4:5], s24, v8
	s_and_saveexec_b64 s[10:11], s[4:5]
	s_cbranch_execz .LBB108_18
; %bb.17:
	s_mul_i32 s4, s20, 24
	s_ashr_i32 s5, s4, 31
	s_lshl_b64 s[4:5], s[4:5], 3
	v_mov_b32_e32 v7, s5
	v_add_co_u32_e64 v6, s[4:5], s4, v4
	v_addc_co_u32_e64 v7, s[4:5], v5, v7, s[4:5]
	global_load_dwordx2 v[6:7], v[6:7], off
.LBB108_18:
	s_or_b64 exec, exec, s[10:11]
	v_add_co_u32_e64 v1, s[4:5], v4, v1
	v_addc_co_u32_e64 v4, s[4:5], 0, v5, s[4:5]
	v_mov_b32_e32 v5, s9
	v_subrev_co_u32_e64 v1, s[4:5], s8, v1
	v_subb_co_u32_e64 v4, s[4:5], v4, v5, s[4:5]
	v_add_co_u32_e64 v1, s[4:5], 8, v1
	v_addc_co_u32_e64 v4, s[4:5], 0, v4, s[4:5]
	v_cndmask_b32_e32 v3, v4, v3, vcc
	v_cndmask_b32_e32 v2, v1, v2, vcc
	s_waitcnt vmcnt(0)
	ds_write_b64 v11, v[6:7] offset:6336
.LBB108_19:
	v_lshlrev_b32_e32 v1, 2, v10
	v_mul_u32_u24_e32 v28, 33, v0
	v_cmp_lt_u32_e64 s[18:19], v1, v0
	v_add_lshl_u32 v30, v1, v28, 3
	s_waitcnt lgkmcnt(0)
	s_barrier
	s_and_saveexec_b64 s[4:5], s[18:19]
	s_cbranch_execz .LBB108_21
; %bb.20:
	v_mul_u32_u24_e32 v4, 0x84, v10
	v_add_lshl_u32 v4, v4, v0, 3
	ds_read_b64 v[4:5], v4
	s_waitcnt lgkmcnt(0)
	ds_write_b64 v30, v[4:5]
.LBB108_21:
	s_or_b64 exec, exec, s[4:5]
	v_or_b32_e32 v4, 1, v1
	v_cmp_lt_u32_e64 s[8:9], v4, v0
	s_and_saveexec_b64 s[4:5], s[8:9]
	s_cbranch_execz .LBB108_23
; %bb.22:
	v_mul_u32_u24_e32 v4, 33, v4
	v_add_lshl_u32 v4, v4, v0, 3
	ds_read_b64 v[4:5], v4
	s_waitcnt lgkmcnt(0)
	ds_write_b64 v30, v[4:5] offset:8
.LBB108_23:
	s_or_b64 exec, exec, s[4:5]
	v_or_b32_e32 v4, 2, v1
	v_cmp_lt_u32_e64 s[10:11], v4, v0
	s_and_saveexec_b64 s[4:5], s[10:11]
	s_cbranch_execz .LBB108_25
; %bb.24:
	v_mul_u32_u24_e32 v4, 33, v4
	v_add_lshl_u32 v4, v4, v0, 3
	ds_read_b64 v[4:5], v4
	s_waitcnt lgkmcnt(0)
	ds_write_b64 v30, v[4:5] offset:16
.LBB108_25:
	s_or_b64 exec, exec, s[4:5]
	v_or_b32_e32 v4, 3, v1
	v_cmp_lt_u32_e64 s[12:13], v4, v0
	v_mad_u32_u24 v4, v4, 33, v0
	v_lshlrev_b32_e32 v11, 3, v4
	s_and_saveexec_b64 s[4:5], s[12:13]
	s_cbranch_execz .LBB108_27
; %bb.26:
	ds_read_b64 v[4:5], v11
	s_waitcnt lgkmcnt(0)
	ds_write_b64 v30, v[4:5] offset:24
.LBB108_27:
	s_or_b64 exec, exec, s[4:5]
	v_mul_u32_u24_e32 v4, 0x84, v10
	v_add_lshl_u32 v13, v4, v0, 3
	s_waitcnt lgkmcnt(0)
	s_barrier
	v_lshlrev_b32_e32 v12, 3, v1
	ds_read_b64 v[8:9], v13
	ds_read_b128 v[4:7], v12 offset:9088
	v_add_u32_e32 v14, 0xfffffdf0, v11
	ds_read2_b64 v[32:35], v14 offset1:33
	ds_read_b128 v[36:39], v12 offset:9104
	ds_read_b64 v[24:25], v11
	v_pk_mov_b32 v[18:19], 0, 0
	v_add_lshl_u32 v29, v10, v28, 3
	s_waitcnt lgkmcnt(3)
	v_fma_f64 v[4:5], v[8:9], v[4:5], 0
	s_waitcnt lgkmcnt(2)
	v_fmac_f64_e32 v[4:5], v[32:33], v[6:7]
	s_waitcnt lgkmcnt(1)
	v_fmac_f64_e32 v[4:5], v[34:35], v[36:37]
	;; [unrolled: 2-line block ×3, first 2 shown]
	v_cmp_gt_u32_e64 s[4:5], 32, v27
	s_barrier
	ds_write_b64 v29, v[4:5]
	s_waitcnt lgkmcnt(0)
	s_barrier
	s_and_saveexec_b64 s[14:15], s[4:5]
	s_cbranch_execz .LBB108_29
; %bb.28:
	v_lshlrev_b32_e32 v1, 3, v28
	ds_read2_b64 v[4:7], v1 offset1:1
	ds_read2_b64 v[32:35], v1 offset0:2 offset1:3
	ds_read2_b64 v[36:39], v1 offset0:4 offset1:5
	s_waitcnt lgkmcnt(2)
	v_add_f64 v[8:9], v[4:5], v[6:7]
	ds_read2_b64 v[4:7], v1 offset0:6 offset1:7
	s_waitcnt lgkmcnt(2)
	v_add_f64 v[8:9], v[8:9], v[32:33]
	v_add_f64 v[8:9], v[8:9], v[34:35]
	s_waitcnt lgkmcnt(1)
	v_add_f64 v[8:9], v[8:9], v[36:37]
	v_add_f64 v[8:9], v[8:9], v[38:39]
	;; [unrolled: 3-line block ×3, first 2 shown]
.LBB108_29:
	s_or_b64 exec, exec, s[14:15]
	s_lshl_b32 s14, s20, 5
	s_ashr_i32 s15, s14, 31
	s_lshl_b64 s[36:37], s[14:15], 3
	v_mov_b32_e32 v1, s37
	v_add_co_u32_e32 v4, vcc, s36, v2
	v_addc_co_u32_e32 v5, vcc, v3, v1, vcc
	v_add_co_u32_e32 v2, vcc, 0x100, v4
	v_cndmask_b32_e64 v1, 0, 1, s[34:35]
	s_mov_b64 s[16:17], vcc
	v_cmp_ne_u32_e64 s[14:15], 1, v1
	s_andn2_b64 vcc, exec, s[34:35]
	v_addc_co_u32_e64 v1, s[16:17], 0, v5, s[16:17]
	s_barrier
	s_cbranch_vccnz .LBB108_31
; %bb.30:
	s_lshl_b32 s16, s20, 3
	s_ashr_i32 s17, s16, 31
	s_lshl_b64 s[16:17], s[16:17], 3
	v_mov_b32_e32 v3, s17
	v_add_co_u32_e32 v6, vcc, s16, v4
	s_ashr_i32 s21, s20, 31
	v_addc_co_u32_e32 v7, vcc, v5, v3, vcc
	s_lshl_b64 s[16:17], s[20:21], 6
	v_mov_b32_e32 v3, s17
	v_add_co_u32_e32 v8, vcc, s16, v6
	v_addc_co_u32_e32 v9, vcc, v7, v3, vcc
	v_add_co_u32_e32 v24, vcc, s16, v8
	v_addc_co_u32_e32 v25, vcc, v9, v3, vcc
	global_load_dwordx2 v[32:33], v[4:5], off offset:256
	global_load_dwordx2 v[34:35], v[6:7], off offset:256
	;; [unrolled: 1-line block ×4, first 2 shown]
	v_mul_u32_u24_e32 v3, 33, v10
	v_add_lshl_u32 v3, v3, v0, 3
	s_waitcnt vmcnt(3)
	ds_write_b64 v3, v[32:33]
	s_waitcnt vmcnt(2)
	ds_write_b64 v3, v[34:35] offset:2112
	s_waitcnt vmcnt(1)
	ds_write_b64 v3, v[36:37] offset:4224
	;; [unrolled: 2-line block ×3, first 2 shown]
	s_cbranch_execz .LBB108_32
	s_branch .LBB108_41
.LBB108_31:
.LBB108_32:
	v_lshlrev_b32_e32 v3, 3, v0
	v_sub_co_u32_e32 v5, vcc, v2, v3
	s_ashr_i32 s25, s24, 31
	v_subbrev_co_u32_e32 v6, vcc, 0, v1, vcc
	s_lshl_b64 s[34:35], s[24:25], 3
	v_mov_b32_e32 v7, s35
	v_add_co_u32_e32 v5, vcc, s34, v5
	v_or_b32_e32 v4, 32, v0
	v_addc_co_u32_e32 v6, vcc, v6, v7, vcc
	v_add_co_u32_e32 v7, vcc, 0xfffffef8, v5
	v_cmp_gt_i32_e64 s[16:17], s24, v4
	v_addc_co_u32_e32 v5, vcc, -1, v6, vcc
	v_cndmask_b32_e64 v4, v7, v2, s[16:17]
	s_sub_i32 s21, s24, 32
	v_pk_mov_b32 v[6:7], 0, 0
	v_cndmask_b32_e64 v5, v5, v1, s[16:17]
	v_cmp_gt_i32_e32 vcc, s21, v10
	v_pk_mov_b32 v[8:9], v[6:7], v[6:7] op_sel:[0,1]
	s_and_saveexec_b64 s[38:39], vcc
	s_cbranch_execz .LBB108_34
; %bb.33:
	global_load_dwordx2 v[8:9], v[4:5], off
.LBB108_34:
	s_or_b64 exec, exec, s[38:39]
	v_mul_u32_u24_e32 v15, 33, v10
	v_add_lshl_u32 v15, v15, v0, 3
	s_waitcnt vmcnt(0)
	ds_write_b64 v15, v[8:9]
	v_add_u32_e32 v8, 8, v10
	v_cmp_gt_i32_e32 vcc, s21, v8
	s_and_saveexec_b64 s[38:39], vcc
	s_cbranch_execz .LBB108_36
; %bb.35:
	s_lshl_b32 s44, s20, 3
	s_ashr_i32 s45, s44, 31
	s_lshl_b64 s[44:45], s[44:45], 3
	v_mov_b32_e32 v7, s45
	v_add_co_u32_e32 v6, vcc, s44, v4
	v_addc_co_u32_e32 v7, vcc, v5, v7, vcc
	global_load_dwordx2 v[6:7], v[6:7], off
.LBB108_36:
	s_or_b64 exec, exec, s[38:39]
	s_waitcnt vmcnt(0)
	ds_write_b64 v15, v[6:7] offset:2112
	v_add_u32_e32 v6, 16, v10
	v_cmp_gt_i32_e32 vcc, s21, v6
	v_pk_mov_b32 v[6:7], 0, 0
	v_pk_mov_b32 v[8:9], v[6:7], v[6:7] op_sel:[0,1]
	s_and_saveexec_b64 s[38:39], vcc
	s_cbranch_execz .LBB108_38
; %bb.37:
	s_lshl_b32 s44, s20, 4
	s_ashr_i32 s45, s44, 31
	s_lshl_b64 s[44:45], s[44:45], 3
	v_mov_b32_e32 v9, s45
	v_add_co_u32_e32 v8, vcc, s44, v4
	v_addc_co_u32_e32 v9, vcc, v5, v9, vcc
	global_load_dwordx2 v[8:9], v[8:9], off
.LBB108_38:
	s_or_b64 exec, exec, s[38:39]
	s_waitcnt vmcnt(0)
	ds_write_b64 v15, v[8:9] offset:4224
	v_add_u32_e32 v8, 24, v10
	v_cmp_gt_i32_e32 vcc, s21, v8
	s_and_saveexec_b64 s[38:39], vcc
	s_cbranch_execz .LBB108_40
; %bb.39:
	s_mul_i32 s44, s20, 24
	s_ashr_i32 s45, s44, 31
	s_lshl_b64 s[44:45], s[44:45], 3
	v_mov_b32_e32 v7, s45
	v_add_co_u32_e32 v6, vcc, s44, v4
	v_addc_co_u32_e32 v7, vcc, v5, v7, vcc
	global_load_dwordx2 v[6:7], v[6:7], off
.LBB108_40:
	s_or_b64 exec, exec, s[38:39]
	v_add_co_u32_e32 v3, vcc, v4, v3
	v_addc_co_u32_e32 v4, vcc, 0, v5, vcc
	v_mov_b32_e32 v5, s35
	v_subrev_co_u32_e32 v3, vcc, s34, v3
	v_subb_co_u32_e32 v4, vcc, v4, v5, vcc
	v_add_co_u32_e32 v3, vcc, 0x108, v3
	v_addc_co_u32_e32 v4, vcc, 0, v4, vcc
	v_cndmask_b32_e64 v1, v4, v1, s[16:17]
	v_cndmask_b32_e64 v2, v3, v2, s[16:17]
	s_waitcnt vmcnt(0)
	ds_write_b64 v15, v[6:7] offset:6336
.LBB108_41:
	v_add_u32_e32 v12, 0x2380, v12
	s_waitcnt lgkmcnt(0)
	s_barrier
	s_and_saveexec_b64 s[16:17], s[18:19]
	s_cbranch_execnz .LBB108_50
; %bb.42:
	s_or_b64 exec, exec, s[16:17]
	s_and_saveexec_b64 s[16:17], s[8:9]
	s_cbranch_execnz .LBB108_51
.LBB108_43:
	s_or_b64 exec, exec, s[16:17]
	s_and_saveexec_b64 s[8:9], s[10:11]
	s_cbranch_execnz .LBB108_52
.LBB108_44:
	s_or_b64 exec, exec, s[8:9]
	s_and_saveexec_b64 s[8:9], s[12:13]
	s_cbranch_execz .LBB108_46
.LBB108_45:
	ds_read_b64 v[4:5], v11
	s_waitcnt lgkmcnt(0)
	ds_write_b64 v30, v[4:5] offset:24
.LBB108_46:
	s_or_b64 exec, exec, s[8:9]
	s_waitcnt lgkmcnt(0)
	s_barrier
	ds_read_b64 v[8:9], v13
	ds_read_b128 v[4:7], v12 offset:256
	ds_read2_b64 v[32:35], v14 offset1:33
	ds_read_b128 v[36:39], v12 offset:272
	ds_read_b64 v[14:15], v11
	v_cmp_eq_u32_e64 s[10:11], 1, v10
	s_waitcnt lgkmcnt(3)
	v_fma_f64 v[4:5], v[8:9], v[4:5], 0
	s_waitcnt lgkmcnt(2)
	v_fmac_f64_e32 v[4:5], v[32:33], v[6:7]
	s_waitcnt lgkmcnt(1)
	v_fmac_f64_e32 v[4:5], v[34:35], v[36:37]
	;; [unrolled: 2-line block ×3, first 2 shown]
	s_barrier
	ds_write_b64 v29, v[4:5]
	s_waitcnt lgkmcnt(0)
	s_barrier
	s_and_saveexec_b64 s[8:9], s[10:11]
	s_cbranch_execz .LBB108_48
; %bb.47:
	v_lshlrev_b32_e32 v3, 3, v28
	ds_read2_b64 v[4:7], v3 offset1:1
	ds_read2_b64 v[32:35], v3 offset0:2 offset1:3
	ds_read2_b64 v[36:39], v3 offset0:4 offset1:5
	s_waitcnt lgkmcnt(2)
	v_add_f64 v[8:9], v[4:5], v[6:7]
	ds_read2_b64 v[4:7], v3 offset0:6 offset1:7
	s_waitcnt lgkmcnt(2)
	v_add_f64 v[8:9], v[8:9], v[32:33]
	v_add_f64 v[8:9], v[8:9], v[34:35]
	s_waitcnt lgkmcnt(1)
	v_add_f64 v[8:9], v[8:9], v[36:37]
	v_add_f64 v[8:9], v[8:9], v[38:39]
	;; [unrolled: 3-line block ×3, first 2 shown]
.LBB108_48:
	s_or_b64 exec, exec, s[8:9]
	v_mov_b32_e32 v3, s37
	v_subrev_co_u32_e64 v24, s[8:9], s36, v2
	s_and_b64 vcc, exec, s[14:15]
	v_subb_co_u32_e64 v25, s[8:9], v1, v3, s[8:9]
	s_barrier
	s_cbranch_vccnz .LBB108_53
; %bb.49:
	s_lshl_b32 s8, s20, 3
	s_ashr_i32 s9, s8, 31
	s_lshl_b64 s[8:9], s[8:9], 3
	v_mov_b32_e32 v1, s9
	v_add_co_u32_e32 v2, vcc, s8, v24
	s_ashr_i32 s21, s20, 31
	v_addc_co_u32_e32 v3, vcc, v25, v1, vcc
	s_lshl_b64 s[8:9], s[20:21], 6
	v_mov_b32_e32 v1, s9
	v_add_co_u32_e32 v4, vcc, s8, v2
	v_addc_co_u32_e32 v5, vcc, v3, v1, vcc
	v_add_co_u32_e32 v6, vcc, s8, v4
	v_addc_co_u32_e32 v7, vcc, v5, v1, vcc
	global_load_dwordx2 v[14:15], v[24:25], off
	global_load_dwordx2 v[32:33], v[2:3], off
	global_load_dwordx2 v[34:35], v[4:5], off
	global_load_dwordx2 v[36:37], v[6:7], off
	v_mad_u32_u24 v8, v10, 33, v0
	v_add_u32_e32 v6, 8, v10
	v_add_u32_e32 v7, 16, v10
	;; [unrolled: 1-line block ×3, first 2 shown]
	v_lshlrev_b32_e32 v1, 3, v8
	v_add_u32_e32 v13, 0x108, v8
	v_add_u32_e32 v5, 0x210, v8
	;; [unrolled: 1-line block ×3, first 2 shown]
	s_waitcnt vmcnt(3)
	ds_write_b64 v1, v[14:15]
	s_waitcnt vmcnt(2)
	ds_write_b64 v1, v[32:33] offset:2112
	s_waitcnt vmcnt(1)
	ds_write_b64 v1, v[34:35] offset:4224
	;; [unrolled: 2-line block ×3, first 2 shown]
	s_cbranch_execz .LBB108_54
	s_branch .LBB108_63
.LBB108_50:
	ds_read_b64 v[4:5], v13
	s_waitcnt lgkmcnt(0)
	ds_write_b64 v30, v[4:5]
	s_or_b64 exec, exec, s[16:17]
	s_and_saveexec_b64 s[16:17], s[8:9]
	s_cbranch_execz .LBB108_43
.LBB108_51:
	ds_read_b64 v[4:5], v14
	s_waitcnt lgkmcnt(0)
	ds_write_b64 v30, v[4:5] offset:8
	s_or_b64 exec, exec, s[16:17]
	s_and_saveexec_b64 s[8:9], s[10:11]
	s_cbranch_execz .LBB108_44
.LBB108_52:
	ds_read_b64 v[4:5], v14 offset:264
	s_waitcnt lgkmcnt(0)
	ds_write_b64 v30, v[4:5] offset:16
	s_or_b64 exec, exec, s[8:9]
	s_and_saveexec_b64 s[8:9], s[12:13]
	s_cbranch_execnz .LBB108_45
	s_branch .LBB108_46
.LBB108_53:
                                        ; implicit-def: $vgpr8
                                        ; implicit-def: $vgpr6
                                        ; implicit-def: $vgpr13
                                        ; implicit-def: $vgpr7
                                        ; implicit-def: $vgpr5
                                        ; implicit-def: $vgpr4
                                        ; implicit-def: $vgpr11
.LBB108_54:
	v_lshlrev_b32_e32 v9, 3, v0
	v_sub_co_u32_e32 v2, vcc, v24, v9
	s_ashr_i32 s25, s24, 31
	v_subbrev_co_u32_e32 v3, vcc, 0, v25, vcc
	s_lshl_b64 s[12:13], s[24:25], 3
	v_mov_b32_e32 v4, s13
	v_add_co_u32_e32 v2, vcc, s12, v2
	v_addc_co_u32_e32 v3, vcc, v3, v4, vcc
	v_or_b32_e32 v1, 32, v0
	v_add_co_u32_e32 v2, vcc, 0xfffffef8, v2
	v_addc_co_u32_e32 v3, vcc, -1, v3, vcc
	v_cmp_gt_i32_e64 s[8:9], s24, v1
	v_pk_mov_b32 v[4:5], 0, 0
	v_cndmask_b32_e64 v3, v3, v25, s[8:9]
	v_cndmask_b32_e64 v2, v2, v24, s[8:9]
	v_cmp_gt_i32_e32 vcc, s24, v10
	v_pk_mov_b32 v[6:7], v[4:5], v[4:5] op_sel:[0,1]
	s_and_saveexec_b64 s[14:15], vcc
	s_cbranch_execz .LBB108_56
; %bb.55:
	global_load_dwordx2 v[6:7], v[2:3], off
.LBB108_56:
	s_or_b64 exec, exec, s[14:15]
	v_mad_u32_u24 v8, v10, 33, v0
	v_lshlrev_b32_e32 v14, 3, v8
	s_waitcnt vmcnt(0)
	ds_write_b64 v14, v[6:7]
	v_add_u32_e32 v6, 8, v10
	v_cmp_gt_i32_e32 vcc, s24, v6
	s_and_saveexec_b64 s[14:15], vcc
	s_cbranch_execz .LBB108_58
; %bb.57:
	s_lshl_b32 s16, s20, 3
	s_ashr_i32 s17, s16, 31
	s_lshl_b64 s[16:17], s[16:17], 3
	v_mov_b32_e32 v1, s17
	v_add_co_u32_e32 v0, vcc, s16, v2
	v_addc_co_u32_e32 v1, vcc, v3, v1, vcc
	global_load_dwordx2 v[4:5], v[0:1], off
.LBB108_58:
	s_or_b64 exec, exec, s[14:15]
	v_add_u32_e32 v7, 16, v10
	v_pk_mov_b32 v[0:1], 0, 0
	s_waitcnt vmcnt(0)
	ds_write_b64 v14, v[4:5] offset:2112
	v_cmp_gt_i32_e32 vcc, s24, v7
	v_pk_mov_b32 v[4:5], v[0:1], v[0:1] op_sel:[0,1]
	s_and_saveexec_b64 s[14:15], vcc
	s_cbranch_execz .LBB108_60
; %bb.59:
	s_lshl_b32 s16, s20, 4
	s_ashr_i32 s17, s16, 31
	s_lshl_b64 s[16:17], s[16:17], 3
	v_mov_b32_e32 v5, s17
	v_add_co_u32_e32 v4, vcc, s16, v2
	v_addc_co_u32_e32 v5, vcc, v3, v5, vcc
	global_load_dwordx2 v[4:5], v[4:5], off
.LBB108_60:
	s_or_b64 exec, exec, s[14:15]
	s_waitcnt vmcnt(0)
	ds_write_b64 v14, v[4:5] offset:4224
	v_add_u32_e32 v4, 24, v10
	v_cmp_gt_i32_e32 vcc, s24, v4
	s_and_saveexec_b64 s[14:15], vcc
	s_cbranch_execz .LBB108_62
; %bb.61:
	s_mul_i32 s16, s20, 24
	s_ashr_i32 s17, s16, 31
	s_lshl_b64 s[16:17], s[16:17], 3
	v_mov_b32_e32 v1, s17
	v_add_co_u32_e32 v0, vcc, s16, v2
	v_addc_co_u32_e32 v1, vcc, v3, v1, vcc
	global_load_dwordx2 v[0:1], v[0:1], off
.LBB108_62:
	s_or_b64 exec, exec, s[14:15]
	s_waitcnt vmcnt(0)
	ds_write_b64 v14, v[0:1] offset:6336
	v_add_co_u32_e32 v0, vcc, v2, v9
	v_addc_co_u32_e32 v1, vcc, 0, v3, vcc
	v_mov_b32_e32 v2, s13
	v_subrev_co_u32_e32 v0, vcc, s12, v0
	v_subb_co_u32_e32 v1, vcc, v1, v2, vcc
	v_add_co_u32_e32 v0, vcc, 0x108, v0
	v_addc_co_u32_e32 v1, vcc, 0, v1, vcc
	v_add_u32_e32 v13, 0x108, v8
	v_add_u32_e32 v5, 0x210, v8
	;; [unrolled: 1-line block ×3, first 2 shown]
	v_cndmask_b32_e64 v25, v1, v25, s[8:9]
	v_cndmask_b32_e64 v24, v0, v24, s[8:9]
.LBB108_63:
	v_lshlrev_b32_e32 v0, 3, v8
	s_waitcnt lgkmcnt(0)
	s_barrier
	v_lshlrev_b32_e32 v1, 3, v10
	v_lshlrev_b32_e32 v2, 3, v13
	;; [unrolled: 1-line block ×3, first 2 shown]
	ds_read_b64 v[32:33], v0
	ds_read_b64 v[34:35], v1 offset:9088
	ds_read_b64 v[36:37], v2
	ds_read_b64 v[38:39], v3 offset:9088
	v_lshlrev_b32_e32 v0, 3, v5
	v_lshlrev_b32_e32 v1, 3, v7
	v_lshlrev_b32_e32 v2, 3, v11
	v_lshlrev_b32_e32 v3, 3, v4
	ds_read_b64 v[40:41], v0
	ds_read_b64 v[42:43], v1 offset:9088
	ds_read_b64 v[44:45], v2
	ds_read_b64 v[46:47], v3 offset:9088
	ds_read_b128 v[8:11], v12 offset:256
	ds_read_b128 v[0:3], v12 offset:272
	ds_read2_b64 v[12:15], v30 offset1:1
	ds_read2_b64 v[4:7], v30 offset0:2 offset1:3
	s_waitcnt lgkmcnt(10)
	v_fma_f64 v[30:31], v[32:33], v[34:35], 0
	s_waitcnt lgkmcnt(8)
	v_fmac_f64_e32 v[30:31], v[36:37], v[38:39]
	s_waitcnt lgkmcnt(6)
	v_fmac_f64_e32 v[30:31], v[40:41], v[42:43]
	;; [unrolled: 2-line block ×3, first 2 shown]
	s_waitcnt lgkmcnt(0)
	s_barrier
	ds_write_b64 v29, v[30:31]
	s_waitcnt lgkmcnt(0)
	s_barrier
	s_and_saveexec_b64 s[8:9], s[10:11]
	s_cbranch_execz .LBB108_65
; %bb.64:
	v_lshlrev_b32_e32 v42, 3, v28
	ds_read2_b64 v[30:33], v42 offset1:1
	ds_read2_b64 v[34:37], v42 offset0:2 offset1:3
	ds_read2_b64 v[38:41], v42 offset0:4 offset1:5
	s_waitcnt lgkmcnt(2)
	v_add_f64 v[18:19], v[18:19], v[30:31]
	v_add_f64 v[18:19], v[18:19], v[32:33]
	ds_read2_b64 v[30:33], v42 offset0:6 offset1:7
	s_waitcnt lgkmcnt(2)
	v_add_f64 v[18:19], v[18:19], v[34:35]
	v_add_f64 v[18:19], v[18:19], v[36:37]
	s_waitcnt lgkmcnt(1)
	v_add_f64 v[18:19], v[18:19], v[38:39]
	v_add_f64 v[18:19], v[18:19], v[40:41]
	;; [unrolled: 3-line block ×3, first 2 shown]
.LBB108_65:
	s_or_b64 exec, exec, s[8:9]
	v_fma_f64 v[8:9], v[12:13], v[8:9], 0
	v_fmac_f64_e32 v[8:9], v[14:15], v[10:11]
	v_fmac_f64_e32 v[8:9], v[4:5], v[0:1]
	v_fmac_f64_e32 v[8:9], v[6:7], v[2:3]
	s_barrier
	ds_write_b64 v29, v[8:9]
	s_waitcnt lgkmcnt(0)
	s_barrier
	s_and_saveexec_b64 s[8:9], s[4:5]
	s_cbranch_execz .LBB108_67
; %bb.66:
	v_lshlrev_b32_e32 v14, 3, v28
	ds_read2_b64 v[0:3], v14 offset1:1
	ds_read2_b64 v[4:7], v14 offset0:2 offset1:3
	ds_read2_b64 v[8:11], v14 offset0:4 offset1:5
	s_waitcnt lgkmcnt(2)
	v_add_f64 v[0:1], v[18:19], v[0:1]
	v_add_f64 v[12:13], v[0:1], v[2:3]
	ds_read2_b64 v[0:3], v14 offset0:6 offset1:7
	s_waitcnt lgkmcnt(2)
	v_add_f64 v[4:5], v[12:13], v[4:5]
	v_add_f64 v[4:5], v[4:5], v[6:7]
	s_waitcnt lgkmcnt(1)
	v_add_f64 v[4:5], v[4:5], v[8:9]
	v_add_f64 v[4:5], v[4:5], v[10:11]
	;; [unrolled: 3-line block ×3, first 2 shown]
.LBB108_67:
	s_or_b64 exec, exec, s[8:9]
	s_mul_hi_u32 s4, s40, s7
	s_mul_i32 s42, s42, s7
	s_add_i32 s4, s4, s42
	s_mul_i32 s7, s40, s7
	s_mul_i32 s4, s4, s41
	s_mul_hi_u32 s5, s7, s41
	s_add_i32 s5, s5, s4
	s_mul_i32 s4, s7, s41
	s_lshl_b64 s[4:5], s[4:5], 3
	s_add_u32 s7, s22, s4
	s_mul_i32 s4, s6, s40
	s_addc_u32 s8, s23, s5
	s_ashr_i32 s5, s4, 31
	s_lshl_b64 s[4:5], s[4:5], 3
	s_add_u32 s7, s7, s4
	v_cmp_le_i32_e32 vcc, s24, v26
	s_addc_u32 s27, s8, s5
	s_and_b64 vcc, s[30:31], vcc
	s_cmp_lt_i32 s6, 1
	v_lshlrev_b32_e32 v72, 3, v26
	s_barrier
	s_cbranch_scc1 .LBB108_74
; %bb.68:
	s_mul_i32 s4, s26, s33
	s_ashr_i32 s5, s4, 31
	s_lshl_b64 s[4:5], s[4:5], 3
	v_mov_b32_e32 v0, s5
	v_subrev_co_u32_e64 v73, s[4:5], s4, v20
	v_subb_co_u32_e64 v74, s[4:5], v21, v0, s[4:5]
	v_mov_b32_e32 v0, s29
	v_subrev_co_u32_e64 v1, s[4:5], s28, v24
	v_subb_co_u32_e64 v0, s[4:5], v25, v0, s[4:5]
	v_sub_co_u32_e64 v4, s[4:5], v1, v22
	v_subb_co_u32_e64 v5, s[4:5], v0, v23, s[4:5]
	v_mul_lo_u32 v0, v17, s20
	v_lshl_add_u32 v0, v0, 2, v26
	v_ashrrev_i32_e32 v1, 31, v0
	v_lshlrev_b64 v[0:1], 3, v[0:1]
	v_add_co_u32_e64 v0, s[4:5], v4, v0
	v_addc_co_u32_e64 v1, s[4:5], v5, v1, s[4:5]
	s_movk_i32 s4, 0xff00
	v_add_co_u32_e64 v4, s[4:5], s4, v0
	v_addc_co_u32_e64 v5, s[4:5], -1, v1, s[4:5]
	v_sub_co_u32_e64 v0, s[4:5], v0, v72
	v_subbrev_co_u32_e64 v1, s[4:5], 0, v1, s[4:5]
	s_ashr_i32 s25, s24, 31
	s_lshl_b64 s[4:5], s[24:25], 3
	v_mov_b32_e32 v6, s5
	v_add_co_u32_e64 v0, s[4:5], s4, v0
	v_addc_co_u32_e64 v1, s[4:5], v1, v6, s[4:5]
	s_movk_i32 s4, 0xfef8
	v_add_co_u32_e64 v0, s[4:5], s4, v0
	v_addc_co_u32_e64 v1, s[4:5], -1, v1, s[4:5]
	v_cndmask_b32_e32 v10, v4, v0, vcc
	v_and_b32_e32 v0, 48, v26
	v_and_b32_e32 v2, 15, v26
	v_cndmask_b32_e32 v11, v5, v1, vcc
	v_lshlrev_b32_e32 v1, 3, v0
	s_movk_i32 s8, 0x218
	v_lshrrev_b32_e32 v3, 4, v27
	v_mad_u32_u24 v77, v2, s8, v1
	v_or_b32_e32 v1, 0x78, v72
	v_mad_u32_u24 v78, v2, s8, v1
	v_lshlrev_b32_e32 v1, 5, v3
	v_mad_u32_u24 v79, v2, s8, v1
	v_mov_b32_e32 v1, 0x2180
	s_ashr_i32 s21, s20, 31
	v_lshl_add_u32 v80, v17, 5, v1
	s_movk_i32 s9, 0x860
	v_lshlrev_b32_e32 v1, 3, v3
	v_mad_u32_u24 v81, v17, s9, v72
	v_mad_u32_u24 v82, v2, s8, v1
	s_lshl_b64 s[10:11], s[20:21], 3
	s_lshl_b64 s[14:15], s[20:21], 4
	s_mul_hi_i32 s8, s20, 24
	s_mul_hi_i32 s9, s20, 0x90
	;; [unrolled: 1-line block ×10, first 2 shown]
	s_lshl_b64 s[16:17], s[20:21], 8
	s_mul_hi_i32 s44, s20, 0x88
	s_lshl_b64 s[18:19], s[20:21], 7
	v_mov_b32_e32 v9, 0
	s_lshl_b32 s24, s33, 6
	v_add_u32_e32 v75, 0x2180, v72
	v_add_u32_e32 v76, 0x2380, v72
	v_cmp_gt_u32_e64 s[4:5], 64, v27
	s_lshl_b64 s[12:13], s[20:21], 9
	s_mul_i32 s25, s20, 24
	s_mul_i32 s26, s20, 0x90
	;; [unrolled: 1-line block ×11, first 2 shown]
	v_or_b32_e32 v8, v0, v2
	s_mov_b32 s20, 0
	v_mov_b32_e32 v83, s11
	v_mov_b32_e32 v84, s15
	;; [unrolled: 1-line block ×15, first 2 shown]
	s_branch .LBB108_70
.LBB108_69:                             ;   in Loop: Header=BB108_70 Depth=1
	s_or_b64 exec, exec, s[22:23]
	v_fmac_f64_e32 v[18:19], v[12:13], v[24:25]
	v_fmac_f64_e32 v[18:19], v[14:15], v[26:27]
	;; [unrolled: 1-line block ×15, first 2 shown]
	v_mov_b32_e32 v0, s13
	v_add_co_u32_e64 v10, s[8:9], s12, v10
	s_add_i32 s6, s6, -1
	s_add_i32 s20, s20, s24
	v_fmac_f64_e32 v[18:19], v[64:65], v[6:7]
	v_addc_co_u32_e64 v11, s[8:9], v11, v0, s[8:9]
	s_cmp_eq_u32 s6, 0
	v_add_u32_e32 v8, 64, v8
	s_barrier
	s_cbranch_scc1 .LBB108_74
.LBB108_70:                             ; =>This Inner Loop Header: Depth=1
	s_and_saveexec_b64 s[22:23], s[2:3]
	s_cbranch_execz .LBB108_72
; %bb.71:                               ;   in Loop: Header=BB108_70 Depth=1
	s_ashr_i32 s21, s20, 31
	s_lshl_b64 s[8:9], s[20:21], 3
	v_mov_b32_e32 v1, s9
	v_add_co_u32_e64 v0, s[8:9], s8, v73
	v_addc_co_u32_e64 v1, s[8:9], v74, v1, s[8:9]
	global_load_dwordx2 v[0:1], v[0:1], off
	s_waitcnt vmcnt(0)
	ds_write_b64 v75, v[0:1]
.LBB108_72:                             ;   in Loop: Header=BB108_70 Depth=1
	s_or_b64 exec, exec, s[22:23]
	v_add_co_u32_e64 v0, s[8:9], s10, v10
	v_addc_co_u32_e64 v1, s[8:9], v11, v83, s[8:9]
	v_add_co_u32_e64 v2, s[8:9], s14, v10
	s_waitcnt lgkmcnt(0)
	s_barrier
	global_load_dwordx2 v[12:13], v[10:11], off
	v_addc_co_u32_e64 v3, s[8:9], v11, v84, s[8:9]
	global_load_dwordx2 v[14:15], v[0:1], off
	global_load_dwordx2 v[20:21], v[2:3], off
	v_add_co_u32_e64 v0, s[8:9], s25, v10
	v_addc_co_u32_e64 v1, s[8:9], v11, v85, s[8:9]
	global_load_dwordx2 v[22:23], v[0:1], off
	ds_read_b64 v[0:1], v76
	ds_read_b64 v[24:25], v80
	v_add_co_u32_e64 v40, s[8:9], s18, v10
	v_addc_co_u32_e64 v41, s[8:9], v11, v86, s[8:9]
	v_add_co_u32_e64 v42, s[8:9], s37, v10
	v_addc_co_u32_e64 v43, s[8:9], v11, v87, s[8:9]
	;; [unrolled: 2-line block ×12, first 2 shown]
	s_waitcnt vmcnt(3) lgkmcnt(1)
	v_mul_f64 v[2:3], v[12:13], v[0:1]
	ds_write_b64 v81, v[2:3]
	s_waitcnt vmcnt(2)
	v_mul_f64 v[2:3], v[14:15], v[0:1]
	s_waitcnt vmcnt(1)
	v_mul_f64 v[4:5], v[20:21], v[0:1]
	ds_read_b64 v[26:27], v80 offset:8
	ds_write_b64 v81, v[2:3] offset:536
	ds_read_b64 v[28:29], v80 offset:16
	ds_write_b64 v81, v[4:5] offset:1072
	s_waitcnt vmcnt(0)
	v_mul_f64 v[0:1], v[22:23], v[0:1]
	ds_read_b64 v[30:31], v80 offset:24
	ds_write_b64 v81, v[0:1] offset:1608
	s_waitcnt lgkmcnt(0)
	s_barrier
	ds_read2_b64 v[4:7], v79 offset1:1
	ds_read2_b64 v[0:3], v79 offset0:2 offset1:3
	s_waitcnt lgkmcnt(0)
	s_barrier
	global_load_dwordx2 v[38:39], v[40:41], off
	global_load_dwordx2 v[34:35], v[42:43], off
	;; [unrolled: 1-line block ×4, first 2 shown]
	ds_read_b64 v[42:43], v76
	ds_read_b64 v[40:41], v80 offset:128
	v_add_f64 v[4:5], v[4:5], 0
	v_add_f64 v[4:5], v[4:5], v[6:7]
	;; [unrolled: 1-line block ×3, first 2 shown]
	s_waitcnt vmcnt(3) lgkmcnt(1)
	v_mul_f64 v[44:45], v[38:39], v[42:43]
	s_waitcnt vmcnt(2)
	v_mul_f64 v[46:47], v[34:35], v[42:43]
	ds_write_b64 v81, v[44:45]
	s_waitcnt vmcnt(1)
	v_mul_f64 v[48:49], v[32:33], v[42:43]
	s_waitcnt vmcnt(0)
	v_mul_f64 v[50:51], v[36:37], v[42:43]
	ds_read_b64 v[42:43], v80 offset:136
	ds_write_b64 v81, v[46:47] offset:536
	ds_read_b64 v[44:45], v80 offset:144
	ds_write_b64 v81, v[48:49] offset:1072
	;; [unrolled: 2-line block ×3, first 2 shown]
	s_waitcnt lgkmcnt(0)
	s_barrier
	ds_read2_b64 v[98:101], v79 offset1:1
	ds_read2_b64 v[102:105], v79 offset0:2 offset1:3
	s_waitcnt lgkmcnt(0)
	s_barrier
	global_load_dwordx2 v[54:55], v[56:57], off
	global_load_dwordx2 v[50:51], v[58:59], off
	;; [unrolled: 1-line block ×4, first 2 shown]
	ds_read_b64 v[58:59], v76
	ds_read_b64 v[56:57], v80 offset:256
	s_waitcnt vmcnt(3) lgkmcnt(1)
	v_mul_f64 v[60:61], v[54:55], v[58:59]
	s_waitcnt vmcnt(2)
	v_mul_f64 v[62:63], v[50:51], v[58:59]
	ds_write_b64 v81, v[60:61]
	s_waitcnt vmcnt(1)
	v_mul_f64 v[64:65], v[48:49], v[58:59]
	s_waitcnt vmcnt(0)
	v_mul_f64 v[66:67], v[52:53], v[58:59]
	ds_read_b64 v[58:59], v80 offset:264
	ds_write_b64 v81, v[62:63] offset:536
	ds_read_b64 v[60:61], v80 offset:272
	ds_write_b64 v81, v[64:65] offset:1072
	;; [unrolled: 2-line block ×3, first 2 shown]
	s_waitcnt lgkmcnt(0)
	s_barrier
	ds_read2_b64 v[106:109], v79 offset1:1
	ds_read2_b64 v[110:113], v79 offset0:2 offset1:3
	s_waitcnt lgkmcnt(0)
	s_barrier
	global_load_dwordx2 v[70:71], v[114:115], off
	global_load_dwordx2 v[68:69], v[116:117], off
	;; [unrolled: 1-line block ×4, first 2 shown]
	v_add_f64 v[114:115], v[0:1], v[2:3]
	v_add_f64 v[0:1], v[98:99], 0
	;; [unrolled: 1-line block ×5, first 2 shown]
	ds_read_b64 v[2:3], v76
	ds_read_b64 v[0:1], v80 offset:384
	v_add_f64 v[4:5], v[106:107], 0
	v_add_f64 v[4:5], v[4:5], v[108:109]
	;; [unrolled: 1-line block ×4, first 2 shown]
	s_waitcnt vmcnt(3) lgkmcnt(1)
	v_mul_f64 v[4:5], v[70:71], v[2:3]
	s_waitcnt vmcnt(2)
	v_mul_f64 v[6:7], v[68:69], v[2:3]
	ds_write_b64 v81, v[4:5]
	s_waitcnt vmcnt(1)
	v_mul_f64 v[98:99], v[66:67], v[2:3]
	s_waitcnt vmcnt(0)
	v_mul_f64 v[100:101], v[64:65], v[2:3]
	ds_read_b64 v[2:3], v80 offset:392
	ds_write_b64 v81, v[6:7] offset:536
	ds_read_b64 v[4:5], v80 offset:400
	ds_write_b64 v81, v[98:99] offset:1072
	;; [unrolled: 2-line block ×3, first 2 shown]
	s_waitcnt lgkmcnt(0)
	s_barrier
	ds_read2_b64 v[98:101], v79 offset1:1
	ds_read2_b64 v[102:105], v79 offset0:2 offset1:3
	s_waitcnt lgkmcnt(0)
	s_barrier
	v_add_f64 v[98:99], v[98:99], 0
	v_add_f64 v[98:99], v[98:99], v[100:101]
	;; [unrolled: 1-line block ×4, first 2 shown]
	ds_write2_b64 v82, v[114:115], v[116:117] offset1:16
	ds_write2_b64 v82, v[106:107], v[98:99] offset0:32 offset1:48
	s_waitcnt lgkmcnt(0)
	s_barrier
	s_and_saveexec_b64 s[22:23], s[4:5]
	s_cbranch_execz .LBB108_69
; %bb.73:                               ;   in Loop: Header=BB108_70 Depth=1
	ds_read2_b64 v[98:101], v77 offset1:1
	ds_read2_b64 v[102:105], v77 offset0:2 offset1:3
	ds_read2_b64 v[106:109], v77 offset0:4 offset1:5
	;; [unrolled: 1-line block ×3, first 2 shown]
	s_waitcnt lgkmcnt(3)
	v_add_f64 v[98:99], v[98:99], v[100:101]
	s_waitcnt lgkmcnt(2)
	v_add_f64 v[98:99], v[98:99], v[102:103]
	v_add_f64 v[98:99], v[98:99], v[104:105]
	s_waitcnt lgkmcnt(1)
	v_add_f64 v[102:103], v[98:99], v[106:107]
	ds_read2_b64 v[98:101], v77 offset0:8 offset1:9
	v_add_f64 v[102:103], v[102:103], v[108:109]
	s_waitcnt lgkmcnt(1)
	v_add_f64 v[106:107], v[102:103], v[110:111]
	ds_read2_b64 v[102:105], v77 offset0:10 offset1:11
	v_add_f64 v[106:107], v[106:107], v[112:113]
	s_waitcnt lgkmcnt(1)
	v_add_f64 v[98:99], v[106:107], v[98:99]
	v_add_f64 v[106:107], v[98:99], v[100:101]
	ds_read2_b64 v[98:101], v77 offset0:12 offset1:13
	s_waitcnt lgkmcnt(1)
	v_add_f64 v[102:103], v[106:107], v[102:103]
	ds_read_b64 v[106:107], v77 offset:112
	ds_read_b64 v[108:109], v78
	v_add_f64 v[102:103], v[102:103], v[104:105]
	s_waitcnt lgkmcnt(2)
	v_add_f64 v[98:99], v[102:103], v[98:99]
	v_add_f64 v[98:99], v[98:99], v[100:101]
	v_lshlrev_b64 v[100:101], 3, v[8:9]
	s_waitcnt lgkmcnt(1)
	v_add_f64 v[98:99], v[98:99], v[106:107]
	v_mov_b32_e32 v102, s27
	v_add_co_u32_e64 v100, s[8:9], s7, v100
	s_waitcnt lgkmcnt(0)
	v_add_f64 v[98:99], v[98:99], v[108:109]
	v_addc_co_u32_e64 v101, s[8:9], v102, v101, s[8:9]
	global_store_dwordx2 v[100:101], v[98:99], off
	s_branch .LBB108_69
.LBB108_74:
	s_movk_i32 s2, 0x218
	s_or_b64 s[0:1], s[0:1], vcc
	v_mad_u32_u24 v0, v17, s2, v72
	s_xor_b64 s[0:1], s[0:1], -1
	ds_write_b64 v0, v[18:19]
	s_waitcnt lgkmcnt(0)
	s_barrier
	s_and_saveexec_b64 s[2:3], s[0:1]
	s_cbranch_execz .LBB108_76
; %bb.75:
	ds_read2_b64 v[0:3], v72 offset1:67
	ds_read2_b64 v[4:7], v72 offset0:134 offset1:201
	v_ashrrev_i32_e32 v17, 31, v16
	v_lshlrev_b64 v[8:9], 3, v[16:17]
	v_mov_b32_e32 v10, s27
	s_waitcnt lgkmcnt(1)
	v_add_f64 v[0:1], v[0:1], v[2:3]
	s_waitcnt lgkmcnt(0)
	v_add_f64 v[0:1], v[0:1], v[4:5]
	v_add_co_u32_e32 v2, vcc, s7, v8
	v_add_f64 v[0:1], v[0:1], v[6:7]
	v_addc_co_u32_e32 v3, vcc, v10, v9, vcc
	global_store_dwordx2 v[2:3], v[0:1], off
.LBB108_76:
	s_endpgm
	.section	.rodata,"a",@progbits
	.p2align	6, 0x0
	.amdhsa_kernel _ZL26rocblas_hemvn_kernel_lowerILb0ELi64ELi4ELi33ELi32ELi16EiPKdS1_PdEviT6_lT7_lT5_lS4_lS5_lS3_lT8_i
		.amdhsa_group_segment_fixed_size 9600
		.amdhsa_private_segment_fixed_size 0
		.amdhsa_kernarg_size 376
		.amdhsa_user_sgpr_count 6
		.amdhsa_user_sgpr_private_segment_buffer 1
		.amdhsa_user_sgpr_dispatch_ptr 0
		.amdhsa_user_sgpr_queue_ptr 0
		.amdhsa_user_sgpr_kernarg_segment_ptr 1
		.amdhsa_user_sgpr_dispatch_id 0
		.amdhsa_user_sgpr_flat_scratch_init 0
		.amdhsa_user_sgpr_kernarg_preload_length 0
		.amdhsa_user_sgpr_kernarg_preload_offset 0
		.amdhsa_user_sgpr_private_segment_size 0
		.amdhsa_uses_dynamic_stack 0
		.amdhsa_system_sgpr_private_segment_wavefront_offset 0
		.amdhsa_system_sgpr_workgroup_id_x 1
		.amdhsa_system_sgpr_workgroup_id_y 0
		.amdhsa_system_sgpr_workgroup_id_z 1
		.amdhsa_system_sgpr_workgroup_info 0
		.amdhsa_system_vgpr_workitem_id 1
		.amdhsa_next_free_vgpr 122
		.amdhsa_next_free_sgpr 46
		.amdhsa_accum_offset 124
		.amdhsa_reserve_vcc 1
		.amdhsa_reserve_flat_scratch 0
		.amdhsa_float_round_mode_32 0
		.amdhsa_float_round_mode_16_64 0
		.amdhsa_float_denorm_mode_32 3
		.amdhsa_float_denorm_mode_16_64 3
		.amdhsa_dx10_clamp 1
		.amdhsa_ieee_mode 1
		.amdhsa_fp16_overflow 0
		.amdhsa_tg_split 0
		.amdhsa_exception_fp_ieee_invalid_op 0
		.amdhsa_exception_fp_denorm_src 0
		.amdhsa_exception_fp_ieee_div_zero 0
		.amdhsa_exception_fp_ieee_overflow 0
		.amdhsa_exception_fp_ieee_underflow 0
		.amdhsa_exception_fp_ieee_inexact 0
		.amdhsa_exception_int_div_zero 0
	.end_amdhsa_kernel
	.section	.text._ZL26rocblas_hemvn_kernel_lowerILb0ELi64ELi4ELi33ELi32ELi16EiPKdS1_PdEviT6_lT7_lT5_lS4_lS5_lS3_lT8_i,"axG",@progbits,_ZL26rocblas_hemvn_kernel_lowerILb0ELi64ELi4ELi33ELi32ELi16EiPKdS1_PdEviT6_lT7_lT5_lS4_lS5_lS3_lT8_i,comdat
.Lfunc_end108:
	.size	_ZL26rocblas_hemvn_kernel_lowerILb0ELi64ELi4ELi33ELi32ELi16EiPKdS1_PdEviT6_lT7_lT5_lS4_lS5_lS3_lT8_i, .Lfunc_end108-_ZL26rocblas_hemvn_kernel_lowerILb0ELi64ELi4ELi33ELi32ELi16EiPKdS1_PdEviT6_lT7_lT5_lS4_lS5_lS3_lT8_i
                                        ; -- End function
	.section	.AMDGPU.csdata,"",@progbits
; Kernel info:
; codeLenInByte = 6276
; NumSgprs: 50
; NumVgprs: 122
; NumAgprs: 0
; TotalNumVgprs: 122
; ScratchSize: 0
; MemoryBound: 0
; FloatMode: 240
; IeeeMode: 1
; LDSByteSize: 9600 bytes/workgroup (compile time only)
; SGPRBlocks: 6
; VGPRBlocks: 15
; NumSGPRsForWavesPerEU: 50
; NumVGPRsForWavesPerEU: 122
; AccumOffset: 124
; Occupancy: 4
; WaveLimiterHint : 1
; COMPUTE_PGM_RSRC2:SCRATCH_EN: 0
; COMPUTE_PGM_RSRC2:USER_SGPR: 6
; COMPUTE_PGM_RSRC2:TRAP_HANDLER: 0
; COMPUTE_PGM_RSRC2:TGID_X_EN: 1
; COMPUTE_PGM_RSRC2:TGID_Y_EN: 0
; COMPUTE_PGM_RSRC2:TGID_Z_EN: 1
; COMPUTE_PGM_RSRC2:TIDIG_COMP_CNT: 1
; COMPUTE_PGM_RSRC3_GFX90A:ACCUM_OFFSET: 30
; COMPUTE_PGM_RSRC3_GFX90A:TG_SPLIT: 0
	.section	.text._ZL36rocblas_hemvn_kernel_lower_block_sumILi64EiPKdPddEviT1_lS3_lT2_lT0_lPT3_i,"axG",@progbits,_ZL36rocblas_hemvn_kernel_lower_block_sumILi64EiPKdPddEviT1_lS3_lT2_lT0_lPT3_i,comdat
	.globl	_ZL36rocblas_hemvn_kernel_lower_block_sumILi64EiPKdPddEviT1_lS3_lT2_lT0_lPT3_i ; -- Begin function _ZL36rocblas_hemvn_kernel_lower_block_sumILi64EiPKdPddEviT1_lS3_lT2_lT0_lPT3_i
	.p2align	8
	.type	_ZL36rocblas_hemvn_kernel_lower_block_sumILi64EiPKdPddEviT1_lS3_lT2_lT0_lPT3_i,@function
_ZL36rocblas_hemvn_kernel_lower_block_sumILi64EiPKdPddEviT1_lS3_lT2_lT0_lPT3_i: ; @_ZL36rocblas_hemvn_kernel_lower_block_sumILi64EiPKdPddEviT1_lS3_lT2_lT0_lPT3_i
; %bb.0:
	s_load_dwordx8 s[8:15], s[4:5], 0x8
	s_waitcnt lgkmcnt(0)
	s_mul_i32 s0, s7, s11
	s_mul_hi_u32 s1, s7, s10
	s_add_i32 s1, s1, s0
	s_mul_i32 s0, s7, s10
	s_lshl_b64 s[0:1], s[0:1], 3
	s_add_u32 s0, s8, s0
	s_addc_u32 s1, s9, s1
	s_load_dwordx2 s[2:3], s[0:1], 0x0
	s_mul_i32 s0, s7, s15
	s_mul_hi_u32 s1, s7, s14
	s_add_i32 s1, s1, s0
	s_mul_i32 s0, s7, s14
	s_lshl_b64 s[0:1], s[0:1], 3
	s_add_u32 s0, s12, s0
	s_addc_u32 s1, s13, s1
	s_load_dwordx2 s[8:9], s[0:1], 0x0
	s_waitcnt lgkmcnt(0)
	v_cmp_eq_f64_e64 s[0:1], s[2:3], 0
	v_cmp_eq_f64_e64 s[10:11], s[8:9], 1.0
	s_and_b64 s[0:1], s[0:1], s[10:11]
	s_and_b64 vcc, exec, s[0:1]
	s_cbranch_vccnz .LBB109_19
; %bb.1:
	s_load_dwordx2 s[0:1], s[4:5], 0x40
	s_load_dword s20, s[4:5], 0x38
	s_load_dwordx4 s[16:19], s[4:5], 0x28
	s_load_dword s12, s[4:5], 0x0
	v_lshl_or_b32 v6, s6, 6, v0
	s_waitcnt lgkmcnt(0)
	s_mul_i32 s1, s7, s1
	s_mul_hi_u32 s10, s7, s0
	s_add_i32 s1, s10, s1
	s_mul_i32 s0, s7, s0
	s_lshl_b64 s[0:1], s[0:1], 3
	s_add_u32 s10, s16, s0
	s_addc_u32 s11, s17, s1
	s_lshl_b64 s[0:1], s[18:19], 3
	s_add_u32 s18, s10, s0
	s_addc_u32 s19, s11, s1
	v_cmp_neq_f64_e64 s[0:1], s[2:3], 0
	s_mov_b64 s[10:11], 0
	s_and_b64 vcc, exec, s[0:1]
	v_cmp_gt_i32_e64 s[0:1], s12, v6
	s_cbranch_vccnz .LBB109_6
; %bb.2:
	s_mov_b64 s[14:15], 0
                                        ; implicit-def: $vgpr2_vgpr3
                                        ; implicit-def: $vgpr0_vgpr1
	s_and_saveexec_b64 s[16:17], s[0:1]
	s_cbranch_execz .LBB109_7
; %bb.3:
	v_cmp_eq_f64_e64 s[0:1], s[8:9], 0
	v_mul_lo_u32 v0, v6, s20
	v_pk_mov_b32 v[2:3], 0, 0
	v_ashrrev_i32_e32 v1, 31, v0
	s_and_b64 vcc, exec, s[0:1]
	s_cbranch_vccnz .LBB109_5
; %bb.4:
	v_lshlrev_b64 v[2:3], 3, v[0:1]
	v_mov_b32_e32 v4, s19
	v_add_co_u32_e32 v2, vcc, s18, v2
	v_addc_co_u32_e32 v3, vcc, v4, v3, vcc
	global_load_dwordx2 v[2:3], v[2:3], off
	s_waitcnt vmcnt(0)
	v_mul_f64 v[2:3], s[8:9], v[2:3]
.LBB109_5:
	s_mov_b64 s[10:11], exec
	s_or_b64 exec, exec, s[16:17]
	s_and_b64 vcc, exec, s[14:15]
	s_cbranch_vccnz .LBB109_8
	s_branch .LBB109_17
.LBB109_6:
                                        ; implicit-def: $vgpr2_vgpr3
                                        ; implicit-def: $vgpr0_vgpr1
	s_cbranch_execnz .LBB109_8
	s_branch .LBB109_17
.LBB109_7:
	s_or_b64 exec, exec, s[16:17]
	s_and_b64 vcc, exec, s[14:15]
	s_cbranch_vccz .LBB109_17
.LBB109_8:
	v_cmp_gt_i32_e32 vcc, s12, v6
                                        ; implicit-def: $vgpr2_vgpr3
                                        ; implicit-def: $vgpr0_vgpr1
	s_and_saveexec_b64 s[0:1], vcc
	s_cbranch_execz .LBB109_16
; %bb.9:
	s_load_dword s14, s[4:5], 0x58
	v_pk_mov_b32 v[4:5], 0, 0
	s_waitcnt lgkmcnt(0)
	s_cmp_ge_i32 s6, s14
	s_cbranch_scc1 .LBB109_12
; %bb.10:
	s_ashr_i32 s13, s12, 31
	s_mul_i32 s15, s6, s12
	s_load_dwordx2 s[4:5], s[4:5], 0x48
	v_add_u32_e32 v0, s15, v6
	s_mul_hi_u32 s15, s12, s7
	s_mul_i32 s16, s13, s7
	s_add_i32 s15, s15, s16
	s_mul_i32 s7, s12, s7
	s_mul_i32 s15, s15, s14
	s_mul_hi_u32 s16, s7, s14
	s_add_i32 s17, s16, s15
	s_mul_i32 s16, s7, s14
	s_lshl_b64 s[16:17], s[16:17], 3
	v_ashrrev_i32_e32 v1, 31, v0
	s_waitcnt lgkmcnt(0)
	s_add_u32 s4, s4, s16
	v_lshlrev_b64 v[0:1], 3, v[0:1]
	s_addc_u32 s5, s5, s17
	v_mov_b32_e32 v2, s5
	v_add_co_u32_e32 v0, vcc, s4, v0
	s_lshl_b64 s[4:5], s[12:13], 3
	v_addc_co_u32_e32 v1, vcc, v2, v1, vcc
	v_pk_mov_b32 v[4:5], 0, 0
	v_mov_b32_e32 v2, s5
.LBB109_11:                             ; =>This Inner Loop Header: Depth=1
	global_load_dwordx2 v[8:9], v[0:1], off
	s_add_i32 s6, s6, 1
	v_add_co_u32_e32 v0, vcc, s4, v0
	v_addc_co_u32_e32 v1, vcc, v1, v2, vcc
	s_cmp_ge_i32 s6, s14
	s_waitcnt vmcnt(0)
	v_add_f64 v[4:5], v[4:5], v[8:9]
	s_cbranch_scc0 .LBB109_11
.LBB109_12:
	v_cmp_eq_f64_e64 s[6:7], s[8:9], 0
	v_mul_lo_u32 v0, v6, s20
	s_mov_b64 s[4:5], 0
	s_and_b64 vcc, exec, s[6:7]
	v_ashrrev_i32_e32 v1, 31, v0
	s_cbranch_vccz .LBB109_20
; %bb.13:
	v_mul_f64 v[2:3], s[2:3], v[4:5]
	s_andn2_b64 vcc, exec, s[4:5]
	s_cbranch_vccnz .LBB109_15
.LBB109_14:
	v_lshlrev_b64 v[2:3], 3, v[0:1]
	v_mov_b32_e32 v6, s19
	v_add_co_u32_e32 v2, vcc, s18, v2
	v_addc_co_u32_e32 v3, vcc, v6, v3, vcc
	global_load_dwordx2 v[2:3], v[2:3], off
	s_waitcnt vmcnt(0)
	v_mul_f64 v[2:3], s[8:9], v[2:3]
	v_fmac_f64_e32 v[2:3], s[2:3], v[4:5]
.LBB109_15:
	s_or_b64 s[10:11], s[10:11], exec
.LBB109_16:
	s_or_b64 exec, exec, s[0:1]
.LBB109_17:
	s_and_saveexec_b64 s[0:1], s[10:11]
	s_cbranch_execz .LBB109_19
; %bb.18:
	v_lshlrev_b64 v[0:1], 3, v[0:1]
	v_mov_b32_e32 v4, s19
	v_add_co_u32_e32 v0, vcc, s18, v0
	v_addc_co_u32_e32 v1, vcc, v4, v1, vcc
	global_store_dwordx2 v[0:1], v[2:3], off
.LBB109_19:
	s_endpgm
.LBB109_20:
                                        ; implicit-def: $vgpr2_vgpr3
	s_branch .LBB109_14
	.section	.rodata,"a",@progbits
	.p2align	6, 0x0
	.amdhsa_kernel _ZL36rocblas_hemvn_kernel_lower_block_sumILi64EiPKdPddEviT1_lS3_lT2_lT0_lPT3_i
		.amdhsa_group_segment_fixed_size 0
		.amdhsa_private_segment_fixed_size 0
		.amdhsa_kernarg_size 344
		.amdhsa_user_sgpr_count 6
		.amdhsa_user_sgpr_private_segment_buffer 1
		.amdhsa_user_sgpr_dispatch_ptr 0
		.amdhsa_user_sgpr_queue_ptr 0
		.amdhsa_user_sgpr_kernarg_segment_ptr 1
		.amdhsa_user_sgpr_dispatch_id 0
		.amdhsa_user_sgpr_flat_scratch_init 0
		.amdhsa_user_sgpr_kernarg_preload_length 0
		.amdhsa_user_sgpr_kernarg_preload_offset 0
		.amdhsa_user_sgpr_private_segment_size 0
		.amdhsa_uses_dynamic_stack 0
		.amdhsa_system_sgpr_private_segment_wavefront_offset 0
		.amdhsa_system_sgpr_workgroup_id_x 1
		.amdhsa_system_sgpr_workgroup_id_y 0
		.amdhsa_system_sgpr_workgroup_id_z 1
		.amdhsa_system_sgpr_workgroup_info 0
		.amdhsa_system_vgpr_workitem_id 0
		.amdhsa_next_free_vgpr 10
		.amdhsa_next_free_sgpr 21
		.amdhsa_accum_offset 12
		.amdhsa_reserve_vcc 1
		.amdhsa_reserve_flat_scratch 0
		.amdhsa_float_round_mode_32 0
		.amdhsa_float_round_mode_16_64 0
		.amdhsa_float_denorm_mode_32 3
		.amdhsa_float_denorm_mode_16_64 3
		.amdhsa_dx10_clamp 1
		.amdhsa_ieee_mode 1
		.amdhsa_fp16_overflow 0
		.amdhsa_tg_split 0
		.amdhsa_exception_fp_ieee_invalid_op 0
		.amdhsa_exception_fp_denorm_src 0
		.amdhsa_exception_fp_ieee_div_zero 0
		.amdhsa_exception_fp_ieee_overflow 0
		.amdhsa_exception_fp_ieee_underflow 0
		.amdhsa_exception_fp_ieee_inexact 0
		.amdhsa_exception_int_div_zero 0
	.end_amdhsa_kernel
	.section	.text._ZL36rocblas_hemvn_kernel_lower_block_sumILi64EiPKdPddEviT1_lS3_lT2_lT0_lPT3_i,"axG",@progbits,_ZL36rocblas_hemvn_kernel_lower_block_sumILi64EiPKdPddEviT1_lS3_lT2_lT0_lPT3_i,comdat
.Lfunc_end109:
	.size	_ZL36rocblas_hemvn_kernel_lower_block_sumILi64EiPKdPddEviT1_lS3_lT2_lT0_lPT3_i, .Lfunc_end109-_ZL36rocblas_hemvn_kernel_lower_block_sumILi64EiPKdPddEviT1_lS3_lT2_lT0_lPT3_i
                                        ; -- End function
	.section	.AMDGPU.csdata,"",@progbits
; Kernel info:
; codeLenInByte = 688
; NumSgprs: 25
; NumVgprs: 10
; NumAgprs: 0
; TotalNumVgprs: 10
; ScratchSize: 0
; MemoryBound: 0
; FloatMode: 240
; IeeeMode: 1
; LDSByteSize: 0 bytes/workgroup (compile time only)
; SGPRBlocks: 3
; VGPRBlocks: 1
; NumSGPRsForWavesPerEU: 25
; NumVGPRsForWavesPerEU: 10
; AccumOffset: 12
; Occupancy: 8
; WaveLimiterHint : 0
; COMPUTE_PGM_RSRC2:SCRATCH_EN: 0
; COMPUTE_PGM_RSRC2:USER_SGPR: 6
; COMPUTE_PGM_RSRC2:TRAP_HANDLER: 0
; COMPUTE_PGM_RSRC2:TGID_X_EN: 1
; COMPUTE_PGM_RSRC2:TGID_Y_EN: 0
; COMPUTE_PGM_RSRC2:TGID_Z_EN: 1
; COMPUTE_PGM_RSRC2:TIDIG_COMP_CNT: 0
; COMPUTE_PGM_RSRC3_GFX90A:ACCUM_OFFSET: 2
; COMPUTE_PGM_RSRC3_GFX90A:TG_SPLIT: 0
	.section	.text._ZL26rocblas_hemvn_kernel_lowerILb0ELi64ELi4ELi33ELi32ELi16EldPKdPdEviT6_lT7_lT5_lS4_lS5_lS3_lT8_i,"axG",@progbits,_ZL26rocblas_hemvn_kernel_lowerILb0ELi64ELi4ELi33ELi32ELi16EldPKdPdEviT6_lT7_lT5_lS4_lS5_lS3_lT8_i,comdat
	.globl	_ZL26rocblas_hemvn_kernel_lowerILb0ELi64ELi4ELi33ELi32ELi16EldPKdPdEviT6_lT7_lT5_lS4_lS5_lS3_lT8_i ; -- Begin function _ZL26rocblas_hemvn_kernel_lowerILb0ELi64ELi4ELi33ELi32ELi16EldPKdPdEviT6_lT7_lT5_lS4_lS5_lS3_lT8_i
	.p2align	8
	.type	_ZL26rocblas_hemvn_kernel_lowerILb0ELi64ELi4ELi33ELi32ELi16EldPKdPdEviT6_lT7_lT5_lS4_lS5_lS3_lT8_i,@function
_ZL26rocblas_hemvn_kernel_lowerILb0ELi64ELi4ELi33ELi32ELi16EldPKdPdEviT6_lT7_lT5_lS4_lS5_lS3_lT8_i: ; @_ZL26rocblas_hemvn_kernel_lowerILb0ELi64ELi4ELi33ELi32ELi16EldPKdPdEviT6_lT7_lT5_lS4_lS5_lS3_lT8_i
; %bb.0:
	s_load_dwordx2 s[2:3], s[4:5], 0x84
	s_add_u32 s0, s4, 0x78
	s_addc_u32 s1, s5, 0
	s_waitcnt lgkmcnt(0)
	s_lshr_b32 s8, s2, 16
	s_and_b32 s2, s2, 0xffff
	s_and_b32 s3, s3, 0xffff
	s_mul_i32 s2, s8, s2
	s_mul_i32 s2, s2, s3
	s_cmpk_lg_i32 s2, 0x100
	s_cbranch_scc1 .LBB110_76
; %bb.1:
	s_load_dwordx2 s[2:3], s[4:5], 0x8
	s_load_dwordx2 s[8:9], s[4:5], 0x58
	s_waitcnt lgkmcnt(0)
	v_cmp_eq_f64_e64 s[2:3], s[2:3], 0
	v_cmp_eq_f64_e64 s[8:9], s[8:9], 1.0
	s_and_b64 s[8:9], s[2:3], s[8:9]
	s_and_b64 vcc, exec, s[8:9]
	s_cbranch_vccnz .LBB110_76
; %bb.2:
	s_and_b64 vcc, exec, s[2:3]
	s_cbranch_vccnz .LBB110_76
; %bb.3:
	s_load_dwordx16 s[36:51], s[4:5], 0x18
	s_load_dword s52, s[0:1], 0x0
	s_load_dword s33, s[4:5], 0x0
	v_and_b32_e32 v26, 0x3ff, v0
	v_bfe_u32 v72, v0, 10, 10
	s_waitcnt lgkmcnt(0)
	s_mul_i32 s1, s7, s51
	s_mul_hi_u32 s2, s7, s50
	s_mul_i32 s0, s7, s50
	s_add_i32 s1, s2, s1
	s_lshl_b64 s[0:1], s[0:1], 3
	s_add_u32 s2, s44, s0
	s_addc_u32 s3, s45, s1
	s_lshl_b64 s[0:1], s[46:47], 3
	s_add_u32 s2, s2, s0
	s_addc_u32 s3, s3, s1
	s_ashr_i32 s44, s33, 31
	s_lshr_b32 s1, s44, 26
	s_add_i32 s1, s33, s1
	s_lshl_b32 s26, s6, 6
	s_andn2_b32 s1, s1, 63
	s_add_i32 s0, s52, -1
	s_sub_i32 s1, s33, s1
	v_add_u32_e32 v16, s26, v26
	s_cmp_eq_u32 s6, s0
	v_ashrrev_i32_e32 v17, 31, v16
	s_cselect_b32 s24, s1, 0
	v_mul_lo_u32 v2, v17, s48
	v_mul_lo_u32 v3, v16, s49
	v_mad_u64_u32 v[0:1], s[0:1], v16, s48, 0
	v_add3_u32 v1, v1, v3, v2
	v_lshlrev_b64 v[0:1], 3, v[0:1]
	v_mov_b32_e32 v2, s3
	v_add_co_u32_e32 v20, vcc, s2, v0
	v_addc_co_u32_e32 v21, vcc, v2, v1, vcc
	v_cmp_ne_u32_e64 s[0:1], 0, v72
	v_cmp_eq_u32_e64 s[2:3], 0, v72
	s_and_saveexec_b64 s[8:9], s[2:3]
	s_cbranch_execz .LBB110_7
; %bb.4:
	s_cmp_eq_u32 s24, 0
	s_cselect_b64 s[10:11], -1, 0
	v_cmp_gt_i32_e32 vcc, s24, v26
	s_or_b64 s[12:13], s[10:11], vcc
	v_pk_mov_b32 v[0:1], 0, 0
	s_and_saveexec_b64 s[10:11], s[12:13]
	s_cbranch_execz .LBB110_6
; %bb.5:
	global_load_dwordx2 v[0:1], v[20:21], off
.LBB110_6:
	s_or_b64 exec, exec, s[10:11]
	v_lshlrev_b32_e32 v2, 3, v26
	s_waitcnt vmcnt(0)
	ds_write_b64 v2, v[0:1] offset:9088
.LBB110_7:
	s_or_b64 exec, exec, s[8:9]
	s_mul_i32 s8, s7, s43
	s_mul_hi_u32 s9, s7, s42
	s_add_i32 s9, s9, s8
	s_mul_i32 s8, s7, s42
	s_lshl_b64 s[8:9], s[8:9], 3
	s_add_u32 s10, s36, s8
	s_addc_u32 s11, s37, s9
	s_lshl_b64 s[8:9], s[38:39], 3
	s_add_u32 s10, s10, s8
	s_addc_u32 s11, s11, s9
	s_ashr_i32 s27, s26, 31
	v_lshl_add_u32 v27, v72, 6, v26
	s_lshl_b64 s[8:9], s[26:27], 3
	v_and_b32_e32 v0, 31, v26
	v_lshrrev_b32_e32 v10, 5, v27
	s_add_u32 s10, s10, s8
	v_mov_b32_e32 v1, 0
	s_addc_u32 s11, s11, s9
	v_mad_u64_u32 v[2:3], s[8:9], v10, s40, v[0:1]
	v_mov_b32_e32 v4, v3
	v_mad_u64_u32 v[4:5], s[8:9], v10, s41, v[4:5]
	s_mul_i32 s8, s26, s41
	s_mul_hi_u32 s9, s26, s40
	s_add_i32 s8, s9, s8
	s_mul_i32 s9, s27, s40
	s_add_i32 s9, s8, s9
	s_mul_i32 s8, s26, s40
	s_lshl_b64 s[28:29], s[8:9], 3
	v_mov_b32_e32 v3, v4
	s_add_u32 s8, s28, s10
	v_lshlrev_b64 v[22:23], 3, v[2:3]
	s_addc_u32 s9, s29, s11
	v_mov_b32_e32 v1, s9
	v_add_co_u32_e32 v2, vcc, s8, v22
	s_cmp_lg_u32 s24, 0
	v_addc_co_u32_e32 v3, vcc, v1, v23, vcc
	s_cselect_b64 s[30:31], -1, 0
	s_cmp_eq_u32 s24, 0
	s_cselect_b64 s[34:35], -1, 0
	s_and_b64 vcc, exec, s[30:31]
	s_cbranch_vccnz .LBB110_9
; %bb.8:
	s_lshl_b64 s[8:9], s[40:41], 6
	v_mov_b32_e32 v1, s9
	v_add_co_u32_e32 v4, vcc, s8, v2
	v_addc_co_u32_e32 v5, vcc, v3, v1, vcc
	global_load_dwordx2 v[6:7], v[4:5], off
	global_load_dwordx2 v[12:13], v[2:3], off
	v_add_co_u32_e32 v4, vcc, s8, v4
	v_addc_co_u32_e32 v5, vcc, v5, v1, vcc
	v_mov_b32_e32 v1, 0xc0
	v_mad_u64_u32 v[8:9], s[8:9], s40, v1, v[2:3]
	s_mul_i32 s8, s41, 0xc0
	v_add_u32_e32 v9, s8, v9
	global_load_dwordx2 v[14:15], v[8:9], off
	global_load_dwordx2 v[18:19], v[4:5], off
	v_mul_u32_u24_e32 v1, 33, v10
	v_add_lshl_u32 v1, v1, v0, 3
	s_waitcnt vmcnt(2)
	ds_write_b64 v1, v[12:13]
	ds_write_b64 v1, v[6:7] offset:2112
	s_waitcnt vmcnt(1)
	ds_write_b64 v1, v[14:15] offset:6336
	s_waitcnt vmcnt(0)
	ds_write_b64 v1, v[18:19] offset:4224
	s_cbranch_execz .LBB110_10
	s_branch .LBB110_19
.LBB110_9:
.LBB110_10:
	v_lshlrev_b32_e32 v1, 3, v0
	v_sub_co_u32_e32 v4, vcc, v2, v1
	s_ashr_i32 s25, s24, 31
	v_subbrev_co_u32_e32 v5, vcc, 0, v3, vcc
	s_lshl_b64 s[10:11], s[24:25], 3
	v_mov_b32_e32 v6, s11
	v_add_co_u32_e32 v4, vcc, s10, v4
	v_addc_co_u32_e32 v5, vcc, v5, v6, vcc
	v_add_co_u32_e32 v4, vcc, -8, v4
	v_addc_co_u32_e32 v5, vcc, -1, v5, vcc
	v_cmp_gt_i32_e32 vcc, s24, v0
	v_pk_mov_b32 v[6:7], 0, 0
	v_cndmask_b32_e32 v5, v5, v3, vcc
	v_cndmask_b32_e32 v4, v4, v2, vcc
	v_cmp_gt_i32_e64 s[8:9], s24, v10
	v_pk_mov_b32 v[8:9], v[6:7], v[6:7] op_sel:[0,1]
	s_and_saveexec_b64 s[12:13], s[8:9]
	s_cbranch_execz .LBB110_12
; %bb.11:
	global_load_dwordx2 v[8:9], v[4:5], off
.LBB110_12:
	s_or_b64 exec, exec, s[12:13]
	v_mul_u32_u24_e32 v11, 33, v10
	v_add_lshl_u32 v11, v11, v0, 3
	s_waitcnt vmcnt(0)
	ds_write_b64 v11, v[8:9]
	v_add_u32_e32 v8, 8, v10
	v_cmp_gt_i32_e64 s[8:9], s24, v8
	s_and_saveexec_b64 s[12:13], s[8:9]
	s_cbranch_execz .LBB110_14
; %bb.13:
	s_lshl_b64 s[8:9], s[40:41], 6
	v_mov_b32_e32 v7, s9
	v_add_co_u32_e64 v6, s[8:9], s8, v4
	v_addc_co_u32_e64 v7, s[8:9], v5, v7, s[8:9]
	global_load_dwordx2 v[6:7], v[6:7], off
.LBB110_14:
	s_or_b64 exec, exec, s[12:13]
	s_waitcnt vmcnt(0)
	ds_write_b64 v11, v[6:7] offset:2112
	v_add_u32_e32 v6, 16, v10
	v_cmp_gt_i32_e64 s[8:9], s24, v6
	v_pk_mov_b32 v[6:7], 0, 0
	v_pk_mov_b32 v[8:9], v[6:7], v[6:7] op_sel:[0,1]
	s_and_saveexec_b64 s[12:13], s[8:9]
	s_cbranch_execz .LBB110_16
; %bb.15:
	s_lshl_b64 s[8:9], s[40:41], 7
	v_mov_b32_e32 v9, s9
	v_add_co_u32_e64 v8, s[8:9], s8, v4
	v_addc_co_u32_e64 v9, s[8:9], v5, v9, s[8:9]
	global_load_dwordx2 v[8:9], v[8:9], off
.LBB110_16:
	s_or_b64 exec, exec, s[12:13]
	s_waitcnt vmcnt(0)
	ds_write_b64 v11, v[8:9] offset:4224
	v_add_u32_e32 v8, 24, v10
	v_cmp_gt_i32_e64 s[8:9], s24, v8
	s_and_saveexec_b64 s[12:13], s[8:9]
	s_cbranch_execz .LBB110_18
; %bb.17:
	v_mov_b32_e32 v6, 0xc0
	v_mad_u64_u32 v[6:7], s[8:9], s40, v6, v[4:5]
	s_mul_i32 s8, s41, 0xc0
	v_add_u32_e32 v7, s8, v7
	global_load_dwordx2 v[6:7], v[6:7], off
.LBB110_18:
	s_or_b64 exec, exec, s[12:13]
	v_add_co_u32_e64 v1, s[8:9], v4, v1
	v_addc_co_u32_e64 v4, s[8:9], 0, v5, s[8:9]
	v_mov_b32_e32 v5, s11
	v_subrev_co_u32_e64 v1, s[8:9], s10, v1
	v_subb_co_u32_e64 v4, s[8:9], v4, v5, s[8:9]
	v_add_co_u32_e64 v1, s[8:9], 8, v1
	v_addc_co_u32_e64 v4, s[8:9], 0, v4, s[8:9]
	v_cndmask_b32_e32 v3, v4, v3, vcc
	v_cndmask_b32_e32 v2, v1, v2, vcc
	s_waitcnt vmcnt(0)
	ds_write_b64 v11, v[6:7] offset:6336
.LBB110_19:
	v_lshlrev_b32_e32 v1, 2, v10
	v_mul_u32_u24_e32 v28, 33, v0
	v_cmp_lt_u32_e64 s[8:9], v1, v0
	v_add_lshl_u32 v30, v1, v28, 3
	s_waitcnt lgkmcnt(0)
	s_barrier
	s_and_saveexec_b64 s[10:11], s[8:9]
	s_cbranch_execz .LBB110_21
; %bb.20:
	v_mul_u32_u24_e32 v4, 0x84, v10
	v_add_lshl_u32 v4, v4, v0, 3
	ds_read_b64 v[4:5], v4
	s_waitcnt lgkmcnt(0)
	ds_write_b64 v30, v[4:5]
.LBB110_21:
	s_or_b64 exec, exec, s[10:11]
	v_or_b32_e32 v4, 1, v1
	v_cmp_lt_u32_e64 s[10:11], v4, v0
	s_and_saveexec_b64 s[12:13], s[10:11]
	s_cbranch_execz .LBB110_23
; %bb.22:
	v_mul_u32_u24_e32 v4, 33, v4
	v_add_lshl_u32 v4, v4, v0, 3
	ds_read_b64 v[4:5], v4
	s_waitcnt lgkmcnt(0)
	ds_write_b64 v30, v[4:5] offset:8
.LBB110_23:
	s_or_b64 exec, exec, s[12:13]
	v_or_b32_e32 v4, 2, v1
	v_cmp_lt_u32_e64 s[12:13], v4, v0
	s_and_saveexec_b64 s[14:15], s[12:13]
	s_cbranch_execz .LBB110_25
; %bb.24:
	v_mul_u32_u24_e32 v4, 33, v4
	v_add_lshl_u32 v4, v4, v0, 3
	ds_read_b64 v[4:5], v4
	s_waitcnt lgkmcnt(0)
	ds_write_b64 v30, v[4:5] offset:16
.LBB110_25:
	s_or_b64 exec, exec, s[14:15]
	v_or_b32_e32 v4, 3, v1
	v_cmp_lt_u32_e64 s[14:15], v4, v0
	v_mad_u32_u24 v4, v4, 33, v0
	v_lshlrev_b32_e32 v11, 3, v4
	s_and_saveexec_b64 s[16:17], s[14:15]
	s_cbranch_execz .LBB110_27
; %bb.26:
	ds_read_b64 v[4:5], v11
	s_waitcnt lgkmcnt(0)
	ds_write_b64 v30, v[4:5] offset:24
.LBB110_27:
	s_or_b64 exec, exec, s[16:17]
	v_mul_u32_u24_e32 v4, 0x84, v10
	v_add_lshl_u32 v13, v4, v0, 3
	s_waitcnt lgkmcnt(0)
	s_barrier
	v_lshlrev_b32_e32 v12, 3, v1
	ds_read_b64 v[8:9], v13
	ds_read_b128 v[4:7], v12 offset:9088
	v_add_u32_e32 v14, 0xfffffdf0, v11
	ds_read2_b64 v[32:35], v14 offset1:33
	ds_read_b128 v[36:39], v12 offset:9104
	ds_read_b64 v[24:25], v11
	v_pk_mov_b32 v[18:19], 0, 0
	v_add_lshl_u32 v29, v10, v28, 3
	s_waitcnt lgkmcnt(3)
	v_fma_f64 v[4:5], v[8:9], v[4:5], 0
	s_waitcnt lgkmcnt(2)
	v_fmac_f64_e32 v[4:5], v[32:33], v[6:7]
	s_waitcnt lgkmcnt(1)
	v_fmac_f64_e32 v[4:5], v[34:35], v[36:37]
	;; [unrolled: 2-line block ×3, first 2 shown]
	v_cmp_gt_u32_e64 s[20:21], 32, v27
	s_barrier
	ds_write_b64 v29, v[4:5]
	s_waitcnt lgkmcnt(0)
	s_barrier
	s_and_saveexec_b64 s[16:17], s[20:21]
	s_cbranch_execz .LBB110_29
; %bb.28:
	v_lshlrev_b32_e32 v1, 3, v28
	ds_read2_b64 v[4:7], v1 offset1:1
	ds_read2_b64 v[32:35], v1 offset0:2 offset1:3
	ds_read2_b64 v[36:39], v1 offset0:4 offset1:5
	s_waitcnt lgkmcnt(2)
	v_add_f64 v[8:9], v[4:5], v[6:7]
	ds_read2_b64 v[4:7], v1 offset0:6 offset1:7
	s_waitcnt lgkmcnt(2)
	v_add_f64 v[8:9], v[8:9], v[32:33]
	v_add_f64 v[8:9], v[8:9], v[34:35]
	s_waitcnt lgkmcnt(1)
	v_add_f64 v[8:9], v[8:9], v[36:37]
	v_add_f64 v[8:9], v[8:9], v[38:39]
	;; [unrolled: 3-line block ×3, first 2 shown]
.LBB110_29:
	s_or_b64 exec, exec, s[16:17]
	s_lshl_b64 s[22:23], s[40:41], 8
	v_mov_b32_e32 v1, s23
	v_add_co_u32_e32 v4, vcc, s22, v2
	v_addc_co_u32_e32 v5, vcc, v3, v1, vcc
	v_add_co_u32_e32 v2, vcc, 0x100, v4
	v_cndmask_b32_e64 v1, 0, 1, s[34:35]
	s_mov_b64 s[18:19], vcc
	v_cmp_ne_u32_e64 s[16:17], 1, v1
	s_andn2_b64 vcc, exec, s[34:35]
	v_addc_co_u32_e64 v1, s[18:19], 0, v5, s[18:19]
	s_barrier
	s_cbranch_vccnz .LBB110_31
; %bb.30:
	s_lshl_b64 s[18:19], s[40:41], 6
	v_mov_b32_e32 v3, s19
	v_add_co_u32_e32 v6, vcc, s18, v4
	v_addc_co_u32_e32 v7, vcc, v5, v3, vcc
	v_add_co_u32_e32 v8, vcc, s18, v6
	v_addc_co_u32_e32 v9, vcc, v7, v3, vcc
	v_mov_b32_e32 v3, 0xc0
	v_mad_u64_u32 v[24:25], s[18:19], s40, v3, v[4:5]
	s_mul_i32 s18, s41, 0xc0
	v_add_u32_e32 v25, s18, v25
	global_load_dwordx2 v[32:33], v[4:5], off offset:256
	global_load_dwordx2 v[34:35], v[6:7], off offset:256
	;; [unrolled: 1-line block ×4, first 2 shown]
	v_mul_u32_u24_e32 v3, 33, v10
	v_add_lshl_u32 v3, v3, v0, 3
	s_waitcnt vmcnt(3)
	ds_write_b64 v3, v[32:33]
	s_waitcnt vmcnt(2)
	ds_write_b64 v3, v[34:35] offset:2112
	s_waitcnt vmcnt(1)
	ds_write_b64 v3, v[36:37] offset:4224
	;; [unrolled: 2-line block ×3, first 2 shown]
	s_cbranch_execz .LBB110_32
	s_branch .LBB110_41
.LBB110_31:
.LBB110_32:
	v_lshlrev_b32_e32 v3, 3, v0
	v_sub_co_u32_e32 v5, vcc, v2, v3
	s_ashr_i32 s25, s24, 31
	v_subbrev_co_u32_e32 v6, vcc, 0, v1, vcc
	s_lshl_b64 s[34:35], s[24:25], 3
	v_mov_b32_e32 v7, s35
	v_add_co_u32_e32 v5, vcc, s34, v5
	v_or_b32_e32 v4, 32, v0
	v_addc_co_u32_e32 v6, vcc, v6, v7, vcc
	v_add_co_u32_e32 v7, vcc, 0xfffffef8, v5
	v_cmp_gt_i32_e64 s[18:19], s24, v4
	v_addc_co_u32_e32 v5, vcc, -1, v6, vcc
	v_cndmask_b32_e64 v4, v7, v2, s[18:19]
	s_sub_i32 s25, s24, 32
	v_pk_mov_b32 v[6:7], 0, 0
	v_cndmask_b32_e64 v5, v5, v1, s[18:19]
	v_cmp_gt_i32_e32 vcc, s25, v10
	v_pk_mov_b32 v[8:9], v[6:7], v[6:7] op_sel:[0,1]
	s_and_saveexec_b64 s[36:37], vcc
	s_cbranch_execz .LBB110_34
; %bb.33:
	global_load_dwordx2 v[8:9], v[4:5], off
.LBB110_34:
	s_or_b64 exec, exec, s[36:37]
	v_mul_u32_u24_e32 v15, 33, v10
	v_add_lshl_u32 v15, v15, v0, 3
	s_waitcnt vmcnt(0)
	ds_write_b64 v15, v[8:9]
	v_add_u32_e32 v8, 8, v10
	v_cmp_gt_i32_e32 vcc, s25, v8
	s_and_saveexec_b64 s[36:37], vcc
	s_cbranch_execz .LBB110_36
; %bb.35:
	s_lshl_b64 s[38:39], s[40:41], 6
	v_mov_b32_e32 v7, s39
	v_add_co_u32_e32 v6, vcc, s38, v4
	v_addc_co_u32_e32 v7, vcc, v5, v7, vcc
	global_load_dwordx2 v[6:7], v[6:7], off
.LBB110_36:
	s_or_b64 exec, exec, s[36:37]
	s_waitcnt vmcnt(0)
	ds_write_b64 v15, v[6:7] offset:2112
	v_add_u32_e32 v6, 16, v10
	v_cmp_gt_i32_e32 vcc, s25, v6
	v_pk_mov_b32 v[6:7], 0, 0
	v_pk_mov_b32 v[8:9], v[6:7], v[6:7] op_sel:[0,1]
	s_and_saveexec_b64 s[36:37], vcc
	s_cbranch_execz .LBB110_38
; %bb.37:
	s_lshl_b64 s[38:39], s[40:41], 7
	v_mov_b32_e32 v9, s39
	v_add_co_u32_e32 v8, vcc, s38, v4
	v_addc_co_u32_e32 v9, vcc, v5, v9, vcc
	global_load_dwordx2 v[8:9], v[8:9], off
.LBB110_38:
	s_or_b64 exec, exec, s[36:37]
	s_waitcnt vmcnt(0)
	ds_write_b64 v15, v[8:9] offset:4224
	v_add_u32_e32 v8, 24, v10
	v_cmp_gt_i32_e32 vcc, s25, v8
	s_and_saveexec_b64 s[36:37], vcc
	s_cbranch_execz .LBB110_40
; %bb.39:
	v_mov_b32_e32 v6, 0xc0
	v_mad_u64_u32 v[6:7], s[38:39], s40, v6, v[4:5]
	s_mul_i32 s25, s41, 0xc0
	v_add_u32_e32 v7, s25, v7
	global_load_dwordx2 v[6:7], v[6:7], off
.LBB110_40:
	s_or_b64 exec, exec, s[36:37]
	v_add_co_u32_e32 v3, vcc, v4, v3
	v_addc_co_u32_e32 v4, vcc, 0, v5, vcc
	v_mov_b32_e32 v5, s35
	v_subrev_co_u32_e32 v3, vcc, s34, v3
	v_subb_co_u32_e32 v4, vcc, v4, v5, vcc
	v_add_co_u32_e32 v3, vcc, 0x108, v3
	v_addc_co_u32_e32 v4, vcc, 0, v4, vcc
	v_cndmask_b32_e64 v1, v4, v1, s[18:19]
	v_cndmask_b32_e64 v2, v3, v2, s[18:19]
	s_waitcnt vmcnt(0)
	ds_write_b64 v15, v[6:7] offset:6336
.LBB110_41:
	v_add_u32_e32 v12, 0x2380, v12
	s_lshl_b64 s[18:19], s[40:41], 5
	s_waitcnt lgkmcnt(0)
	s_barrier
	s_and_saveexec_b64 s[34:35], s[8:9]
	s_cbranch_execnz .LBB110_50
; %bb.42:
	s_or_b64 exec, exec, s[34:35]
	s_and_saveexec_b64 s[8:9], s[10:11]
	s_cbranch_execnz .LBB110_51
.LBB110_43:
	s_or_b64 exec, exec, s[8:9]
	s_and_saveexec_b64 s[8:9], s[12:13]
	s_cbranch_execnz .LBB110_52
.LBB110_44:
	s_or_b64 exec, exec, s[8:9]
	s_and_saveexec_b64 s[8:9], s[14:15]
	s_cbranch_execz .LBB110_46
.LBB110_45:
	ds_read_b64 v[4:5], v11
	s_waitcnt lgkmcnt(0)
	ds_write_b64 v30, v[4:5] offset:24
.LBB110_46:
	s_or_b64 exec, exec, s[8:9]
	s_waitcnt lgkmcnt(0)
	s_barrier
	ds_read_b64 v[8:9], v13
	ds_read_b128 v[4:7], v12 offset:256
	ds_read2_b64 v[32:35], v14 offset1:33
	ds_read_b128 v[36:39], v12 offset:272
	ds_read_b64 v[14:15], v11
	v_cmp_eq_u32_e64 s[8:9], 1, v10
	s_waitcnt lgkmcnt(3)
	v_fma_f64 v[4:5], v[8:9], v[4:5], 0
	s_waitcnt lgkmcnt(2)
	v_fmac_f64_e32 v[4:5], v[32:33], v[6:7]
	s_waitcnt lgkmcnt(1)
	v_fmac_f64_e32 v[4:5], v[34:35], v[36:37]
	s_waitcnt lgkmcnt(0)
	v_fmac_f64_e32 v[4:5], v[14:15], v[38:39]
	s_barrier
	ds_write_b64 v29, v[4:5]
	s_waitcnt lgkmcnt(0)
	s_barrier
	s_and_saveexec_b64 s[10:11], s[8:9]
	s_cbranch_execz .LBB110_48
; %bb.47:
	v_lshlrev_b32_e32 v3, 3, v28
	ds_read2_b64 v[4:7], v3 offset1:1
	ds_read2_b64 v[32:35], v3 offset0:2 offset1:3
	ds_read2_b64 v[36:39], v3 offset0:4 offset1:5
	s_waitcnt lgkmcnt(2)
	v_add_f64 v[8:9], v[4:5], v[6:7]
	ds_read2_b64 v[4:7], v3 offset0:6 offset1:7
	s_waitcnt lgkmcnt(2)
	v_add_f64 v[8:9], v[8:9], v[32:33]
	v_add_f64 v[8:9], v[8:9], v[34:35]
	s_waitcnt lgkmcnt(1)
	v_add_f64 v[8:9], v[8:9], v[36:37]
	v_add_f64 v[8:9], v[8:9], v[38:39]
	;; [unrolled: 3-line block ×3, first 2 shown]
.LBB110_48:
	s_or_b64 exec, exec, s[10:11]
	s_lshl_b64 s[10:11], s[18:19], 3
	v_mov_b32_e32 v3, s11
	v_subrev_co_u32_e64 v24, s[10:11], s10, v2
	s_and_b64 vcc, exec, s[16:17]
	v_subb_co_u32_e64 v25, s[10:11], v1, v3, s[10:11]
	s_barrier
	s_cbranch_vccnz .LBB110_53
; %bb.49:
	s_lshl_b64 s[10:11], s[40:41], 6
	v_mov_b32_e32 v1, s11
	v_add_co_u32_e32 v2, vcc, s10, v24
	v_addc_co_u32_e32 v3, vcc, v25, v1, vcc
	v_add_co_u32_e32 v4, vcc, s10, v2
	v_addc_co_u32_e32 v5, vcc, v3, v1, vcc
	v_mov_b32_e32 v1, 0xc0
	v_mad_u64_u32 v[6:7], s[10:11], s40, v1, v[24:25]
	s_mul_i32 s10, s41, 0xc0
	v_add_u32_e32 v7, s10, v7
	global_load_dwordx2 v[14:15], v[24:25], off
	global_load_dwordx2 v[32:33], v[2:3], off
	;; [unrolled: 1-line block ×4, first 2 shown]
	v_mad_u32_u24 v8, v10, 33, v0
	v_add_u32_e32 v6, 8, v10
	v_add_u32_e32 v7, 16, v10
	;; [unrolled: 1-line block ×3, first 2 shown]
	v_lshlrev_b32_e32 v1, 3, v8
	v_add_u32_e32 v13, 0x108, v8
	v_add_u32_e32 v5, 0x210, v8
	;; [unrolled: 1-line block ×3, first 2 shown]
	s_waitcnt vmcnt(3)
	ds_write_b64 v1, v[14:15]
	s_waitcnt vmcnt(2)
	ds_write_b64 v1, v[32:33] offset:2112
	s_waitcnt vmcnt(1)
	ds_write_b64 v1, v[34:35] offset:4224
	;; [unrolled: 2-line block ×3, first 2 shown]
	s_cbranch_execz .LBB110_54
	s_branch .LBB110_63
.LBB110_50:
	ds_read_b64 v[4:5], v13
	s_waitcnt lgkmcnt(0)
	ds_write_b64 v30, v[4:5]
	s_or_b64 exec, exec, s[34:35]
	s_and_saveexec_b64 s[8:9], s[10:11]
	s_cbranch_execz .LBB110_43
.LBB110_51:
	ds_read_b64 v[4:5], v14
	s_waitcnt lgkmcnt(0)
	ds_write_b64 v30, v[4:5] offset:8
	s_or_b64 exec, exec, s[8:9]
	s_and_saveexec_b64 s[8:9], s[12:13]
	s_cbranch_execz .LBB110_44
.LBB110_52:
	ds_read_b64 v[4:5], v14 offset:264
	s_waitcnt lgkmcnt(0)
	ds_write_b64 v30, v[4:5] offset:16
	s_or_b64 exec, exec, s[8:9]
	s_and_saveexec_b64 s[8:9], s[14:15]
	s_cbranch_execnz .LBB110_45
	s_branch .LBB110_46
.LBB110_53:
                                        ; implicit-def: $vgpr8
                                        ; implicit-def: $vgpr6
                                        ; implicit-def: $vgpr13
                                        ; implicit-def: $vgpr7
                                        ; implicit-def: $vgpr5
                                        ; implicit-def: $vgpr4
                                        ; implicit-def: $vgpr11
.LBB110_54:
	v_lshlrev_b32_e32 v9, 3, v0
	v_sub_co_u32_e32 v2, vcc, v24, v9
	s_ashr_i32 s25, s24, 31
	v_subbrev_co_u32_e32 v3, vcc, 0, v25, vcc
	s_lshl_b64 s[12:13], s[24:25], 3
	v_mov_b32_e32 v4, s13
	v_add_co_u32_e32 v2, vcc, s12, v2
	v_addc_co_u32_e32 v3, vcc, v3, v4, vcc
	v_or_b32_e32 v1, 32, v0
	v_add_co_u32_e32 v2, vcc, 0xfffffef8, v2
	v_addc_co_u32_e32 v3, vcc, -1, v3, vcc
	v_cmp_gt_i32_e64 s[10:11], s24, v1
	v_pk_mov_b32 v[4:5], 0, 0
	v_cndmask_b32_e64 v3, v3, v25, s[10:11]
	v_cndmask_b32_e64 v2, v2, v24, s[10:11]
	v_cmp_gt_i32_e32 vcc, s24, v10
	v_pk_mov_b32 v[6:7], v[4:5], v[4:5] op_sel:[0,1]
	s_and_saveexec_b64 s[14:15], vcc
	s_cbranch_execz .LBB110_56
; %bb.55:
	global_load_dwordx2 v[6:7], v[2:3], off
.LBB110_56:
	s_or_b64 exec, exec, s[14:15]
	v_mad_u32_u24 v8, v10, 33, v0
	v_lshlrev_b32_e32 v14, 3, v8
	s_waitcnt vmcnt(0)
	ds_write_b64 v14, v[6:7]
	v_add_u32_e32 v6, 8, v10
	v_cmp_gt_i32_e32 vcc, s24, v6
	s_and_saveexec_b64 s[14:15], vcc
	s_cbranch_execz .LBB110_58
; %bb.57:
	s_lshl_b64 s[16:17], s[40:41], 6
	v_mov_b32_e32 v1, s17
	v_add_co_u32_e32 v0, vcc, s16, v2
	v_addc_co_u32_e32 v1, vcc, v3, v1, vcc
	global_load_dwordx2 v[4:5], v[0:1], off
.LBB110_58:
	s_or_b64 exec, exec, s[14:15]
	v_add_u32_e32 v7, 16, v10
	v_pk_mov_b32 v[0:1], 0, 0
	s_waitcnt vmcnt(0)
	ds_write_b64 v14, v[4:5] offset:2112
	v_cmp_gt_i32_e32 vcc, s24, v7
	v_pk_mov_b32 v[4:5], v[0:1], v[0:1] op_sel:[0,1]
	s_and_saveexec_b64 s[14:15], vcc
	s_cbranch_execz .LBB110_60
; %bb.59:
	s_lshl_b64 s[16:17], s[40:41], 7
	v_mov_b32_e32 v5, s17
	v_add_co_u32_e32 v4, vcc, s16, v2
	v_addc_co_u32_e32 v5, vcc, v3, v5, vcc
	global_load_dwordx2 v[4:5], v[4:5], off
.LBB110_60:
	s_or_b64 exec, exec, s[14:15]
	s_waitcnt vmcnt(0)
	ds_write_b64 v14, v[4:5] offset:4224
	v_add_u32_e32 v4, 24, v10
	v_cmp_gt_i32_e32 vcc, s24, v4
	s_and_saveexec_b64 s[14:15], vcc
	s_cbranch_execz .LBB110_62
; %bb.61:
	v_mov_b32_e32 v0, 0xc0
	v_mad_u64_u32 v[0:1], s[16:17], s40, v0, v[2:3]
	s_mul_i32 s16, s41, 0xc0
	v_add_u32_e32 v1, s16, v1
	global_load_dwordx2 v[0:1], v[0:1], off
.LBB110_62:
	s_or_b64 exec, exec, s[14:15]
	s_waitcnt vmcnt(0)
	ds_write_b64 v14, v[0:1] offset:6336
	v_add_co_u32_e32 v0, vcc, v2, v9
	v_addc_co_u32_e32 v1, vcc, 0, v3, vcc
	v_mov_b32_e32 v2, s13
	v_subrev_co_u32_e32 v0, vcc, s12, v0
	v_subb_co_u32_e32 v1, vcc, v1, v2, vcc
	v_add_co_u32_e32 v0, vcc, 0x108, v0
	v_addc_co_u32_e32 v1, vcc, 0, v1, vcc
	v_add_u32_e32 v13, 0x108, v8
	v_add_u32_e32 v5, 0x210, v8
	v_add_u32_e32 v11, 0x318, v8
	v_cndmask_b32_e64 v25, v1, v25, s[10:11]
	v_cndmask_b32_e64 v24, v0, v24, s[10:11]
.LBB110_63:
	v_lshlrev_b32_e32 v0, 3, v8
	s_waitcnt lgkmcnt(0)
	s_barrier
	v_lshlrev_b32_e32 v1, 3, v10
	v_lshlrev_b32_e32 v2, 3, v13
	;; [unrolled: 1-line block ×3, first 2 shown]
	ds_read_b64 v[32:33], v0
	ds_read_b64 v[34:35], v1 offset:9088
	ds_read_b64 v[36:37], v2
	ds_read_b64 v[38:39], v3 offset:9088
	v_lshlrev_b32_e32 v0, 3, v5
	v_lshlrev_b32_e32 v1, 3, v7
	;; [unrolled: 1-line block ×4, first 2 shown]
	ds_read_b64 v[40:41], v0
	ds_read_b64 v[42:43], v1 offset:9088
	ds_read_b64 v[44:45], v2
	ds_read_b64 v[46:47], v3 offset:9088
	ds_read_b128 v[8:11], v12 offset:256
	ds_read_b128 v[0:3], v12 offset:272
	ds_read2_b64 v[12:15], v30 offset1:1
	ds_read2_b64 v[4:7], v30 offset0:2 offset1:3
	s_waitcnt lgkmcnt(10)
	v_fma_f64 v[30:31], v[32:33], v[34:35], 0
	s_waitcnt lgkmcnt(8)
	v_fmac_f64_e32 v[30:31], v[36:37], v[38:39]
	s_waitcnt lgkmcnt(6)
	v_fmac_f64_e32 v[30:31], v[40:41], v[42:43]
	;; [unrolled: 2-line block ×3, first 2 shown]
	s_waitcnt lgkmcnt(0)
	s_barrier
	ds_write_b64 v29, v[30:31]
	s_waitcnt lgkmcnt(0)
	s_barrier
	s_and_saveexec_b64 s[10:11], s[8:9]
	s_cbranch_execz .LBB110_65
; %bb.64:
	v_lshlrev_b32_e32 v42, 3, v28
	ds_read2_b64 v[30:33], v42 offset1:1
	ds_read2_b64 v[34:37], v42 offset0:2 offset1:3
	ds_read2_b64 v[38:41], v42 offset0:4 offset1:5
	s_waitcnt lgkmcnt(2)
	v_add_f64 v[18:19], v[18:19], v[30:31]
	v_add_f64 v[18:19], v[18:19], v[32:33]
	ds_read2_b64 v[30:33], v42 offset0:6 offset1:7
	s_waitcnt lgkmcnt(2)
	v_add_f64 v[18:19], v[18:19], v[34:35]
	v_add_f64 v[18:19], v[18:19], v[36:37]
	s_waitcnt lgkmcnt(1)
	v_add_f64 v[18:19], v[18:19], v[38:39]
	v_add_f64 v[18:19], v[18:19], v[40:41]
	;; [unrolled: 3-line block ×3, first 2 shown]
.LBB110_65:
	s_or_b64 exec, exec, s[10:11]
	v_fma_f64 v[8:9], v[12:13], v[8:9], 0
	v_fmac_f64_e32 v[8:9], v[14:15], v[10:11]
	v_fmac_f64_e32 v[8:9], v[4:5], v[0:1]
	;; [unrolled: 1-line block ×3, first 2 shown]
	s_barrier
	ds_write_b64 v29, v[8:9]
	s_waitcnt lgkmcnt(0)
	s_barrier
	s_and_saveexec_b64 s[8:9], s[20:21]
	s_cbranch_execz .LBB110_67
; %bb.66:
	v_lshlrev_b32_e32 v14, 3, v28
	ds_read2_b64 v[0:3], v14 offset1:1
	ds_read2_b64 v[4:7], v14 offset0:2 offset1:3
	ds_read2_b64 v[8:11], v14 offset0:4 offset1:5
	s_waitcnt lgkmcnt(2)
	v_add_f64 v[0:1], v[18:19], v[0:1]
	v_add_f64 v[12:13], v[0:1], v[2:3]
	ds_read2_b64 v[0:3], v14 offset0:6 offset1:7
	s_waitcnt lgkmcnt(2)
	v_add_f64 v[4:5], v[12:13], v[4:5]
	v_add_f64 v[4:5], v[4:5], v[6:7]
	s_waitcnt lgkmcnt(1)
	v_add_f64 v[4:5], v[4:5], v[8:9]
	v_add_f64 v[4:5], v[4:5], v[10:11]
	s_waitcnt lgkmcnt(0)
	v_add_f64 v[0:1], v[4:5], v[0:1]
	v_add_f64 v[18:19], v[0:1], v[2:3]
.LBB110_67:
	s_or_b64 exec, exec, s[8:9]
	s_load_dwordx2 s[4:5], s[4:5], 0x68
	s_mul_hi_u32 s8, s33, s7
	s_mul_i32 s44, s44, s7
	s_add_i32 s8, s8, s44
	s_mul_i32 s7, s33, s7
	s_mul_i32 s8, s8, s52
	s_mul_hi_u32 s9, s7, s52
	s_add_i32 s9, s9, s8
	s_mul_i32 s8, s7, s52
	s_lshl_b64 s[8:9], s[8:9], 3
	s_waitcnt lgkmcnt(0)
	s_add_u32 s7, s4, s8
	s_mul_i32 s4, s6, s33
	s_addc_u32 s8, s5, s9
	s_ashr_i32 s5, s4, 31
	s_lshl_b64 s[4:5], s[4:5], 3
	s_add_u32 s7, s7, s4
	v_cmp_le_i32_e32 vcc, s24, v26
	s_addc_u32 s20, s8, s5
	s_and_b64 vcc, s[30:31], vcc
	s_cmp_lt_i32 s6, 1
	v_lshlrev_b32_e32 v73, 3, v26
	s_barrier
	s_cbranch_scc1 .LBB110_74
; %bb.68:
	s_mul_i32 s4, s26, s49
	s_mul_hi_u32 s5, s26, s48
	s_add_i32 s4, s5, s4
	s_mul_i32 s5, s27, s48
	s_add_i32 s5, s4, s5
	s_mul_i32 s4, s26, s48
	s_lshl_b64 s[4:5], s[4:5], 3
	v_mov_b32_e32 v0, s5
	v_subrev_co_u32_e64 v74, s[4:5], s4, v20
	v_subb_co_u32_e64 v75, s[4:5], v21, v0, s[4:5]
	v_mov_b32_e32 v0, s29
	v_subrev_co_u32_e64 v1, s[4:5], s28, v24
	v_subb_co_u32_e64 v0, s[4:5], v25, v0, s[4:5]
	v_lshlrev_b32_e32 v3, 2, v72
	v_sub_co_u32_e64 v6, s[4:5], v1, v22
	v_subb_co_u32_e64 v7, s[4:5], v0, v23, s[4:5]
	v_mad_u64_u32 v[0:1], s[4:5], v3, s40, 0
	v_mov_b32_e32 v2, v1
	v_mad_u64_u32 v[2:3], s[4:5], v3, s41, v[2:3]
	v_mov_b32_e32 v1, v2
	v_lshlrev_b64 v[0:1], 3, v[0:1]
	v_add_co_u32_e64 v0, s[4:5], v6, v0
	v_addc_co_u32_e64 v1, s[4:5], v7, v1, s[4:5]
	s_ashr_i32 s25, s24, 31
	s_lshl_b64 s[4:5], s[24:25], 3
	v_mov_b32_e32 v2, s5
	v_add_co_u32_e64 v3, s[4:5], s4, v0
	v_addc_co_u32_e64 v2, s[4:5], v1, v2, s[4:5]
	s_movk_i32 s4, 0xfef8
	v_add_co_u32_e64 v3, s[4:5], s4, v3
	v_addc_co_u32_e64 v2, s[4:5], -1, v2, s[4:5]
	v_add_co_u32_e64 v0, s[4:5], v0, v73
	v_addc_co_u32_e64 v1, s[4:5], 0, v1, s[4:5]
	s_movk_i32 s4, 0xff00
	v_add_co_u32_e64 v0, s[4:5], s4, v0
	v_addc_co_u32_e64 v1, s[4:5], -1, v1, s[4:5]
	v_cndmask_b32_e32 v10, v0, v3, vcc
	v_and_b32_e32 v0, 48, v26
	v_and_b32_e32 v4, 15, v26
	v_cndmask_b32_e32 v11, v1, v2, vcc
	v_lshlrev_b32_e32 v1, 3, v0
	s_movk_i32 s8, 0x218
	v_lshrrev_b32_e32 v5, 4, v27
	v_mad_u32_u24 v78, v4, s8, v1
	v_or_b32_e32 v1, 0x78, v73
	v_mad_u32_u24 v79, v4, s8, v1
	v_lshlrev_b32_e32 v1, 5, v5
	v_mad_u32_u24 v80, v4, s8, v1
	v_mov_b32_e32 v1, 0x2180
	v_lshl_add_u32 v81, v72, 5, v1
	s_movk_i32 s9, 0x860
	v_lshlrev_b32_e32 v1, 3, v5
	v_mad_u32_u24 v82, v72, s9, v73
	v_mad_u32_u24 v83, v4, s8, v1
	s_mul_i32 s8, s41, 24
	s_mul_hi_u32 s9, s40, 24
	s_add_i32 s8, s9, s8
	s_mul_i32 s9, s41, 0x90
	s_mul_hi_u32 s16, s40, 0x90
	s_add_i32 s9, s16, s9
	;; [unrolled: 3-line block ×10, first 2 shown]
	s_mul_i32 s16, s41, 0x88
	s_mul_hi_u32 s17, s40, 0x88
	s_lshl_b64 s[10:11], s[40:41], 3
	s_lshl_b64 s[14:15], s[40:41], 4
	s_add_i32 s44, s17, s16
	s_lshl_b64 s[16:17], s[40:41], 7
	v_mov_b32_e32 v9, 0
	v_add_u32_e32 v76, 0x2180, v73
	v_add_u32_e32 v77, 0x2380, v73
	v_cmp_gt_u32_e64 s[4:5], 64, v27
	s_lshl_b64 s[12:13], s[40:41], 9
	s_mul_i32 s21, s40, 24
	s_mul_i32 s24, s40, 0x90
	;; [unrolled: 1-line block ×11, first 2 shown]
	v_or_b32_e32 v84, v0, v4
	s_mov_b32 s35, 0
	v_mov_b32_e32 v85, s11
	v_mov_b32_e32 v86, s15
	;; [unrolled: 1-line block ×15, first 2 shown]
	s_branch .LBB110_70
.LBB110_69:                             ;   in Loop: Header=BB110_70 Depth=1
	s_or_b64 exec, exec, s[18:19]
	v_fmac_f64_e32 v[18:19], v[12:13], v[24:25]
	v_fmac_f64_e32 v[18:19], v[14:15], v[26:27]
	;; [unrolled: 1-line block ×15, first 2 shown]
	v_mov_b32_e32 v0, s13
	s_add_i32 s35, s35, 64
	s_add_i32 s6, s6, -1
	v_add_co_u32_e64 v10, s[8:9], s12, v10
	v_fmac_f64_e32 v[18:19], v[64:65], v[6:7]
	s_cmp_eq_u32 s6, 0
	v_addc_co_u32_e64 v11, s[8:9], v11, v0, s[8:9]
	s_barrier
	s_cbranch_scc1 .LBB110_74
.LBB110_70:                             ; =>This Inner Loop Header: Depth=1
	s_and_saveexec_b64 s[18:19], s[2:3]
	s_cbranch_execz .LBB110_72
; %bb.71:                               ;   in Loop: Header=BB110_70 Depth=1
	s_mul_i32 s8, s35, s49
	s_mul_hi_u32 s9, s35, s48
	s_add_i32 s9, s9, s8
	s_mul_i32 s8, s35, s48
	s_lshl_b64 s[8:9], s[8:9], 3
	v_mov_b32_e32 v1, s9
	v_add_co_u32_e64 v0, s[8:9], s8, v74
	v_addc_co_u32_e64 v1, s[8:9], v75, v1, s[8:9]
	global_load_dwordx2 v[0:1], v[0:1], off
	s_waitcnt vmcnt(0)
	ds_write_b64 v76, v[0:1]
.LBB110_72:                             ;   in Loop: Header=BB110_70 Depth=1
	s_or_b64 exec, exec, s[18:19]
	v_add_co_u32_e64 v0, s[8:9], s10, v10
	v_addc_co_u32_e64 v1, s[8:9], v11, v85, s[8:9]
	v_add_co_u32_e64 v2, s[8:9], s14, v10
	s_waitcnt lgkmcnt(0)
	s_barrier
	global_load_dwordx2 v[12:13], v[10:11], off
	v_addc_co_u32_e64 v3, s[8:9], v11, v86, s[8:9]
	global_load_dwordx2 v[14:15], v[0:1], off
	global_load_dwordx2 v[20:21], v[2:3], off
	v_add_co_u32_e64 v0, s[8:9], s21, v10
	v_addc_co_u32_e64 v1, s[8:9], v11, v87, s[8:9]
	global_load_dwordx2 v[22:23], v[0:1], off
	ds_read_b64 v[0:1], v77
	ds_read_b64 v[24:25], v81
	v_add_co_u32_e64 v40, s[8:9], s16, v10
	v_addc_co_u32_e64 v41, s[8:9], v11, v88, s[8:9]
	v_add_co_u32_e64 v42, s[8:9], s34, v10
	v_addc_co_u32_e64 v43, s[8:9], v11, v89, s[8:9]
	;; [unrolled: 2-line block ×12, first 2 shown]
	s_waitcnt vmcnt(3) lgkmcnt(1)
	v_mul_f64 v[2:3], v[12:13], v[0:1]
	ds_write_b64 v82, v[2:3]
	s_waitcnt vmcnt(2)
	v_mul_f64 v[2:3], v[14:15], v[0:1]
	s_waitcnt vmcnt(1)
	v_mul_f64 v[4:5], v[20:21], v[0:1]
	ds_read_b64 v[26:27], v81 offset:8
	ds_write_b64 v82, v[2:3] offset:536
	ds_read_b64 v[28:29], v81 offset:16
	ds_write_b64 v82, v[4:5] offset:1072
	s_waitcnt vmcnt(0)
	v_mul_f64 v[0:1], v[22:23], v[0:1]
	ds_read_b64 v[30:31], v81 offset:24
	ds_write_b64 v82, v[0:1] offset:1608
	s_waitcnt lgkmcnt(0)
	s_barrier
	ds_read2_b64 v[4:7], v80 offset1:1
	ds_read2_b64 v[0:3], v80 offset0:2 offset1:3
	s_waitcnt lgkmcnt(0)
	s_barrier
	global_load_dwordx2 v[38:39], v[40:41], off
	global_load_dwordx2 v[34:35], v[42:43], off
	;; [unrolled: 1-line block ×4, first 2 shown]
	ds_read_b64 v[42:43], v77
	ds_read_b64 v[40:41], v81 offset:128
	v_add_f64 v[4:5], v[4:5], 0
	v_add_f64 v[4:5], v[4:5], v[6:7]
	;; [unrolled: 1-line block ×3, first 2 shown]
	s_waitcnt vmcnt(3) lgkmcnt(1)
	v_mul_f64 v[44:45], v[38:39], v[42:43]
	s_waitcnt vmcnt(2)
	v_mul_f64 v[46:47], v[34:35], v[42:43]
	ds_write_b64 v82, v[44:45]
	s_waitcnt vmcnt(1)
	v_mul_f64 v[48:49], v[32:33], v[42:43]
	s_waitcnt vmcnt(0)
	v_mul_f64 v[50:51], v[36:37], v[42:43]
	ds_read_b64 v[42:43], v81 offset:136
	ds_write_b64 v82, v[46:47] offset:536
	ds_read_b64 v[44:45], v81 offset:144
	ds_write_b64 v82, v[48:49] offset:1072
	;; [unrolled: 2-line block ×3, first 2 shown]
	s_waitcnt lgkmcnt(0)
	s_barrier
	ds_read2_b64 v[100:103], v80 offset1:1
	ds_read2_b64 v[104:107], v80 offset0:2 offset1:3
	s_waitcnt lgkmcnt(0)
	s_barrier
	global_load_dwordx2 v[54:55], v[56:57], off
	global_load_dwordx2 v[50:51], v[58:59], off
	;; [unrolled: 1-line block ×4, first 2 shown]
	ds_read_b64 v[58:59], v77
	ds_read_b64 v[56:57], v81 offset:256
	s_waitcnt vmcnt(3) lgkmcnt(1)
	v_mul_f64 v[60:61], v[54:55], v[58:59]
	s_waitcnt vmcnt(2)
	v_mul_f64 v[62:63], v[50:51], v[58:59]
	ds_write_b64 v82, v[60:61]
	s_waitcnt vmcnt(1)
	v_mul_f64 v[64:65], v[48:49], v[58:59]
	s_waitcnt vmcnt(0)
	v_mul_f64 v[66:67], v[52:53], v[58:59]
	ds_read_b64 v[58:59], v81 offset:264
	ds_write_b64 v82, v[62:63] offset:536
	ds_read_b64 v[60:61], v81 offset:272
	ds_write_b64 v82, v[64:65] offset:1072
	;; [unrolled: 2-line block ×3, first 2 shown]
	s_waitcnt lgkmcnt(0)
	s_barrier
	ds_read2_b64 v[108:111], v80 offset1:1
	ds_read2_b64 v[112:115], v80 offset0:2 offset1:3
	s_waitcnt lgkmcnt(0)
	s_barrier
	global_load_dwordx2 v[70:71], v[116:117], off
	global_load_dwordx2 v[68:69], v[118:119], off
	;; [unrolled: 1-line block ×4, first 2 shown]
	v_add_f64 v[116:117], v[0:1], v[2:3]
	v_add_f64 v[0:1], v[100:101], 0
	;; [unrolled: 1-line block ×5, first 2 shown]
	ds_read_b64 v[2:3], v77
	ds_read_b64 v[0:1], v81 offset:384
	v_add_f64 v[4:5], v[108:109], 0
	v_add_f64 v[4:5], v[4:5], v[110:111]
	;; [unrolled: 1-line block ×4, first 2 shown]
	s_waitcnt vmcnt(3) lgkmcnt(1)
	v_mul_f64 v[4:5], v[70:71], v[2:3]
	s_waitcnt vmcnt(2)
	v_mul_f64 v[6:7], v[68:69], v[2:3]
	ds_write_b64 v82, v[4:5]
	s_waitcnt vmcnt(1)
	v_mul_f64 v[100:101], v[66:67], v[2:3]
	s_waitcnt vmcnt(0)
	v_mul_f64 v[102:103], v[64:65], v[2:3]
	ds_read_b64 v[2:3], v81 offset:392
	ds_write_b64 v82, v[6:7] offset:536
	ds_read_b64 v[4:5], v81 offset:400
	ds_write_b64 v82, v[100:101] offset:1072
	;; [unrolled: 2-line block ×3, first 2 shown]
	s_waitcnt lgkmcnt(0)
	s_barrier
	ds_read2_b64 v[100:103], v80 offset1:1
	ds_read2_b64 v[104:107], v80 offset0:2 offset1:3
	s_waitcnt lgkmcnt(0)
	s_barrier
	v_add_f64 v[100:101], v[100:101], 0
	v_add_f64 v[100:101], v[100:101], v[102:103]
	;; [unrolled: 1-line block ×4, first 2 shown]
	ds_write2_b64 v83, v[116:117], v[118:119] offset1:16
	ds_write2_b64 v83, v[108:109], v[100:101] offset0:32 offset1:48
	s_waitcnt lgkmcnt(0)
	s_barrier
	s_and_saveexec_b64 s[18:19], s[4:5]
	s_cbranch_execz .LBB110_69
; %bb.73:                               ;   in Loop: Header=BB110_70 Depth=1
	ds_read2_b64 v[100:103], v78 offset1:1
	ds_read2_b64 v[104:107], v78 offset0:2 offset1:3
	ds_read2_b64 v[108:111], v78 offset0:4 offset1:5
	;; [unrolled: 1-line block ×3, first 2 shown]
	v_add_u32_e32 v8, s35, v84
	s_waitcnt lgkmcnt(3)
	v_add_f64 v[100:101], v[100:101], v[102:103]
	s_waitcnt lgkmcnt(2)
	v_add_f64 v[100:101], v[100:101], v[104:105]
	v_add_f64 v[100:101], v[100:101], v[106:107]
	s_waitcnt lgkmcnt(1)
	v_add_f64 v[104:105], v[100:101], v[108:109]
	ds_read2_b64 v[100:103], v78 offset0:8 offset1:9
	v_add_f64 v[104:105], v[104:105], v[110:111]
	s_waitcnt lgkmcnt(1)
	v_add_f64 v[108:109], v[104:105], v[112:113]
	ds_read2_b64 v[104:107], v78 offset0:10 offset1:11
	v_add_f64 v[108:109], v[108:109], v[114:115]
	s_waitcnt lgkmcnt(1)
	v_add_f64 v[100:101], v[108:109], v[100:101]
	v_add_f64 v[108:109], v[100:101], v[102:103]
	ds_read2_b64 v[100:103], v78 offset0:12 offset1:13
	s_waitcnt lgkmcnt(1)
	v_add_f64 v[104:105], v[108:109], v[104:105]
	ds_read_b64 v[108:109], v78 offset:112
	ds_read_b64 v[110:111], v79
	v_add_f64 v[104:105], v[104:105], v[106:107]
	s_waitcnt lgkmcnt(2)
	v_add_f64 v[100:101], v[104:105], v[100:101]
	v_add_f64 v[100:101], v[100:101], v[102:103]
	v_lshlrev_b64 v[102:103], 3, v[8:9]
	s_waitcnt lgkmcnt(1)
	v_add_f64 v[100:101], v[100:101], v[108:109]
	v_mov_b32_e32 v8, s20
	v_add_co_u32_e64 v102, s[8:9], s7, v102
	s_waitcnt lgkmcnt(0)
	v_add_f64 v[100:101], v[100:101], v[110:111]
	v_addc_co_u32_e64 v103, s[8:9], v8, v103, s[8:9]
	global_store_dwordx2 v[102:103], v[100:101], off
	s_branch .LBB110_69
.LBB110_74:
	s_movk_i32 s2, 0x218
	s_or_b64 s[0:1], s[0:1], vcc
	v_mad_u32_u24 v0, v72, s2, v73
	s_xor_b64 s[0:1], s[0:1], -1
	ds_write_b64 v0, v[18:19]
	s_waitcnt lgkmcnt(0)
	s_barrier
	s_and_saveexec_b64 s[2:3], s[0:1]
	s_cbranch_execz .LBB110_76
; %bb.75:
	ds_read2_b64 v[0:3], v73 offset1:67
	ds_read2_b64 v[4:7], v73 offset0:134 offset1:201
	v_lshlrev_b64 v[8:9], 3, v[16:17]
	v_mov_b32_e32 v10, s20
	s_waitcnt lgkmcnt(1)
	v_add_f64 v[0:1], v[0:1], v[2:3]
	s_waitcnt lgkmcnt(0)
	v_add_f64 v[0:1], v[0:1], v[4:5]
	v_add_co_u32_e32 v2, vcc, s7, v8
	v_add_f64 v[0:1], v[0:1], v[6:7]
	v_addc_co_u32_e32 v3, vcc, v10, v9, vcc
	global_store_dwordx2 v[2:3], v[0:1], off
.LBB110_76:
	s_endpgm
	.section	.rodata,"a",@progbits
	.p2align	6, 0x0
	.amdhsa_kernel _ZL26rocblas_hemvn_kernel_lowerILb0ELi64ELi4ELi33ELi32ELi16EldPKdPdEviT6_lT7_lT5_lS4_lS5_lS3_lT8_i
		.amdhsa_group_segment_fixed_size 9600
		.amdhsa_private_segment_fixed_size 0
		.amdhsa_kernarg_size 376
		.amdhsa_user_sgpr_count 6
		.amdhsa_user_sgpr_private_segment_buffer 1
		.amdhsa_user_sgpr_dispatch_ptr 0
		.amdhsa_user_sgpr_queue_ptr 0
		.amdhsa_user_sgpr_kernarg_segment_ptr 1
		.amdhsa_user_sgpr_dispatch_id 0
		.amdhsa_user_sgpr_flat_scratch_init 0
		.amdhsa_user_sgpr_kernarg_preload_length 0
		.amdhsa_user_sgpr_kernarg_preload_offset 0
		.amdhsa_user_sgpr_private_segment_size 0
		.amdhsa_uses_dynamic_stack 0
		.amdhsa_system_sgpr_private_segment_wavefront_offset 0
		.amdhsa_system_sgpr_workgroup_id_x 1
		.amdhsa_system_sgpr_workgroup_id_y 0
		.amdhsa_system_sgpr_workgroup_id_z 1
		.amdhsa_system_sgpr_workgroup_info 0
		.amdhsa_system_vgpr_workitem_id 1
		.amdhsa_next_free_vgpr 124
		.amdhsa_next_free_sgpr 53
		.amdhsa_accum_offset 124
		.amdhsa_reserve_vcc 1
		.amdhsa_reserve_flat_scratch 0
		.amdhsa_float_round_mode_32 0
		.amdhsa_float_round_mode_16_64 0
		.amdhsa_float_denorm_mode_32 3
		.amdhsa_float_denorm_mode_16_64 3
		.amdhsa_dx10_clamp 1
		.amdhsa_ieee_mode 1
		.amdhsa_fp16_overflow 0
		.amdhsa_tg_split 0
		.amdhsa_exception_fp_ieee_invalid_op 0
		.amdhsa_exception_fp_denorm_src 0
		.amdhsa_exception_fp_ieee_div_zero 0
		.amdhsa_exception_fp_ieee_overflow 0
		.amdhsa_exception_fp_ieee_underflow 0
		.amdhsa_exception_fp_ieee_inexact 0
		.amdhsa_exception_int_div_zero 0
	.end_amdhsa_kernel
	.section	.text._ZL26rocblas_hemvn_kernel_lowerILb0ELi64ELi4ELi33ELi32ELi16EldPKdPdEviT6_lT7_lT5_lS4_lS5_lS3_lT8_i,"axG",@progbits,_ZL26rocblas_hemvn_kernel_lowerILb0ELi64ELi4ELi33ELi32ELi16EldPKdPdEviT6_lT7_lT5_lS4_lS5_lS3_lT8_i,comdat
.Lfunc_end110:
	.size	_ZL26rocblas_hemvn_kernel_lowerILb0ELi64ELi4ELi33ELi32ELi16EldPKdPdEviT6_lT7_lT5_lS4_lS5_lS3_lT8_i, .Lfunc_end110-_ZL26rocblas_hemvn_kernel_lowerILb0ELi64ELi4ELi33ELi32ELi16EldPKdPdEviT6_lT7_lT5_lS4_lS5_lS3_lT8_i
                                        ; -- End function
	.section	.AMDGPU.csdata,"",@progbits
; Kernel info:
; codeLenInByte = 6336
; NumSgprs: 57
; NumVgprs: 124
; NumAgprs: 0
; TotalNumVgprs: 124
; ScratchSize: 0
; MemoryBound: 0
; FloatMode: 240
; IeeeMode: 1
; LDSByteSize: 9600 bytes/workgroup (compile time only)
; SGPRBlocks: 7
; VGPRBlocks: 15
; NumSGPRsForWavesPerEU: 57
; NumVGPRsForWavesPerEU: 124
; AccumOffset: 124
; Occupancy: 4
; WaveLimiterHint : 1
; COMPUTE_PGM_RSRC2:SCRATCH_EN: 0
; COMPUTE_PGM_RSRC2:USER_SGPR: 6
; COMPUTE_PGM_RSRC2:TRAP_HANDLER: 0
; COMPUTE_PGM_RSRC2:TGID_X_EN: 1
; COMPUTE_PGM_RSRC2:TGID_Y_EN: 0
; COMPUTE_PGM_RSRC2:TGID_Z_EN: 1
; COMPUTE_PGM_RSRC2:TIDIG_COMP_CNT: 1
; COMPUTE_PGM_RSRC3_GFX90A:ACCUM_OFFSET: 30
; COMPUTE_PGM_RSRC3_GFX90A:TG_SPLIT: 0
	.section	.text._ZL36rocblas_hemvn_kernel_lower_block_sumILi64EldPddEviT1_lS1_lT2_lT0_lPT3_i,"axG",@progbits,_ZL36rocblas_hemvn_kernel_lower_block_sumILi64EldPddEviT1_lS1_lT2_lT0_lPT3_i,comdat
	.globl	_ZL36rocblas_hemvn_kernel_lower_block_sumILi64EldPddEviT1_lS1_lT2_lT0_lPT3_i ; -- Begin function _ZL36rocblas_hemvn_kernel_lower_block_sumILi64EldPddEviT1_lS1_lT2_lT0_lPT3_i
	.p2align	8
	.type	_ZL36rocblas_hemvn_kernel_lower_block_sumILi64EldPddEviT1_lS1_lT2_lT0_lPT3_i,@function
_ZL36rocblas_hemvn_kernel_lower_block_sumILi64EldPddEviT1_lS1_lT2_lT0_lPT3_i: ; @_ZL36rocblas_hemvn_kernel_lower_block_sumILi64EldPddEviT1_lS1_lT2_lT0_lPT3_i
; %bb.0:
	s_load_dwordx2 s[8:9], s[4:5], 0x8
	s_load_dwordx2 s[10:11], s[4:5], 0x18
	s_waitcnt lgkmcnt(0)
	v_cmp_eq_f64_e64 s[0:1], s[8:9], 0
	v_cmp_eq_f64_e64 s[2:3], s[10:11], 1.0
	s_and_b64 s[0:1], s[0:1], s[2:3]
	s_and_b64 vcc, exec, s[0:1]
	s_cbranch_vccnz .LBB111_19
; %bb.1:
	s_load_dwordx2 s[12:13], s[4:5], 0x40
	s_load_dwordx4 s[0:3], s[4:5], 0x30
	s_load_dwordx2 s[16:17], s[4:5], 0x28
	s_load_dword s14, s[4:5], 0x0
	v_lshl_or_b32 v6, s6, 6, v0
	s_waitcnt lgkmcnt(0)
	s_mul_i32 s13, s7, s13
	s_mul_hi_u32 s15, s7, s12
	s_add_i32 s13, s15, s13
	s_mul_i32 s12, s7, s12
	s_lshl_b64 s[12:13], s[12:13], 3
	s_add_u32 s12, s16, s12
	s_addc_u32 s13, s17, s13
	s_lshl_b64 s[0:1], s[0:1], 3
	s_add_u32 s20, s12, s0
	s_addc_u32 s21, s13, s1
	v_cmp_neq_f64_e64 s[0:1], s[8:9], 0
	s_mov_b64 s[12:13], 0
	s_and_b64 vcc, exec, s[0:1]
	v_cmp_gt_i32_e64 s[0:1], s14, v6
	s_cbranch_vccnz .LBB111_6
; %bb.2:
	s_mov_b64 s[16:17], 0
                                        ; implicit-def: $vgpr2_vgpr3
                                        ; implicit-def: $vgpr0_vgpr1
	s_and_saveexec_b64 s[18:19], s[0:1]
	s_cbranch_execz .LBB111_7
; %bb.3:
	v_ashrrev_i32_e32 v0, 31, v6
	v_cmp_eq_f64_e64 s[0:1], s[10:11], 0
	v_mul_lo_u32 v4, v6, s3
	v_mul_lo_u32 v5, v0, s2
	v_mad_u64_u32 v[0:1], s[12:13], v6, s2, 0
	v_pk_mov_b32 v[2:3], 0, 0
	v_add3_u32 v1, v1, v4, v5
	s_and_b64 vcc, exec, s[0:1]
	s_cbranch_vccnz .LBB111_5
; %bb.4:
	v_lshlrev_b64 v[2:3], 3, v[0:1]
	v_mov_b32_e32 v4, s21
	v_add_co_u32_e32 v2, vcc, s20, v2
	v_addc_co_u32_e32 v3, vcc, v4, v3, vcc
	global_load_dwordx2 v[2:3], v[2:3], off
	s_waitcnt vmcnt(0)
	v_mul_f64 v[2:3], v[2:3], s[10:11]
.LBB111_5:
	s_mov_b64 s[12:13], exec
	s_or_b64 exec, exec, s[18:19]
	s_and_b64 vcc, exec, s[16:17]
	s_cbranch_vccnz .LBB111_8
	s_branch .LBB111_17
.LBB111_6:
                                        ; implicit-def: $vgpr2_vgpr3
                                        ; implicit-def: $vgpr0_vgpr1
	s_cbranch_execnz .LBB111_8
	s_branch .LBB111_17
.LBB111_7:
	s_or_b64 exec, exec, s[18:19]
	s_and_b64 vcc, exec, s[16:17]
	s_cbranch_vccz .LBB111_17
.LBB111_8:
	v_cmp_gt_i32_e32 vcc, s14, v6
                                        ; implicit-def: $vgpr2_vgpr3
                                        ; implicit-def: $vgpr0_vgpr1
	s_and_saveexec_b64 s[0:1], vcc
	s_cbranch_execz .LBB111_16
; %bb.9:
	s_load_dword s16, s[4:5], 0x58
	v_pk_mov_b32 v[4:5], 0, 0
	s_waitcnt lgkmcnt(0)
	s_cmp_ge_i32 s6, s16
	s_cbranch_scc1 .LBB111_12
; %bb.10:
	s_ashr_i32 s15, s14, 31
	s_mul_i32 s17, s6, s14
	s_load_dwordx2 s[4:5], s[4:5], 0x48
	v_add_u32_e32 v0, s17, v6
	s_mul_hi_u32 s17, s14, s7
	s_mul_i32 s18, s15, s7
	s_add_i32 s17, s17, s18
	s_mul_i32 s7, s14, s7
	s_mul_i32 s17, s17, s16
	s_mul_hi_u32 s18, s7, s16
	s_add_i32 s19, s18, s17
	s_mul_i32 s18, s7, s16
	s_lshl_b64 s[18:19], s[18:19], 3
	v_ashrrev_i32_e32 v1, 31, v0
	s_waitcnt lgkmcnt(0)
	s_add_u32 s4, s4, s18
	v_lshlrev_b64 v[0:1], 3, v[0:1]
	s_addc_u32 s5, s5, s19
	v_mov_b32_e32 v2, s5
	v_add_co_u32_e32 v0, vcc, s4, v0
	s_lshl_b64 s[4:5], s[14:15], 3
	v_addc_co_u32_e32 v1, vcc, v2, v1, vcc
	v_pk_mov_b32 v[4:5], 0, 0
	v_mov_b32_e32 v2, s5
.LBB111_11:                             ; =>This Inner Loop Header: Depth=1
	global_load_dwordx2 v[8:9], v[0:1], off
	s_add_i32 s6, s6, 1
	v_add_co_u32_e32 v0, vcc, s4, v0
	v_addc_co_u32_e32 v1, vcc, v1, v2, vcc
	s_cmp_ge_i32 s6, s16
	s_waitcnt vmcnt(0)
	v_add_f64 v[4:5], v[4:5], v[8:9]
	s_cbranch_scc0 .LBB111_11
.LBB111_12:
	v_cmp_eq_f64_e64 s[6:7], s[10:11], 0
	v_ashrrev_i32_e32 v0, 31, v6
	s_mov_b64 s[4:5], 0
	s_and_b64 vcc, exec, s[6:7]
	v_mul_lo_u32 v7, v6, s3
	v_mul_lo_u32 v8, v0, s2
	s_cbranch_vccz .LBB111_20
; %bb.13:
	v_mad_u64_u32 v[0:1], s[6:7], v6, s2, 0
	v_mul_f64 v[2:3], v[4:5], s[8:9]
	v_add3_u32 v1, v1, v7, v8
	s_andn2_b64 vcc, exec, s[4:5]
	s_cbranch_vccnz .LBB111_15
.LBB111_14:
	v_mad_u64_u32 v[0:1], s[2:3], v6, s2, 0
	v_add3_u32 v1, v1, v7, v8
	v_lshlrev_b64 v[2:3], 3, v[0:1]
	v_mov_b32_e32 v6, s21
	v_add_co_u32_e32 v2, vcc, s20, v2
	v_addc_co_u32_e32 v3, vcc, v6, v3, vcc
	global_load_dwordx2 v[2:3], v[2:3], off
	s_waitcnt vmcnt(0)
	v_mul_f64 v[2:3], v[2:3], s[10:11]
	v_fmac_f64_e32 v[2:3], s[8:9], v[4:5]
.LBB111_15:
	s_or_b64 s[12:13], s[12:13], exec
.LBB111_16:
	s_or_b64 exec, exec, s[0:1]
.LBB111_17:
	s_and_saveexec_b64 s[0:1], s[12:13]
	s_cbranch_execz .LBB111_19
; %bb.18:
	v_lshlrev_b64 v[0:1], 3, v[0:1]
	v_mov_b32_e32 v4, s21
	v_add_co_u32_e32 v0, vcc, s20, v0
	v_addc_co_u32_e32 v1, vcc, v4, v1, vcc
	global_store_dwordx2 v[0:1], v[2:3], off
.LBB111_19:
	s_endpgm
.LBB111_20:
                                        ; implicit-def: $vgpr2_vgpr3
                                        ; implicit-def: $vgpr0_vgpr1
	s_branch .LBB111_14
	.section	.rodata,"a",@progbits
	.p2align	6, 0x0
	.amdhsa_kernel _ZL36rocblas_hemvn_kernel_lower_block_sumILi64EldPddEviT1_lS1_lT2_lT0_lPT3_i
		.amdhsa_group_segment_fixed_size 0
		.amdhsa_private_segment_fixed_size 0
		.amdhsa_kernarg_size 344
		.amdhsa_user_sgpr_count 6
		.amdhsa_user_sgpr_private_segment_buffer 1
		.amdhsa_user_sgpr_dispatch_ptr 0
		.amdhsa_user_sgpr_queue_ptr 0
		.amdhsa_user_sgpr_kernarg_segment_ptr 1
		.amdhsa_user_sgpr_dispatch_id 0
		.amdhsa_user_sgpr_flat_scratch_init 0
		.amdhsa_user_sgpr_kernarg_preload_length 0
		.amdhsa_user_sgpr_kernarg_preload_offset 0
		.amdhsa_user_sgpr_private_segment_size 0
		.amdhsa_uses_dynamic_stack 0
		.amdhsa_system_sgpr_private_segment_wavefront_offset 0
		.amdhsa_system_sgpr_workgroup_id_x 1
		.amdhsa_system_sgpr_workgroup_id_y 0
		.amdhsa_system_sgpr_workgroup_id_z 1
		.amdhsa_system_sgpr_workgroup_info 0
		.amdhsa_system_vgpr_workitem_id 0
		.amdhsa_next_free_vgpr 10
		.amdhsa_next_free_sgpr 22
		.amdhsa_accum_offset 12
		.amdhsa_reserve_vcc 1
		.amdhsa_reserve_flat_scratch 0
		.amdhsa_float_round_mode_32 0
		.amdhsa_float_round_mode_16_64 0
		.amdhsa_float_denorm_mode_32 3
		.amdhsa_float_denorm_mode_16_64 3
		.amdhsa_dx10_clamp 1
		.amdhsa_ieee_mode 1
		.amdhsa_fp16_overflow 0
		.amdhsa_tg_split 0
		.amdhsa_exception_fp_ieee_invalid_op 0
		.amdhsa_exception_fp_denorm_src 0
		.amdhsa_exception_fp_ieee_div_zero 0
		.amdhsa_exception_fp_ieee_overflow 0
		.amdhsa_exception_fp_ieee_underflow 0
		.amdhsa_exception_fp_ieee_inexact 0
		.amdhsa_exception_int_div_zero 0
	.end_amdhsa_kernel
	.section	.text._ZL36rocblas_hemvn_kernel_lower_block_sumILi64EldPddEviT1_lS1_lT2_lT0_lPT3_i,"axG",@progbits,_ZL36rocblas_hemvn_kernel_lower_block_sumILi64EldPddEviT1_lS1_lT2_lT0_lPT3_i,comdat
.Lfunc_end111:
	.size	_ZL36rocblas_hemvn_kernel_lower_block_sumILi64EldPddEviT1_lS1_lT2_lT0_lPT3_i, .Lfunc_end111-_ZL36rocblas_hemvn_kernel_lower_block_sumILi64EldPddEviT1_lS1_lT2_lT0_lPT3_i
                                        ; -- End function
	.section	.AMDGPU.csdata,"",@progbits
; Kernel info:
; codeLenInByte = 684
; NumSgprs: 26
; NumVgprs: 10
; NumAgprs: 0
; TotalNumVgprs: 10
; ScratchSize: 0
; MemoryBound: 0
; FloatMode: 240
; IeeeMode: 1
; LDSByteSize: 0 bytes/workgroup (compile time only)
; SGPRBlocks: 3
; VGPRBlocks: 1
; NumSGPRsForWavesPerEU: 26
; NumVGPRsForWavesPerEU: 10
; AccumOffset: 12
; Occupancy: 8
; WaveLimiterHint : 0
; COMPUTE_PGM_RSRC2:SCRATCH_EN: 0
; COMPUTE_PGM_RSRC2:USER_SGPR: 6
; COMPUTE_PGM_RSRC2:TRAP_HANDLER: 0
; COMPUTE_PGM_RSRC2:TGID_X_EN: 1
; COMPUTE_PGM_RSRC2:TGID_Y_EN: 0
; COMPUTE_PGM_RSRC2:TGID_Z_EN: 1
; COMPUTE_PGM_RSRC2:TIDIG_COMP_CNT: 0
; COMPUTE_PGM_RSRC3_GFX90A:ACCUM_OFFSET: 2
; COMPUTE_PGM_RSRC3_GFX90A:TG_SPLIT: 0
	.section	.text._ZL26rocblas_hemvn_kernel_lowerILb0ELi64ELi4ELi33ELi32ELi16EidPKdPdEviT6_lT7_lT5_lS4_lS5_lS3_lT8_i,"axG",@progbits,_ZL26rocblas_hemvn_kernel_lowerILb0ELi64ELi4ELi33ELi32ELi16EidPKdPdEviT6_lT7_lT5_lS4_lS5_lS3_lT8_i,comdat
	.globl	_ZL26rocblas_hemvn_kernel_lowerILb0ELi64ELi4ELi33ELi32ELi16EidPKdPdEviT6_lT7_lT5_lS4_lS5_lS3_lT8_i ; -- Begin function _ZL26rocblas_hemvn_kernel_lowerILb0ELi64ELi4ELi33ELi32ELi16EidPKdPdEviT6_lT7_lT5_lS4_lS5_lS3_lT8_i
	.p2align	8
	.type	_ZL26rocblas_hemvn_kernel_lowerILb0ELi64ELi4ELi33ELi32ELi16EidPKdPdEviT6_lT7_lT5_lS4_lS5_lS3_lT8_i,@function
_ZL26rocblas_hemvn_kernel_lowerILb0ELi64ELi4ELi33ELi32ELi16EidPKdPdEviT6_lT7_lT5_lS4_lS5_lS3_lT8_i: ; @_ZL26rocblas_hemvn_kernel_lowerILb0ELi64ELi4ELi33ELi32ELi16EidPKdPdEviT6_lT7_lT5_lS4_lS5_lS3_lT8_i
; %bb.0:
	s_load_dwordx2 s[0:1], s[4:5], 0x84
	s_add_u32 s12, s4, 0x78
	s_addc_u32 s13, s5, 0
	s_waitcnt lgkmcnt(0)
	s_lshr_b32 s2, s0, 16
	s_and_b32 s0, s0, 0xffff
	s_and_b32 s1, s1, 0xffff
	s_mul_i32 s0, s2, s0
	s_mul_i32 s0, s0, s1
	s_cmpk_lg_i32 s0, 0x100
	s_cbranch_scc1 .LBB112_76
; %bb.1:
	s_load_dwordx2 s[8:9], s[4:5], 0x8
	s_load_dwordx4 s[0:3], s[4:5], 0x50
	s_waitcnt lgkmcnt(0)
	v_cmp_eq_f64_e64 s[8:9], s[8:9], 0
	v_cmp_eq_f64_e64 s[2:3], s[2:3], 1.0
	s_and_b64 s[2:3], s[8:9], s[2:3]
	s_and_b64 vcc, exec, s[2:3]
	s_cbranch_vccnz .LBB112_76
; %bb.2:
	s_and_b64 vcc, exec, s[8:9]
	s_cbranch_vccnz .LBB112_76
; %bb.3:
	s_load_dword s41, s[12:13], 0x0
	s_load_dword s40, s[4:5], 0x0
	s_load_dwordx4 s[8:11], s[4:5], 0x30
	s_load_dwordx2 s[2:3], s[4:5], 0x40
	s_load_dword s33, s[4:5], 0x48
	s_mul_i32 s1, s7, s1
	s_mul_hi_u32 s12, s7, s0
	s_add_i32 s1, s12, s1
	s_mul_i32 s0, s7, s0
	s_lshl_b64 s[0:1], s[0:1], 3
	s_waitcnt lgkmcnt(0)
	s_add_u32 s10, s10, s0
	s_addc_u32 s11, s11, s1
	s_lshl_b64 s[0:1], s[2:3], 3
	s_add_u32 s0, s10, s0
	s_addc_u32 s1, s11, s1
	v_and_b32_e32 v26, 0x3ff, v0
	s_lshl_b32 s26, s6, 6
	s_ashr_i32 s42, s40, 31
	s_lshr_b32 s3, s42, 26
	v_add_u32_e32 v16, s26, v26
	v_bfe_u32 v17, v0, 10, 10
	s_add_i32 s3, s40, s3
	v_mul_lo_u32 v0, v16, s33
	s_andn2_b32 s3, s3, 63
	v_ashrrev_i32_e32 v1, 31, v0
	s_add_i32 s2, s41, -1
	s_sub_i32 s3, s40, s3
	v_lshlrev_b64 v[0:1], 3, v[0:1]
	s_cmp_eq_u32 s6, s2
	v_mov_b32_e32 v2, s1
	v_add_co_u32_e32 v20, vcc, s0, v0
	s_cselect_b32 s24, s3, 0
	v_addc_co_u32_e32 v21, vcc, v2, v1, vcc
	v_cmp_ne_u32_e64 s[0:1], 0, v17
	v_cmp_eq_u32_e64 s[2:3], 0, v17
	s_and_saveexec_b64 s[10:11], s[2:3]
	s_cbranch_execz .LBB112_7
; %bb.4:
	s_cmp_eq_u32 s24, 0
	s_cselect_b64 s[12:13], -1, 0
	v_cmp_gt_i32_e32 vcc, s24, v26
	s_or_b64 s[14:15], s[12:13], vcc
	v_pk_mov_b32 v[0:1], 0, 0
	s_and_saveexec_b64 s[12:13], s[14:15]
	s_cbranch_execz .LBB112_6
; %bb.5:
	global_load_dwordx2 v[0:1], v[20:21], off
.LBB112_6:
	s_or_b64 exec, exec, s[12:13]
	v_lshlrev_b32_e32 v2, 3, v26
	s_waitcnt vmcnt(0)
	ds_write_b64 v2, v[0:1] offset:9088
.LBB112_7:
	s_or_b64 exec, exec, s[10:11]
	s_load_dwordx4 s[12:15], s[4:5], 0x18
	s_load_dword s22, s[4:5], 0x28
	s_mul_i32 s9, s7, s9
	s_mul_hi_u32 s10, s7, s8
	s_add_i32 s9, s10, s9
	s_mul_i32 s8, s7, s8
	s_lshl_b64 s[8:9], s[8:9], 3
	s_waitcnt lgkmcnt(0)
	s_add_u32 s10, s12, s8
	s_addc_u32 s11, s13, s9
	s_lshl_b64 s[8:9], s[14:15], 3
	s_add_u32 s10, s10, s8
	s_addc_u32 s11, s11, s9
	s_ashr_i32 s27, s26, 31
	v_lshl_add_u32 v27, v17, 6, v26
	s_lshl_b64 s[8:9], s[26:27], 3
	v_and_b32_e32 v0, 31, v26
	v_lshrrev_b32_e32 v10, 5, v27
	s_add_u32 s10, s10, s8
	s_addc_u32 s11, s11, s9
	v_mad_u64_u32 v[2:3], s[8:9], v10, s22, v[0:1]
	s_mul_i32 s8, s26, s22
	s_ashr_i32 s9, s8, 31
	s_lshl_b64 s[28:29], s[8:9], 3
	v_ashrrev_i32_e32 v3, 31, v2
	s_add_u32 s8, s28, s10
	v_lshlrev_b64 v[22:23], 3, v[2:3]
	s_addc_u32 s9, s29, s11
	v_mov_b32_e32 v1, s9
	v_add_co_u32_e32 v2, vcc, s8, v22
	s_cmp_lg_u32 s24, 0
	v_addc_co_u32_e32 v3, vcc, v1, v23, vcc
	s_cselect_b64 s[30:31], -1, 0
	s_cmp_eq_u32 s24, 0
	s_cselect_b64 s[34:35], -1, 0
	s_and_b64 vcc, exec, s[30:31]
	s_cbranch_vccnz .LBB112_9
; %bb.8:
	s_lshl_b32 s8, s22, 3
	s_ashr_i32 s9, s8, 31
	s_lshl_b64 s[8:9], s[8:9], 3
	v_mov_b32_e32 v1, s9
	v_add_co_u32_e32 v6, vcc, s8, v2
	s_ashr_i32 s23, s22, 31
	v_addc_co_u32_e32 v7, vcc, v3, v1, vcc
	s_lshl_b64 s[8:9], s[22:23], 6
	global_load_dwordx2 v[4:5], v[2:3], off
	global_load_dwordx2 v[8:9], v[6:7], off
	v_mov_b32_e32 v1, s9
	v_add_co_u32_e32 v6, vcc, s8, v6
	v_addc_co_u32_e32 v7, vcc, v7, v1, vcc
	global_load_dwordx2 v[12:13], v[6:7], off
	v_add_co_u32_e32 v6, vcc, s8, v6
	v_addc_co_u32_e32 v7, vcc, v7, v1, vcc
	global_load_dwordx2 v[6:7], v[6:7], off
	v_mul_u32_u24_e32 v1, 33, v10
	v_add_lshl_u32 v1, v1, v0, 3
	s_waitcnt vmcnt(3)
	ds_write_b64 v1, v[4:5]
	s_waitcnt vmcnt(2)
	ds_write_b64 v1, v[8:9] offset:2112
	s_waitcnt vmcnt(1)
	ds_write_b64 v1, v[12:13] offset:4224
	;; [unrolled: 2-line block ×3, first 2 shown]
	s_cbranch_execz .LBB112_10
	s_branch .LBB112_19
.LBB112_9:
.LBB112_10:
	v_lshlrev_b32_e32 v1, 3, v0
	v_sub_co_u32_e32 v4, vcc, v2, v1
	s_ashr_i32 s25, s24, 31
	v_subbrev_co_u32_e32 v5, vcc, 0, v3, vcc
	s_lshl_b64 s[10:11], s[24:25], 3
	v_mov_b32_e32 v6, s11
	v_add_co_u32_e32 v4, vcc, s10, v4
	v_addc_co_u32_e32 v5, vcc, v5, v6, vcc
	v_add_co_u32_e32 v4, vcc, -8, v4
	v_addc_co_u32_e32 v5, vcc, -1, v5, vcc
	v_cmp_gt_i32_e32 vcc, s24, v0
	v_pk_mov_b32 v[6:7], 0, 0
	v_cndmask_b32_e32 v5, v5, v3, vcc
	v_cndmask_b32_e32 v4, v4, v2, vcc
	v_cmp_gt_i32_e64 s[8:9], s24, v10
	v_pk_mov_b32 v[8:9], v[6:7], v[6:7] op_sel:[0,1]
	s_and_saveexec_b64 s[12:13], s[8:9]
	s_cbranch_execz .LBB112_12
; %bb.11:
	global_load_dwordx2 v[8:9], v[4:5], off
.LBB112_12:
	s_or_b64 exec, exec, s[12:13]
	v_mul_u32_u24_e32 v11, 33, v10
	v_add_lshl_u32 v11, v11, v0, 3
	s_waitcnt vmcnt(0)
	ds_write_b64 v11, v[8:9]
	v_add_u32_e32 v8, 8, v10
	v_cmp_gt_i32_e64 s[8:9], s24, v8
	s_and_saveexec_b64 s[12:13], s[8:9]
	s_cbranch_execz .LBB112_14
; %bb.13:
	s_lshl_b32 s8, s22, 3
	s_ashr_i32 s9, s8, 31
	s_lshl_b64 s[8:9], s[8:9], 3
	v_mov_b32_e32 v7, s9
	v_add_co_u32_e64 v6, s[8:9], s8, v4
	v_addc_co_u32_e64 v7, s[8:9], v5, v7, s[8:9]
	global_load_dwordx2 v[6:7], v[6:7], off
.LBB112_14:
	s_or_b64 exec, exec, s[12:13]
	s_waitcnt vmcnt(0)
	ds_write_b64 v11, v[6:7] offset:2112
	v_add_u32_e32 v6, 16, v10
	v_cmp_gt_i32_e64 s[8:9], s24, v6
	v_pk_mov_b32 v[6:7], 0, 0
	v_pk_mov_b32 v[8:9], v[6:7], v[6:7] op_sel:[0,1]
	s_and_saveexec_b64 s[12:13], s[8:9]
	s_cbranch_execz .LBB112_16
; %bb.15:
	s_lshl_b32 s8, s22, 4
	s_ashr_i32 s9, s8, 31
	s_lshl_b64 s[8:9], s[8:9], 3
	v_mov_b32_e32 v9, s9
	v_add_co_u32_e64 v8, s[8:9], s8, v4
	v_addc_co_u32_e64 v9, s[8:9], v5, v9, s[8:9]
	global_load_dwordx2 v[8:9], v[8:9], off
.LBB112_16:
	s_or_b64 exec, exec, s[12:13]
	s_waitcnt vmcnt(0)
	ds_write_b64 v11, v[8:9] offset:4224
	v_add_u32_e32 v8, 24, v10
	v_cmp_gt_i32_e64 s[8:9], s24, v8
	s_and_saveexec_b64 s[12:13], s[8:9]
	s_cbranch_execz .LBB112_18
; %bb.17:
	s_mul_i32 s8, s22, 24
	s_ashr_i32 s9, s8, 31
	s_lshl_b64 s[8:9], s[8:9], 3
	v_mov_b32_e32 v7, s9
	v_add_co_u32_e64 v6, s[8:9], s8, v4
	v_addc_co_u32_e64 v7, s[8:9], v5, v7, s[8:9]
	global_load_dwordx2 v[6:7], v[6:7], off
.LBB112_18:
	s_or_b64 exec, exec, s[12:13]
	v_add_co_u32_e64 v1, s[8:9], v4, v1
	v_addc_co_u32_e64 v4, s[8:9], 0, v5, s[8:9]
	v_mov_b32_e32 v5, s11
	v_subrev_co_u32_e64 v1, s[8:9], s10, v1
	v_subb_co_u32_e64 v4, s[8:9], v4, v5, s[8:9]
	v_add_co_u32_e64 v1, s[8:9], 8, v1
	v_addc_co_u32_e64 v4, s[8:9], 0, v4, s[8:9]
	v_cndmask_b32_e32 v3, v4, v3, vcc
	v_cndmask_b32_e32 v2, v1, v2, vcc
	s_waitcnt vmcnt(0)
	ds_write_b64 v11, v[6:7] offset:6336
.LBB112_19:
	v_lshlrev_b32_e32 v1, 2, v10
	v_mul_u32_u24_e32 v28, 33, v0
	v_cmp_lt_u32_e64 s[8:9], v1, v0
	v_add_lshl_u32 v30, v1, v28, 3
	s_waitcnt lgkmcnt(0)
	s_barrier
	s_and_saveexec_b64 s[10:11], s[8:9]
	s_cbranch_execz .LBB112_21
; %bb.20:
	v_mul_u32_u24_e32 v4, 0x84, v10
	v_add_lshl_u32 v4, v4, v0, 3
	ds_read_b64 v[4:5], v4
	s_waitcnt lgkmcnt(0)
	ds_write_b64 v30, v[4:5]
.LBB112_21:
	s_or_b64 exec, exec, s[10:11]
	v_or_b32_e32 v4, 1, v1
	v_cmp_lt_u32_e64 s[10:11], v4, v0
	s_and_saveexec_b64 s[12:13], s[10:11]
	s_cbranch_execz .LBB112_23
; %bb.22:
	v_mul_u32_u24_e32 v4, 33, v4
	v_add_lshl_u32 v4, v4, v0, 3
	ds_read_b64 v[4:5], v4
	s_waitcnt lgkmcnt(0)
	ds_write_b64 v30, v[4:5] offset:8
.LBB112_23:
	s_or_b64 exec, exec, s[12:13]
	v_or_b32_e32 v4, 2, v1
	v_cmp_lt_u32_e64 s[12:13], v4, v0
	s_and_saveexec_b64 s[14:15], s[12:13]
	s_cbranch_execz .LBB112_25
; %bb.24:
	v_mul_u32_u24_e32 v4, 33, v4
	v_add_lshl_u32 v4, v4, v0, 3
	ds_read_b64 v[4:5], v4
	s_waitcnt lgkmcnt(0)
	ds_write_b64 v30, v[4:5] offset:16
.LBB112_25:
	s_or_b64 exec, exec, s[14:15]
	v_or_b32_e32 v4, 3, v1
	v_cmp_lt_u32_e64 s[14:15], v4, v0
	v_mad_u32_u24 v4, v4, 33, v0
	v_lshlrev_b32_e32 v11, 3, v4
	s_and_saveexec_b64 s[16:17], s[14:15]
	s_cbranch_execz .LBB112_27
; %bb.26:
	ds_read_b64 v[4:5], v11
	s_waitcnt lgkmcnt(0)
	ds_write_b64 v30, v[4:5] offset:24
.LBB112_27:
	s_or_b64 exec, exec, s[16:17]
	v_mul_u32_u24_e32 v4, 0x84, v10
	v_add_lshl_u32 v13, v4, v0, 3
	s_waitcnt lgkmcnt(0)
	s_barrier
	v_lshlrev_b32_e32 v12, 3, v1
	ds_read_b64 v[8:9], v13
	ds_read_b128 v[4:7], v12 offset:9088
	v_add_u32_e32 v14, 0xfffffdf0, v11
	ds_read2_b64 v[32:35], v14 offset1:33
	ds_read_b128 v[36:39], v12 offset:9104
	ds_read_b64 v[24:25], v11
	v_pk_mov_b32 v[18:19], 0, 0
	v_add_lshl_u32 v29, v10, v28, 3
	s_waitcnt lgkmcnt(3)
	v_fma_f64 v[4:5], v[8:9], v[4:5], 0
	s_waitcnt lgkmcnt(2)
	v_fmac_f64_e32 v[4:5], v[32:33], v[6:7]
	s_waitcnt lgkmcnt(1)
	v_fmac_f64_e32 v[4:5], v[34:35], v[36:37]
	;; [unrolled: 2-line block ×3, first 2 shown]
	v_cmp_gt_u32_e64 s[20:21], 32, v27
	s_barrier
	ds_write_b64 v29, v[4:5]
	s_waitcnt lgkmcnt(0)
	s_barrier
	s_and_saveexec_b64 s[16:17], s[20:21]
	s_cbranch_execz .LBB112_29
; %bb.28:
	v_lshlrev_b32_e32 v1, 3, v28
	ds_read2_b64 v[4:7], v1 offset1:1
	ds_read2_b64 v[32:35], v1 offset0:2 offset1:3
	ds_read2_b64 v[36:39], v1 offset0:4 offset1:5
	s_waitcnt lgkmcnt(2)
	v_add_f64 v[8:9], v[4:5], v[6:7]
	ds_read2_b64 v[4:7], v1 offset0:6 offset1:7
	s_waitcnt lgkmcnt(2)
	v_add_f64 v[8:9], v[8:9], v[32:33]
	v_add_f64 v[8:9], v[8:9], v[34:35]
	s_waitcnt lgkmcnt(1)
	v_add_f64 v[8:9], v[8:9], v[36:37]
	v_add_f64 v[8:9], v[8:9], v[38:39]
	;; [unrolled: 3-line block ×3, first 2 shown]
.LBB112_29:
	s_or_b64 exec, exec, s[16:17]
	s_lshl_b32 s16, s22, 5
	s_ashr_i32 s17, s16, 31
	s_lshl_b64 s[36:37], s[16:17], 3
	v_mov_b32_e32 v1, s37
	v_add_co_u32_e32 v4, vcc, s36, v2
	v_addc_co_u32_e32 v5, vcc, v3, v1, vcc
	v_add_co_u32_e32 v2, vcc, 0x100, v4
	v_cndmask_b32_e64 v1, 0, 1, s[34:35]
	s_mov_b64 s[18:19], vcc
	v_cmp_ne_u32_e64 s[16:17], 1, v1
	s_andn2_b64 vcc, exec, s[34:35]
	v_addc_co_u32_e64 v1, s[18:19], 0, v5, s[18:19]
	s_barrier
	s_cbranch_vccnz .LBB112_31
; %bb.30:
	s_lshl_b32 s18, s22, 3
	s_ashr_i32 s19, s18, 31
	s_lshl_b64 s[18:19], s[18:19], 3
	v_mov_b32_e32 v3, s19
	v_add_co_u32_e32 v6, vcc, s18, v4
	s_ashr_i32 s23, s22, 31
	v_addc_co_u32_e32 v7, vcc, v5, v3, vcc
	s_lshl_b64 s[18:19], s[22:23], 6
	v_mov_b32_e32 v3, s19
	v_add_co_u32_e32 v8, vcc, s18, v6
	v_addc_co_u32_e32 v9, vcc, v7, v3, vcc
	v_add_co_u32_e32 v24, vcc, s18, v8
	v_addc_co_u32_e32 v25, vcc, v9, v3, vcc
	global_load_dwordx2 v[32:33], v[4:5], off offset:256
	global_load_dwordx2 v[34:35], v[6:7], off offset:256
	;; [unrolled: 1-line block ×4, first 2 shown]
	v_mul_u32_u24_e32 v3, 33, v10
	v_add_lshl_u32 v3, v3, v0, 3
	s_waitcnt vmcnt(3)
	ds_write_b64 v3, v[32:33]
	s_waitcnt vmcnt(2)
	ds_write_b64 v3, v[34:35] offset:2112
	s_waitcnt vmcnt(1)
	ds_write_b64 v3, v[36:37] offset:4224
	;; [unrolled: 2-line block ×3, first 2 shown]
	s_cbranch_execz .LBB112_32
	s_branch .LBB112_41
.LBB112_31:
.LBB112_32:
	v_lshlrev_b32_e32 v3, 3, v0
	v_sub_co_u32_e32 v5, vcc, v2, v3
	s_ashr_i32 s25, s24, 31
	v_subbrev_co_u32_e32 v6, vcc, 0, v1, vcc
	s_lshl_b64 s[34:35], s[24:25], 3
	v_mov_b32_e32 v7, s35
	v_add_co_u32_e32 v5, vcc, s34, v5
	v_or_b32_e32 v4, 32, v0
	v_addc_co_u32_e32 v6, vcc, v6, v7, vcc
	v_add_co_u32_e32 v7, vcc, 0xfffffef8, v5
	v_cmp_gt_i32_e64 s[18:19], s24, v4
	v_addc_co_u32_e32 v5, vcc, -1, v6, vcc
	v_cndmask_b32_e64 v4, v7, v2, s[18:19]
	s_sub_i32 s23, s24, 32
	v_pk_mov_b32 v[6:7], 0, 0
	v_cndmask_b32_e64 v5, v5, v1, s[18:19]
	v_cmp_gt_i32_e32 vcc, s23, v10
	v_pk_mov_b32 v[8:9], v[6:7], v[6:7] op_sel:[0,1]
	s_and_saveexec_b64 s[38:39], vcc
	s_cbranch_execz .LBB112_34
; %bb.33:
	global_load_dwordx2 v[8:9], v[4:5], off
.LBB112_34:
	s_or_b64 exec, exec, s[38:39]
	v_mul_u32_u24_e32 v15, 33, v10
	v_add_lshl_u32 v15, v15, v0, 3
	s_waitcnt vmcnt(0)
	ds_write_b64 v15, v[8:9]
	v_add_u32_e32 v8, 8, v10
	v_cmp_gt_i32_e32 vcc, s23, v8
	s_and_saveexec_b64 s[38:39], vcc
	s_cbranch_execz .LBB112_36
; %bb.35:
	s_lshl_b32 s44, s22, 3
	s_ashr_i32 s45, s44, 31
	s_lshl_b64 s[44:45], s[44:45], 3
	v_mov_b32_e32 v7, s45
	v_add_co_u32_e32 v6, vcc, s44, v4
	v_addc_co_u32_e32 v7, vcc, v5, v7, vcc
	global_load_dwordx2 v[6:7], v[6:7], off
.LBB112_36:
	s_or_b64 exec, exec, s[38:39]
	s_waitcnt vmcnt(0)
	ds_write_b64 v15, v[6:7] offset:2112
	v_add_u32_e32 v6, 16, v10
	v_cmp_gt_i32_e32 vcc, s23, v6
	v_pk_mov_b32 v[6:7], 0, 0
	v_pk_mov_b32 v[8:9], v[6:7], v[6:7] op_sel:[0,1]
	s_and_saveexec_b64 s[38:39], vcc
	s_cbranch_execz .LBB112_38
; %bb.37:
	s_lshl_b32 s44, s22, 4
	s_ashr_i32 s45, s44, 31
	s_lshl_b64 s[44:45], s[44:45], 3
	v_mov_b32_e32 v9, s45
	v_add_co_u32_e32 v8, vcc, s44, v4
	v_addc_co_u32_e32 v9, vcc, v5, v9, vcc
	global_load_dwordx2 v[8:9], v[8:9], off
.LBB112_38:
	s_or_b64 exec, exec, s[38:39]
	s_waitcnt vmcnt(0)
	ds_write_b64 v15, v[8:9] offset:4224
	v_add_u32_e32 v8, 24, v10
	v_cmp_gt_i32_e32 vcc, s23, v8
	s_and_saveexec_b64 s[38:39], vcc
	s_cbranch_execz .LBB112_40
; %bb.39:
	s_mul_i32 s44, s22, 24
	s_ashr_i32 s45, s44, 31
	s_lshl_b64 s[44:45], s[44:45], 3
	v_mov_b32_e32 v7, s45
	v_add_co_u32_e32 v6, vcc, s44, v4
	v_addc_co_u32_e32 v7, vcc, v5, v7, vcc
	global_load_dwordx2 v[6:7], v[6:7], off
.LBB112_40:
	s_or_b64 exec, exec, s[38:39]
	v_add_co_u32_e32 v3, vcc, v4, v3
	v_addc_co_u32_e32 v4, vcc, 0, v5, vcc
	v_mov_b32_e32 v5, s35
	v_subrev_co_u32_e32 v3, vcc, s34, v3
	v_subb_co_u32_e32 v4, vcc, v4, v5, vcc
	v_add_co_u32_e32 v3, vcc, 0x108, v3
	v_addc_co_u32_e32 v4, vcc, 0, v4, vcc
	v_cndmask_b32_e64 v1, v4, v1, s[18:19]
	v_cndmask_b32_e64 v2, v3, v2, s[18:19]
	s_waitcnt vmcnt(0)
	ds_write_b64 v15, v[6:7] offset:6336
.LBB112_41:
	v_add_u32_e32 v12, 0x2380, v12
	s_waitcnt lgkmcnt(0)
	s_barrier
	s_and_saveexec_b64 s[18:19], s[8:9]
	s_cbranch_execnz .LBB112_50
; %bb.42:
	s_or_b64 exec, exec, s[18:19]
	s_and_saveexec_b64 s[8:9], s[10:11]
	s_cbranch_execnz .LBB112_51
.LBB112_43:
	s_or_b64 exec, exec, s[8:9]
	s_and_saveexec_b64 s[8:9], s[12:13]
	s_cbranch_execnz .LBB112_52
.LBB112_44:
	s_or_b64 exec, exec, s[8:9]
	s_and_saveexec_b64 s[8:9], s[14:15]
	s_cbranch_execz .LBB112_46
.LBB112_45:
	ds_read_b64 v[4:5], v11
	s_waitcnt lgkmcnt(0)
	ds_write_b64 v30, v[4:5] offset:24
.LBB112_46:
	s_or_b64 exec, exec, s[8:9]
	s_waitcnt lgkmcnt(0)
	s_barrier
	ds_read_b64 v[8:9], v13
	ds_read_b128 v[4:7], v12 offset:256
	ds_read2_b64 v[32:35], v14 offset1:33
	ds_read_b128 v[36:39], v12 offset:272
	ds_read_b64 v[14:15], v11
	v_cmp_eq_u32_e64 s[8:9], 1, v10
	s_waitcnt lgkmcnt(3)
	v_fma_f64 v[4:5], v[8:9], v[4:5], 0
	s_waitcnt lgkmcnt(2)
	v_fmac_f64_e32 v[4:5], v[32:33], v[6:7]
	s_waitcnt lgkmcnt(1)
	v_fmac_f64_e32 v[4:5], v[34:35], v[36:37]
	;; [unrolled: 2-line block ×3, first 2 shown]
	s_barrier
	ds_write_b64 v29, v[4:5]
	s_waitcnt lgkmcnt(0)
	s_barrier
	s_and_saveexec_b64 s[10:11], s[8:9]
	s_cbranch_execz .LBB112_48
; %bb.47:
	v_lshlrev_b32_e32 v3, 3, v28
	ds_read2_b64 v[4:7], v3 offset1:1
	ds_read2_b64 v[32:35], v3 offset0:2 offset1:3
	ds_read2_b64 v[36:39], v3 offset0:4 offset1:5
	s_waitcnt lgkmcnt(2)
	v_add_f64 v[8:9], v[4:5], v[6:7]
	ds_read2_b64 v[4:7], v3 offset0:6 offset1:7
	s_waitcnt lgkmcnt(2)
	v_add_f64 v[8:9], v[8:9], v[32:33]
	v_add_f64 v[8:9], v[8:9], v[34:35]
	s_waitcnt lgkmcnt(1)
	v_add_f64 v[8:9], v[8:9], v[36:37]
	v_add_f64 v[8:9], v[8:9], v[38:39]
	;; [unrolled: 3-line block ×3, first 2 shown]
.LBB112_48:
	s_or_b64 exec, exec, s[10:11]
	v_mov_b32_e32 v3, s37
	v_subrev_co_u32_e64 v24, s[10:11], s36, v2
	s_and_b64 vcc, exec, s[16:17]
	v_subb_co_u32_e64 v25, s[10:11], v1, v3, s[10:11]
	s_barrier
	s_cbranch_vccnz .LBB112_53
; %bb.49:
	s_lshl_b32 s10, s22, 3
	s_ashr_i32 s11, s10, 31
	s_lshl_b64 s[10:11], s[10:11], 3
	v_mov_b32_e32 v1, s11
	v_add_co_u32_e32 v2, vcc, s10, v24
	s_ashr_i32 s23, s22, 31
	v_addc_co_u32_e32 v3, vcc, v25, v1, vcc
	s_lshl_b64 s[10:11], s[22:23], 6
	v_mov_b32_e32 v1, s11
	v_add_co_u32_e32 v4, vcc, s10, v2
	v_addc_co_u32_e32 v5, vcc, v3, v1, vcc
	v_add_co_u32_e32 v6, vcc, s10, v4
	v_addc_co_u32_e32 v7, vcc, v5, v1, vcc
	global_load_dwordx2 v[14:15], v[24:25], off
	global_load_dwordx2 v[32:33], v[2:3], off
	;; [unrolled: 1-line block ×4, first 2 shown]
	v_mad_u32_u24 v8, v10, 33, v0
	v_add_u32_e32 v6, 8, v10
	v_add_u32_e32 v7, 16, v10
	;; [unrolled: 1-line block ×3, first 2 shown]
	v_lshlrev_b32_e32 v1, 3, v8
	v_add_u32_e32 v13, 0x108, v8
	v_add_u32_e32 v5, 0x210, v8
	v_add_u32_e32 v11, 0x318, v8
	s_waitcnt vmcnt(3)
	ds_write_b64 v1, v[14:15]
	s_waitcnt vmcnt(2)
	ds_write_b64 v1, v[32:33] offset:2112
	s_waitcnt vmcnt(1)
	ds_write_b64 v1, v[34:35] offset:4224
	;; [unrolled: 2-line block ×3, first 2 shown]
	s_cbranch_execz .LBB112_54
	s_branch .LBB112_63
.LBB112_50:
	ds_read_b64 v[4:5], v13
	s_waitcnt lgkmcnt(0)
	ds_write_b64 v30, v[4:5]
	s_or_b64 exec, exec, s[18:19]
	s_and_saveexec_b64 s[8:9], s[10:11]
	s_cbranch_execz .LBB112_43
.LBB112_51:
	ds_read_b64 v[4:5], v14
	s_waitcnt lgkmcnt(0)
	ds_write_b64 v30, v[4:5] offset:8
	s_or_b64 exec, exec, s[8:9]
	s_and_saveexec_b64 s[8:9], s[12:13]
	s_cbranch_execz .LBB112_44
.LBB112_52:
	ds_read_b64 v[4:5], v14 offset:264
	s_waitcnt lgkmcnt(0)
	ds_write_b64 v30, v[4:5] offset:16
	s_or_b64 exec, exec, s[8:9]
	s_and_saveexec_b64 s[8:9], s[14:15]
	s_cbranch_execnz .LBB112_45
	s_branch .LBB112_46
.LBB112_53:
                                        ; implicit-def: $vgpr8
                                        ; implicit-def: $vgpr6
                                        ; implicit-def: $vgpr13
                                        ; implicit-def: $vgpr7
                                        ; implicit-def: $vgpr5
                                        ; implicit-def: $vgpr4
                                        ; implicit-def: $vgpr11
.LBB112_54:
	v_lshlrev_b32_e32 v9, 3, v0
	v_sub_co_u32_e32 v2, vcc, v24, v9
	s_ashr_i32 s25, s24, 31
	v_subbrev_co_u32_e32 v3, vcc, 0, v25, vcc
	s_lshl_b64 s[12:13], s[24:25], 3
	v_mov_b32_e32 v4, s13
	v_add_co_u32_e32 v2, vcc, s12, v2
	v_addc_co_u32_e32 v3, vcc, v3, v4, vcc
	v_or_b32_e32 v1, 32, v0
	v_add_co_u32_e32 v2, vcc, 0xfffffef8, v2
	v_addc_co_u32_e32 v3, vcc, -1, v3, vcc
	v_cmp_gt_i32_e64 s[10:11], s24, v1
	v_pk_mov_b32 v[4:5], 0, 0
	v_cndmask_b32_e64 v3, v3, v25, s[10:11]
	v_cndmask_b32_e64 v2, v2, v24, s[10:11]
	v_cmp_gt_i32_e32 vcc, s24, v10
	v_pk_mov_b32 v[6:7], v[4:5], v[4:5] op_sel:[0,1]
	s_and_saveexec_b64 s[14:15], vcc
	s_cbranch_execz .LBB112_56
; %bb.55:
	global_load_dwordx2 v[6:7], v[2:3], off
.LBB112_56:
	s_or_b64 exec, exec, s[14:15]
	v_mad_u32_u24 v8, v10, 33, v0
	v_lshlrev_b32_e32 v14, 3, v8
	s_waitcnt vmcnt(0)
	ds_write_b64 v14, v[6:7]
	v_add_u32_e32 v6, 8, v10
	v_cmp_gt_i32_e32 vcc, s24, v6
	s_and_saveexec_b64 s[14:15], vcc
	s_cbranch_execz .LBB112_58
; %bb.57:
	s_lshl_b32 s16, s22, 3
	s_ashr_i32 s17, s16, 31
	s_lshl_b64 s[16:17], s[16:17], 3
	v_mov_b32_e32 v1, s17
	v_add_co_u32_e32 v0, vcc, s16, v2
	v_addc_co_u32_e32 v1, vcc, v3, v1, vcc
	global_load_dwordx2 v[4:5], v[0:1], off
.LBB112_58:
	s_or_b64 exec, exec, s[14:15]
	v_add_u32_e32 v7, 16, v10
	v_pk_mov_b32 v[0:1], 0, 0
	s_waitcnt vmcnt(0)
	ds_write_b64 v14, v[4:5] offset:2112
	v_cmp_gt_i32_e32 vcc, s24, v7
	v_pk_mov_b32 v[4:5], v[0:1], v[0:1] op_sel:[0,1]
	s_and_saveexec_b64 s[14:15], vcc
	s_cbranch_execz .LBB112_60
; %bb.59:
	s_lshl_b32 s16, s22, 4
	s_ashr_i32 s17, s16, 31
	s_lshl_b64 s[16:17], s[16:17], 3
	v_mov_b32_e32 v5, s17
	v_add_co_u32_e32 v4, vcc, s16, v2
	v_addc_co_u32_e32 v5, vcc, v3, v5, vcc
	global_load_dwordx2 v[4:5], v[4:5], off
.LBB112_60:
	s_or_b64 exec, exec, s[14:15]
	s_waitcnt vmcnt(0)
	ds_write_b64 v14, v[4:5] offset:4224
	v_add_u32_e32 v4, 24, v10
	v_cmp_gt_i32_e32 vcc, s24, v4
	s_and_saveexec_b64 s[14:15], vcc
	s_cbranch_execz .LBB112_62
; %bb.61:
	s_mul_i32 s16, s22, 24
	s_ashr_i32 s17, s16, 31
	s_lshl_b64 s[16:17], s[16:17], 3
	v_mov_b32_e32 v1, s17
	v_add_co_u32_e32 v0, vcc, s16, v2
	v_addc_co_u32_e32 v1, vcc, v3, v1, vcc
	global_load_dwordx2 v[0:1], v[0:1], off
.LBB112_62:
	s_or_b64 exec, exec, s[14:15]
	s_waitcnt vmcnt(0)
	ds_write_b64 v14, v[0:1] offset:6336
	v_add_co_u32_e32 v0, vcc, v2, v9
	v_addc_co_u32_e32 v1, vcc, 0, v3, vcc
	v_mov_b32_e32 v2, s13
	v_subrev_co_u32_e32 v0, vcc, s12, v0
	v_subb_co_u32_e32 v1, vcc, v1, v2, vcc
	v_add_co_u32_e32 v0, vcc, 0x108, v0
	v_addc_co_u32_e32 v1, vcc, 0, v1, vcc
	v_add_u32_e32 v13, 0x108, v8
	v_add_u32_e32 v5, 0x210, v8
	;; [unrolled: 1-line block ×3, first 2 shown]
	v_cndmask_b32_e64 v25, v1, v25, s[10:11]
	v_cndmask_b32_e64 v24, v0, v24, s[10:11]
.LBB112_63:
	v_lshlrev_b32_e32 v0, 3, v8
	s_waitcnt lgkmcnt(0)
	s_barrier
	v_lshlrev_b32_e32 v1, 3, v10
	v_lshlrev_b32_e32 v2, 3, v13
	;; [unrolled: 1-line block ×3, first 2 shown]
	ds_read_b64 v[32:33], v0
	ds_read_b64 v[34:35], v1 offset:9088
	ds_read_b64 v[36:37], v2
	ds_read_b64 v[38:39], v3 offset:9088
	v_lshlrev_b32_e32 v0, 3, v5
	v_lshlrev_b32_e32 v1, 3, v7
	;; [unrolled: 1-line block ×4, first 2 shown]
	ds_read_b64 v[40:41], v0
	ds_read_b64 v[42:43], v1 offset:9088
	ds_read_b64 v[44:45], v2
	ds_read_b64 v[46:47], v3 offset:9088
	ds_read_b128 v[8:11], v12 offset:256
	ds_read_b128 v[0:3], v12 offset:272
	ds_read2_b64 v[12:15], v30 offset1:1
	ds_read2_b64 v[4:7], v30 offset0:2 offset1:3
	s_waitcnt lgkmcnt(10)
	v_fma_f64 v[30:31], v[32:33], v[34:35], 0
	s_waitcnt lgkmcnt(8)
	v_fmac_f64_e32 v[30:31], v[36:37], v[38:39]
	s_waitcnt lgkmcnt(6)
	v_fmac_f64_e32 v[30:31], v[40:41], v[42:43]
	;; [unrolled: 2-line block ×3, first 2 shown]
	s_waitcnt lgkmcnt(0)
	s_barrier
	ds_write_b64 v29, v[30:31]
	s_waitcnt lgkmcnt(0)
	s_barrier
	s_and_saveexec_b64 s[10:11], s[8:9]
	s_cbranch_execz .LBB112_65
; %bb.64:
	v_lshlrev_b32_e32 v42, 3, v28
	ds_read2_b64 v[30:33], v42 offset1:1
	ds_read2_b64 v[34:37], v42 offset0:2 offset1:3
	ds_read2_b64 v[38:41], v42 offset0:4 offset1:5
	s_waitcnt lgkmcnt(2)
	v_add_f64 v[18:19], v[18:19], v[30:31]
	v_add_f64 v[18:19], v[18:19], v[32:33]
	ds_read2_b64 v[30:33], v42 offset0:6 offset1:7
	s_waitcnt lgkmcnt(2)
	v_add_f64 v[18:19], v[18:19], v[34:35]
	v_add_f64 v[18:19], v[18:19], v[36:37]
	s_waitcnt lgkmcnt(1)
	v_add_f64 v[18:19], v[18:19], v[38:39]
	v_add_f64 v[18:19], v[18:19], v[40:41]
	;; [unrolled: 3-line block ×3, first 2 shown]
.LBB112_65:
	s_or_b64 exec, exec, s[10:11]
	v_fma_f64 v[8:9], v[12:13], v[8:9], 0
	v_fmac_f64_e32 v[8:9], v[14:15], v[10:11]
	v_fmac_f64_e32 v[8:9], v[4:5], v[0:1]
	;; [unrolled: 1-line block ×3, first 2 shown]
	s_barrier
	ds_write_b64 v29, v[8:9]
	s_waitcnt lgkmcnt(0)
	s_barrier
	s_and_saveexec_b64 s[8:9], s[20:21]
	s_cbranch_execz .LBB112_67
; %bb.66:
	v_lshlrev_b32_e32 v14, 3, v28
	ds_read2_b64 v[0:3], v14 offset1:1
	ds_read2_b64 v[4:7], v14 offset0:2 offset1:3
	ds_read2_b64 v[8:11], v14 offset0:4 offset1:5
	s_waitcnt lgkmcnt(2)
	v_add_f64 v[0:1], v[18:19], v[0:1]
	v_add_f64 v[12:13], v[0:1], v[2:3]
	ds_read2_b64 v[0:3], v14 offset0:6 offset1:7
	s_waitcnt lgkmcnt(2)
	v_add_f64 v[4:5], v[12:13], v[4:5]
	v_add_f64 v[4:5], v[4:5], v[6:7]
	s_waitcnt lgkmcnt(1)
	v_add_f64 v[4:5], v[4:5], v[8:9]
	v_add_f64 v[4:5], v[4:5], v[10:11]
	s_waitcnt lgkmcnt(0)
	v_add_f64 v[0:1], v[4:5], v[0:1]
	v_add_f64 v[18:19], v[0:1], v[2:3]
.LBB112_67:
	s_or_b64 exec, exec, s[8:9]
	s_load_dwordx2 s[4:5], s[4:5], 0x68
	s_mul_hi_u32 s8, s40, s7
	s_mul_i32 s42, s42, s7
	s_add_i32 s8, s8, s42
	s_mul_i32 s7, s40, s7
	s_mul_i32 s8, s8, s41
	s_mul_hi_u32 s9, s7, s41
	s_add_i32 s9, s9, s8
	s_mul_i32 s8, s7, s41
	s_lshl_b64 s[8:9], s[8:9], 3
	s_waitcnt lgkmcnt(0)
	s_add_u32 s7, s4, s8
	s_mul_i32 s4, s6, s40
	s_addc_u32 s8, s5, s9
	s_ashr_i32 s5, s4, 31
	s_lshl_b64 s[4:5], s[4:5], 3
	s_add_u32 s7, s7, s4
	v_cmp_le_i32_e32 vcc, s24, v26
	s_addc_u32 s27, s8, s5
	s_and_b64 vcc, s[30:31], vcc
	s_cmp_lt_i32 s6, 1
	v_lshlrev_b32_e32 v72, 3, v26
	s_barrier
	s_cbranch_scc1 .LBB112_74
; %bb.68:
	s_mul_i32 s4, s26, s33
	s_ashr_i32 s5, s4, 31
	s_lshl_b64 s[4:5], s[4:5], 3
	v_mov_b32_e32 v0, s5
	v_subrev_co_u32_e64 v73, s[4:5], s4, v20
	v_subb_co_u32_e64 v74, s[4:5], v21, v0, s[4:5]
	v_mov_b32_e32 v0, s29
	v_subrev_co_u32_e64 v1, s[4:5], s28, v24
	v_subb_co_u32_e64 v0, s[4:5], v25, v0, s[4:5]
	v_sub_co_u32_e64 v4, s[4:5], v1, v22
	v_subb_co_u32_e64 v5, s[4:5], v0, v23, s[4:5]
	v_mul_lo_u32 v0, v17, s22
	v_lshl_add_u32 v0, v0, 2, v26
	v_ashrrev_i32_e32 v1, 31, v0
	v_lshlrev_b64 v[0:1], 3, v[0:1]
	v_add_co_u32_e64 v0, s[4:5], v4, v0
	v_addc_co_u32_e64 v1, s[4:5], v5, v1, s[4:5]
	s_movk_i32 s4, 0xff00
	v_add_co_u32_e64 v4, s[4:5], s4, v0
	v_addc_co_u32_e64 v5, s[4:5], -1, v1, s[4:5]
	v_sub_co_u32_e64 v0, s[4:5], v0, v72
	v_subbrev_co_u32_e64 v1, s[4:5], 0, v1, s[4:5]
	s_ashr_i32 s25, s24, 31
	s_lshl_b64 s[4:5], s[24:25], 3
	v_mov_b32_e32 v6, s5
	v_add_co_u32_e64 v0, s[4:5], s4, v0
	v_addc_co_u32_e64 v1, s[4:5], v1, v6, s[4:5]
	s_movk_i32 s4, 0xfef8
	v_add_co_u32_e64 v0, s[4:5], s4, v0
	v_addc_co_u32_e64 v1, s[4:5], -1, v1, s[4:5]
	v_cndmask_b32_e32 v10, v4, v0, vcc
	v_and_b32_e32 v0, 48, v26
	v_and_b32_e32 v2, 15, v26
	v_cndmask_b32_e32 v11, v5, v1, vcc
	v_lshlrev_b32_e32 v1, 3, v0
	s_movk_i32 s8, 0x218
	v_lshrrev_b32_e32 v3, 4, v27
	v_mad_u32_u24 v77, v2, s8, v1
	v_or_b32_e32 v1, 0x78, v72
	v_mad_u32_u24 v78, v2, s8, v1
	v_lshlrev_b32_e32 v1, 5, v3
	v_mad_u32_u24 v79, v2, s8, v1
	v_mov_b32_e32 v1, 0x2180
	s_ashr_i32 s23, s22, 31
	v_lshl_add_u32 v80, v17, 5, v1
	s_movk_i32 s9, 0x860
	v_lshlrev_b32_e32 v1, 3, v3
	v_mad_u32_u24 v81, v17, s9, v72
	v_mad_u32_u24 v82, v2, s8, v1
	s_lshl_b64 s[10:11], s[22:23], 3
	s_lshl_b64 s[14:15], s[22:23], 4
	s_mul_hi_i32 s8, s22, 24
	s_mul_hi_i32 s9, s22, 0x90
	;; [unrolled: 1-line block ×10, first 2 shown]
	s_lshl_b64 s[16:17], s[22:23], 8
	s_mul_hi_i32 s45, s22, 0x88
	s_lshl_b64 s[18:19], s[22:23], 7
	v_mov_b32_e32 v9, 0
	s_lshl_b32 s24, s33, 6
	v_add_u32_e32 v75, 0x2180, v72
	v_add_u32_e32 v76, 0x2380, v72
	v_cmp_gt_u32_e64 s[4:5], 64, v27
	s_lshl_b64 s[12:13], s[22:23], 9
	s_mul_i32 s25, s22, 24
	s_mul_i32 s26, s22, 0x90
	;; [unrolled: 1-line block ×11, first 2 shown]
	v_or_b32_e32 v8, v0, v2
	s_mov_b32 s20, 0
	v_mov_b32_e32 v83, s11
	v_mov_b32_e32 v84, s15
	;; [unrolled: 1-line block ×15, first 2 shown]
	s_branch .LBB112_70
.LBB112_69:                             ;   in Loop: Header=BB112_70 Depth=1
	s_or_b64 exec, exec, s[22:23]
	v_fmac_f64_e32 v[18:19], v[12:13], v[24:25]
	v_fmac_f64_e32 v[18:19], v[14:15], v[26:27]
	;; [unrolled: 1-line block ×15, first 2 shown]
	v_mov_b32_e32 v0, s13
	v_add_co_u32_e64 v10, s[8:9], s12, v10
	s_add_i32 s6, s6, -1
	s_add_i32 s20, s20, s24
	v_fmac_f64_e32 v[18:19], v[64:65], v[6:7]
	v_addc_co_u32_e64 v11, s[8:9], v11, v0, s[8:9]
	s_cmp_eq_u32 s6, 0
	v_add_u32_e32 v8, 64, v8
	s_barrier
	s_cbranch_scc1 .LBB112_74
.LBB112_70:                             ; =>This Inner Loop Header: Depth=1
	s_and_saveexec_b64 s[22:23], s[2:3]
	s_cbranch_execz .LBB112_72
; %bb.71:                               ;   in Loop: Header=BB112_70 Depth=1
	s_ashr_i32 s21, s20, 31
	s_lshl_b64 s[8:9], s[20:21], 3
	v_mov_b32_e32 v1, s9
	v_add_co_u32_e64 v0, s[8:9], s8, v73
	v_addc_co_u32_e64 v1, s[8:9], v74, v1, s[8:9]
	global_load_dwordx2 v[0:1], v[0:1], off
	s_waitcnt vmcnt(0)
	ds_write_b64 v75, v[0:1]
.LBB112_72:                             ;   in Loop: Header=BB112_70 Depth=1
	s_or_b64 exec, exec, s[22:23]
	v_add_co_u32_e64 v0, s[8:9], s10, v10
	v_addc_co_u32_e64 v1, s[8:9], v11, v83, s[8:9]
	v_add_co_u32_e64 v2, s[8:9], s14, v10
	s_waitcnt lgkmcnt(0)
	s_barrier
	global_load_dwordx2 v[12:13], v[10:11], off
	v_addc_co_u32_e64 v3, s[8:9], v11, v84, s[8:9]
	global_load_dwordx2 v[14:15], v[0:1], off
	global_load_dwordx2 v[20:21], v[2:3], off
	v_add_co_u32_e64 v0, s[8:9], s25, v10
	v_addc_co_u32_e64 v1, s[8:9], v11, v85, s[8:9]
	global_load_dwordx2 v[22:23], v[0:1], off
	ds_read_b64 v[0:1], v76
	ds_read_b64 v[24:25], v80
	v_add_co_u32_e64 v40, s[8:9], s18, v10
	v_addc_co_u32_e64 v41, s[8:9], v11, v86, s[8:9]
	v_add_co_u32_e64 v42, s[8:9], s37, v10
	v_addc_co_u32_e64 v43, s[8:9], v11, v87, s[8:9]
	;; [unrolled: 2-line block ×12, first 2 shown]
	s_waitcnt vmcnt(3) lgkmcnt(1)
	v_mul_f64 v[2:3], v[12:13], v[0:1]
	ds_write_b64 v81, v[2:3]
	s_waitcnt vmcnt(2)
	v_mul_f64 v[2:3], v[14:15], v[0:1]
	s_waitcnt vmcnt(1)
	v_mul_f64 v[4:5], v[20:21], v[0:1]
	ds_read_b64 v[26:27], v80 offset:8
	ds_write_b64 v81, v[2:3] offset:536
	ds_read_b64 v[28:29], v80 offset:16
	ds_write_b64 v81, v[4:5] offset:1072
	s_waitcnt vmcnt(0)
	v_mul_f64 v[0:1], v[22:23], v[0:1]
	ds_read_b64 v[30:31], v80 offset:24
	ds_write_b64 v81, v[0:1] offset:1608
	s_waitcnt lgkmcnt(0)
	s_barrier
	ds_read2_b64 v[4:7], v79 offset1:1
	ds_read2_b64 v[0:3], v79 offset0:2 offset1:3
	s_waitcnt lgkmcnt(0)
	s_barrier
	global_load_dwordx2 v[38:39], v[40:41], off
	global_load_dwordx2 v[34:35], v[42:43], off
	;; [unrolled: 1-line block ×4, first 2 shown]
	ds_read_b64 v[42:43], v76
	ds_read_b64 v[40:41], v80 offset:128
	v_add_f64 v[4:5], v[4:5], 0
	v_add_f64 v[4:5], v[4:5], v[6:7]
	;; [unrolled: 1-line block ×3, first 2 shown]
	s_waitcnt vmcnt(3) lgkmcnt(1)
	v_mul_f64 v[44:45], v[38:39], v[42:43]
	s_waitcnt vmcnt(2)
	v_mul_f64 v[46:47], v[34:35], v[42:43]
	ds_write_b64 v81, v[44:45]
	s_waitcnt vmcnt(1)
	v_mul_f64 v[48:49], v[32:33], v[42:43]
	s_waitcnt vmcnt(0)
	v_mul_f64 v[50:51], v[36:37], v[42:43]
	ds_read_b64 v[42:43], v80 offset:136
	ds_write_b64 v81, v[46:47] offset:536
	ds_read_b64 v[44:45], v80 offset:144
	ds_write_b64 v81, v[48:49] offset:1072
	;; [unrolled: 2-line block ×3, first 2 shown]
	s_waitcnt lgkmcnt(0)
	s_barrier
	ds_read2_b64 v[98:101], v79 offset1:1
	ds_read2_b64 v[102:105], v79 offset0:2 offset1:3
	s_waitcnt lgkmcnt(0)
	s_barrier
	global_load_dwordx2 v[54:55], v[56:57], off
	global_load_dwordx2 v[50:51], v[58:59], off
	;; [unrolled: 1-line block ×4, first 2 shown]
	ds_read_b64 v[58:59], v76
	ds_read_b64 v[56:57], v80 offset:256
	s_waitcnt vmcnt(3) lgkmcnt(1)
	v_mul_f64 v[60:61], v[54:55], v[58:59]
	s_waitcnt vmcnt(2)
	v_mul_f64 v[62:63], v[50:51], v[58:59]
	ds_write_b64 v81, v[60:61]
	s_waitcnt vmcnt(1)
	v_mul_f64 v[64:65], v[48:49], v[58:59]
	s_waitcnt vmcnt(0)
	v_mul_f64 v[66:67], v[52:53], v[58:59]
	ds_read_b64 v[58:59], v80 offset:264
	ds_write_b64 v81, v[62:63] offset:536
	ds_read_b64 v[60:61], v80 offset:272
	ds_write_b64 v81, v[64:65] offset:1072
	;; [unrolled: 2-line block ×3, first 2 shown]
	s_waitcnt lgkmcnt(0)
	s_barrier
	ds_read2_b64 v[106:109], v79 offset1:1
	ds_read2_b64 v[110:113], v79 offset0:2 offset1:3
	s_waitcnt lgkmcnt(0)
	s_barrier
	global_load_dwordx2 v[70:71], v[114:115], off
	global_load_dwordx2 v[68:69], v[116:117], off
	;; [unrolled: 1-line block ×4, first 2 shown]
	v_add_f64 v[114:115], v[0:1], v[2:3]
	v_add_f64 v[0:1], v[98:99], 0
	;; [unrolled: 1-line block ×5, first 2 shown]
	ds_read_b64 v[2:3], v76
	ds_read_b64 v[0:1], v80 offset:384
	v_add_f64 v[4:5], v[106:107], 0
	v_add_f64 v[4:5], v[4:5], v[108:109]
	;; [unrolled: 1-line block ×4, first 2 shown]
	s_waitcnt vmcnt(3) lgkmcnt(1)
	v_mul_f64 v[4:5], v[70:71], v[2:3]
	s_waitcnt vmcnt(2)
	v_mul_f64 v[6:7], v[68:69], v[2:3]
	ds_write_b64 v81, v[4:5]
	s_waitcnt vmcnt(1)
	v_mul_f64 v[98:99], v[66:67], v[2:3]
	s_waitcnt vmcnt(0)
	v_mul_f64 v[100:101], v[64:65], v[2:3]
	ds_read_b64 v[2:3], v80 offset:392
	ds_write_b64 v81, v[6:7] offset:536
	ds_read_b64 v[4:5], v80 offset:400
	ds_write_b64 v81, v[98:99] offset:1072
	;; [unrolled: 2-line block ×3, first 2 shown]
	s_waitcnt lgkmcnt(0)
	s_barrier
	ds_read2_b64 v[98:101], v79 offset1:1
	ds_read2_b64 v[102:105], v79 offset0:2 offset1:3
	s_waitcnt lgkmcnt(0)
	s_barrier
	v_add_f64 v[98:99], v[98:99], 0
	v_add_f64 v[98:99], v[98:99], v[100:101]
	;; [unrolled: 1-line block ×4, first 2 shown]
	ds_write2_b64 v82, v[114:115], v[116:117] offset1:16
	ds_write2_b64 v82, v[106:107], v[98:99] offset0:32 offset1:48
	s_waitcnt lgkmcnt(0)
	s_barrier
	s_and_saveexec_b64 s[22:23], s[4:5]
	s_cbranch_execz .LBB112_69
; %bb.73:                               ;   in Loop: Header=BB112_70 Depth=1
	ds_read2_b64 v[98:101], v77 offset1:1
	ds_read2_b64 v[102:105], v77 offset0:2 offset1:3
	ds_read2_b64 v[106:109], v77 offset0:4 offset1:5
	;; [unrolled: 1-line block ×3, first 2 shown]
	s_waitcnt lgkmcnt(3)
	v_add_f64 v[98:99], v[98:99], v[100:101]
	s_waitcnt lgkmcnt(2)
	v_add_f64 v[98:99], v[98:99], v[102:103]
	v_add_f64 v[98:99], v[98:99], v[104:105]
	s_waitcnt lgkmcnt(1)
	v_add_f64 v[102:103], v[98:99], v[106:107]
	ds_read2_b64 v[98:101], v77 offset0:8 offset1:9
	v_add_f64 v[102:103], v[102:103], v[108:109]
	s_waitcnt lgkmcnt(1)
	v_add_f64 v[106:107], v[102:103], v[110:111]
	ds_read2_b64 v[102:105], v77 offset0:10 offset1:11
	v_add_f64 v[106:107], v[106:107], v[112:113]
	s_waitcnt lgkmcnt(1)
	v_add_f64 v[98:99], v[106:107], v[98:99]
	v_add_f64 v[106:107], v[98:99], v[100:101]
	ds_read2_b64 v[98:101], v77 offset0:12 offset1:13
	s_waitcnt lgkmcnt(1)
	v_add_f64 v[102:103], v[106:107], v[102:103]
	ds_read_b64 v[106:107], v77 offset:112
	ds_read_b64 v[108:109], v78
	v_add_f64 v[102:103], v[102:103], v[104:105]
	s_waitcnt lgkmcnt(2)
	v_add_f64 v[98:99], v[102:103], v[98:99]
	v_add_f64 v[98:99], v[98:99], v[100:101]
	v_lshlrev_b64 v[100:101], 3, v[8:9]
	s_waitcnt lgkmcnt(1)
	v_add_f64 v[98:99], v[98:99], v[106:107]
	v_mov_b32_e32 v102, s27
	v_add_co_u32_e64 v100, s[8:9], s7, v100
	s_waitcnt lgkmcnt(0)
	v_add_f64 v[98:99], v[98:99], v[108:109]
	v_addc_co_u32_e64 v101, s[8:9], v102, v101, s[8:9]
	global_store_dwordx2 v[100:101], v[98:99], off
	s_branch .LBB112_69
.LBB112_74:
	s_movk_i32 s2, 0x218
	s_or_b64 s[0:1], s[0:1], vcc
	v_mad_u32_u24 v0, v17, s2, v72
	s_xor_b64 s[0:1], s[0:1], -1
	ds_write_b64 v0, v[18:19]
	s_waitcnt lgkmcnt(0)
	s_barrier
	s_and_saveexec_b64 s[2:3], s[0:1]
	s_cbranch_execz .LBB112_76
; %bb.75:
	ds_read2_b64 v[0:3], v72 offset1:67
	ds_read2_b64 v[4:7], v72 offset0:134 offset1:201
	v_ashrrev_i32_e32 v17, 31, v16
	v_lshlrev_b64 v[8:9], 3, v[16:17]
	v_mov_b32_e32 v10, s27
	s_waitcnt lgkmcnt(1)
	v_add_f64 v[0:1], v[0:1], v[2:3]
	s_waitcnt lgkmcnt(0)
	v_add_f64 v[0:1], v[0:1], v[4:5]
	v_add_co_u32_e32 v2, vcc, s7, v8
	v_add_f64 v[0:1], v[0:1], v[6:7]
	v_addc_co_u32_e32 v3, vcc, v10, v9, vcc
	global_store_dwordx2 v[2:3], v[0:1], off
.LBB112_76:
	s_endpgm
	.section	.rodata,"a",@progbits
	.p2align	6, 0x0
	.amdhsa_kernel _ZL26rocblas_hemvn_kernel_lowerILb0ELi64ELi4ELi33ELi32ELi16EidPKdPdEviT6_lT7_lT5_lS4_lS5_lS3_lT8_i
		.amdhsa_group_segment_fixed_size 9600
		.amdhsa_private_segment_fixed_size 0
		.amdhsa_kernarg_size 376
		.amdhsa_user_sgpr_count 6
		.amdhsa_user_sgpr_private_segment_buffer 1
		.amdhsa_user_sgpr_dispatch_ptr 0
		.amdhsa_user_sgpr_queue_ptr 0
		.amdhsa_user_sgpr_kernarg_segment_ptr 1
		.amdhsa_user_sgpr_dispatch_id 0
		.amdhsa_user_sgpr_flat_scratch_init 0
		.amdhsa_user_sgpr_kernarg_preload_length 0
		.amdhsa_user_sgpr_kernarg_preload_offset 0
		.amdhsa_user_sgpr_private_segment_size 0
		.amdhsa_uses_dynamic_stack 0
		.amdhsa_system_sgpr_private_segment_wavefront_offset 0
		.amdhsa_system_sgpr_workgroup_id_x 1
		.amdhsa_system_sgpr_workgroup_id_y 0
		.amdhsa_system_sgpr_workgroup_id_z 1
		.amdhsa_system_sgpr_workgroup_info 0
		.amdhsa_system_vgpr_workitem_id 1
		.amdhsa_next_free_vgpr 122
		.amdhsa_next_free_sgpr 46
		.amdhsa_accum_offset 124
		.amdhsa_reserve_vcc 1
		.amdhsa_reserve_flat_scratch 0
		.amdhsa_float_round_mode_32 0
		.amdhsa_float_round_mode_16_64 0
		.amdhsa_float_denorm_mode_32 3
		.amdhsa_float_denorm_mode_16_64 3
		.amdhsa_dx10_clamp 1
		.amdhsa_ieee_mode 1
		.amdhsa_fp16_overflow 0
		.amdhsa_tg_split 0
		.amdhsa_exception_fp_ieee_invalid_op 0
		.amdhsa_exception_fp_denorm_src 0
		.amdhsa_exception_fp_ieee_div_zero 0
		.amdhsa_exception_fp_ieee_overflow 0
		.amdhsa_exception_fp_ieee_underflow 0
		.amdhsa_exception_fp_ieee_inexact 0
		.amdhsa_exception_int_div_zero 0
	.end_amdhsa_kernel
	.section	.text._ZL26rocblas_hemvn_kernel_lowerILb0ELi64ELi4ELi33ELi32ELi16EidPKdPdEviT6_lT7_lT5_lS4_lS5_lS3_lT8_i,"axG",@progbits,_ZL26rocblas_hemvn_kernel_lowerILb0ELi64ELi4ELi33ELi32ELi16EidPKdPdEviT6_lT7_lT5_lS4_lS5_lS3_lT8_i,comdat
.Lfunc_end112:
	.size	_ZL26rocblas_hemvn_kernel_lowerILb0ELi64ELi4ELi33ELi32ELi16EidPKdPdEviT6_lT7_lT5_lS4_lS5_lS3_lT8_i, .Lfunc_end112-_ZL26rocblas_hemvn_kernel_lowerILb0ELi64ELi4ELi33ELi32ELi16EidPKdPdEviT6_lT7_lT5_lS4_lS5_lS3_lT8_i
                                        ; -- End function
	.section	.AMDGPU.csdata,"",@progbits
; Kernel info:
; codeLenInByte = 6216
; NumSgprs: 50
; NumVgprs: 122
; NumAgprs: 0
; TotalNumVgprs: 122
; ScratchSize: 0
; MemoryBound: 0
; FloatMode: 240
; IeeeMode: 1
; LDSByteSize: 9600 bytes/workgroup (compile time only)
; SGPRBlocks: 6
; VGPRBlocks: 15
; NumSGPRsForWavesPerEU: 50
; NumVGPRsForWavesPerEU: 122
; AccumOffset: 124
; Occupancy: 4
; WaveLimiterHint : 1
; COMPUTE_PGM_RSRC2:SCRATCH_EN: 0
; COMPUTE_PGM_RSRC2:USER_SGPR: 6
; COMPUTE_PGM_RSRC2:TRAP_HANDLER: 0
; COMPUTE_PGM_RSRC2:TGID_X_EN: 1
; COMPUTE_PGM_RSRC2:TGID_Y_EN: 0
; COMPUTE_PGM_RSRC2:TGID_Z_EN: 1
; COMPUTE_PGM_RSRC2:TIDIG_COMP_CNT: 1
; COMPUTE_PGM_RSRC3_GFX90A:ACCUM_OFFSET: 30
; COMPUTE_PGM_RSRC3_GFX90A:TG_SPLIT: 0
	.section	.text._ZL36rocblas_hemvn_kernel_lower_block_sumILi64EidPddEviT1_lS1_lT2_lT0_lPT3_i,"axG",@progbits,_ZL36rocblas_hemvn_kernel_lower_block_sumILi64EidPddEviT1_lS1_lT2_lT0_lPT3_i,comdat
	.globl	_ZL36rocblas_hemvn_kernel_lower_block_sumILi64EidPddEviT1_lS1_lT2_lT0_lPT3_i ; -- Begin function _ZL36rocblas_hemvn_kernel_lower_block_sumILi64EidPddEviT1_lS1_lT2_lT0_lPT3_i
	.p2align	8
	.type	_ZL36rocblas_hemvn_kernel_lower_block_sumILi64EidPddEviT1_lS1_lT2_lT0_lPT3_i,@function
_ZL36rocblas_hemvn_kernel_lower_block_sumILi64EidPddEviT1_lS1_lT2_lT0_lPT3_i: ; @_ZL36rocblas_hemvn_kernel_lower_block_sumILi64EidPddEviT1_lS1_lT2_lT0_lPT3_i
; %bb.0:
	s_load_dwordx2 s[2:3], s[4:5], 0x8
	s_load_dwordx2 s[8:9], s[4:5], 0x18
	s_waitcnt lgkmcnt(0)
	v_cmp_eq_f64_e64 s[0:1], s[2:3], 0
	v_cmp_eq_f64_e64 s[10:11], s[8:9], 1.0
	s_and_b64 s[0:1], s[0:1], s[10:11]
	s_and_b64 vcc, exec, s[0:1]
	s_cbranch_vccnz .LBB113_19
; %bb.1:
	s_load_dwordx2 s[0:1], s[4:5], 0x40
	s_load_dword s20, s[4:5], 0x38
	s_load_dwordx4 s[16:19], s[4:5], 0x28
	s_load_dword s12, s[4:5], 0x0
	v_lshl_or_b32 v6, s6, 6, v0
	s_waitcnt lgkmcnt(0)
	s_mul_i32 s1, s7, s1
	s_mul_hi_u32 s10, s7, s0
	s_add_i32 s1, s10, s1
	s_mul_i32 s0, s7, s0
	s_lshl_b64 s[0:1], s[0:1], 3
	s_add_u32 s10, s16, s0
	s_addc_u32 s11, s17, s1
	s_lshl_b64 s[0:1], s[18:19], 3
	s_add_u32 s18, s10, s0
	s_addc_u32 s19, s11, s1
	v_cmp_neq_f64_e64 s[0:1], s[2:3], 0
	s_mov_b64 s[10:11], 0
	s_and_b64 vcc, exec, s[0:1]
	v_cmp_gt_i32_e64 s[0:1], s12, v6
	s_cbranch_vccnz .LBB113_6
; %bb.2:
	s_mov_b64 s[14:15], 0
                                        ; implicit-def: $vgpr2_vgpr3
                                        ; implicit-def: $vgpr0_vgpr1
	s_and_saveexec_b64 s[16:17], s[0:1]
	s_cbranch_execz .LBB113_7
; %bb.3:
	v_cmp_eq_f64_e64 s[0:1], s[8:9], 0
	v_mul_lo_u32 v0, v6, s20
	v_pk_mov_b32 v[2:3], 0, 0
	v_ashrrev_i32_e32 v1, 31, v0
	s_and_b64 vcc, exec, s[0:1]
	s_cbranch_vccnz .LBB113_5
; %bb.4:
	v_lshlrev_b64 v[2:3], 3, v[0:1]
	v_mov_b32_e32 v4, s19
	v_add_co_u32_e32 v2, vcc, s18, v2
	v_addc_co_u32_e32 v3, vcc, v4, v3, vcc
	global_load_dwordx2 v[2:3], v[2:3], off
	s_waitcnt vmcnt(0)
	v_mul_f64 v[2:3], v[2:3], s[8:9]
.LBB113_5:
	s_mov_b64 s[10:11], exec
	s_or_b64 exec, exec, s[16:17]
	s_and_b64 vcc, exec, s[14:15]
	s_cbranch_vccnz .LBB113_8
	s_branch .LBB113_17
.LBB113_6:
                                        ; implicit-def: $vgpr2_vgpr3
                                        ; implicit-def: $vgpr0_vgpr1
	s_cbranch_execnz .LBB113_8
	s_branch .LBB113_17
.LBB113_7:
	s_or_b64 exec, exec, s[16:17]
	s_and_b64 vcc, exec, s[14:15]
	s_cbranch_vccz .LBB113_17
.LBB113_8:
	v_cmp_gt_i32_e32 vcc, s12, v6
                                        ; implicit-def: $vgpr2_vgpr3
                                        ; implicit-def: $vgpr0_vgpr1
	s_and_saveexec_b64 s[0:1], vcc
	s_cbranch_execz .LBB113_16
; %bb.9:
	s_load_dword s14, s[4:5], 0x58
	v_pk_mov_b32 v[4:5], 0, 0
	s_waitcnt lgkmcnt(0)
	s_cmp_ge_i32 s6, s14
	s_cbranch_scc1 .LBB113_12
; %bb.10:
	s_ashr_i32 s13, s12, 31
	s_mul_i32 s15, s6, s12
	s_load_dwordx2 s[4:5], s[4:5], 0x48
	v_add_u32_e32 v0, s15, v6
	s_mul_hi_u32 s15, s12, s7
	s_mul_i32 s16, s13, s7
	s_add_i32 s15, s15, s16
	s_mul_i32 s7, s12, s7
	s_mul_i32 s15, s15, s14
	s_mul_hi_u32 s16, s7, s14
	s_add_i32 s17, s16, s15
	s_mul_i32 s16, s7, s14
	s_lshl_b64 s[16:17], s[16:17], 3
	v_ashrrev_i32_e32 v1, 31, v0
	s_waitcnt lgkmcnt(0)
	s_add_u32 s4, s4, s16
	v_lshlrev_b64 v[0:1], 3, v[0:1]
	s_addc_u32 s5, s5, s17
	v_mov_b32_e32 v2, s5
	v_add_co_u32_e32 v0, vcc, s4, v0
	s_lshl_b64 s[4:5], s[12:13], 3
	v_addc_co_u32_e32 v1, vcc, v2, v1, vcc
	v_pk_mov_b32 v[4:5], 0, 0
	v_mov_b32_e32 v2, s5
.LBB113_11:                             ; =>This Inner Loop Header: Depth=1
	global_load_dwordx2 v[8:9], v[0:1], off
	s_add_i32 s6, s6, 1
	v_add_co_u32_e32 v0, vcc, s4, v0
	v_addc_co_u32_e32 v1, vcc, v1, v2, vcc
	s_cmp_ge_i32 s6, s14
	s_waitcnt vmcnt(0)
	v_add_f64 v[4:5], v[4:5], v[8:9]
	s_cbranch_scc0 .LBB113_11
.LBB113_12:
	v_cmp_eq_f64_e64 s[6:7], s[8:9], 0
	v_mul_lo_u32 v0, v6, s20
	s_mov_b64 s[4:5], 0
	s_and_b64 vcc, exec, s[6:7]
	v_ashrrev_i32_e32 v1, 31, v0
	s_cbranch_vccz .LBB113_20
; %bb.13:
	v_mul_f64 v[2:3], v[4:5], s[2:3]
	s_andn2_b64 vcc, exec, s[4:5]
	s_cbranch_vccnz .LBB113_15
.LBB113_14:
	v_lshlrev_b64 v[2:3], 3, v[0:1]
	v_mov_b32_e32 v6, s19
	v_add_co_u32_e32 v2, vcc, s18, v2
	v_addc_co_u32_e32 v3, vcc, v6, v3, vcc
	global_load_dwordx2 v[2:3], v[2:3], off
	s_waitcnt vmcnt(0)
	v_mul_f64 v[2:3], v[2:3], s[8:9]
	v_fmac_f64_e32 v[2:3], s[2:3], v[4:5]
.LBB113_15:
	s_or_b64 s[10:11], s[10:11], exec
.LBB113_16:
	s_or_b64 exec, exec, s[0:1]
.LBB113_17:
	s_and_saveexec_b64 s[0:1], s[10:11]
	s_cbranch_execz .LBB113_19
; %bb.18:
	v_lshlrev_b64 v[0:1], 3, v[0:1]
	v_mov_b32_e32 v4, s19
	v_add_co_u32_e32 v0, vcc, s18, v0
	v_addc_co_u32_e32 v1, vcc, v4, v1, vcc
	global_store_dwordx2 v[0:1], v[2:3], off
.LBB113_19:
	s_endpgm
.LBB113_20:
                                        ; implicit-def: $vgpr2_vgpr3
	s_branch .LBB113_14
	.section	.rodata,"a",@progbits
	.p2align	6, 0x0
	.amdhsa_kernel _ZL36rocblas_hemvn_kernel_lower_block_sumILi64EidPddEviT1_lS1_lT2_lT0_lPT3_i
		.amdhsa_group_segment_fixed_size 0
		.amdhsa_private_segment_fixed_size 0
		.amdhsa_kernarg_size 344
		.amdhsa_user_sgpr_count 6
		.amdhsa_user_sgpr_private_segment_buffer 1
		.amdhsa_user_sgpr_dispatch_ptr 0
		.amdhsa_user_sgpr_queue_ptr 0
		.amdhsa_user_sgpr_kernarg_segment_ptr 1
		.amdhsa_user_sgpr_dispatch_id 0
		.amdhsa_user_sgpr_flat_scratch_init 0
		.amdhsa_user_sgpr_kernarg_preload_length 0
		.amdhsa_user_sgpr_kernarg_preload_offset 0
		.amdhsa_user_sgpr_private_segment_size 0
		.amdhsa_uses_dynamic_stack 0
		.amdhsa_system_sgpr_private_segment_wavefront_offset 0
		.amdhsa_system_sgpr_workgroup_id_x 1
		.amdhsa_system_sgpr_workgroup_id_y 0
		.amdhsa_system_sgpr_workgroup_id_z 1
		.amdhsa_system_sgpr_workgroup_info 0
		.amdhsa_system_vgpr_workitem_id 0
		.amdhsa_next_free_vgpr 10
		.amdhsa_next_free_sgpr 21
		.amdhsa_accum_offset 12
		.amdhsa_reserve_vcc 1
		.amdhsa_reserve_flat_scratch 0
		.amdhsa_float_round_mode_32 0
		.amdhsa_float_round_mode_16_64 0
		.amdhsa_float_denorm_mode_32 3
		.amdhsa_float_denorm_mode_16_64 3
		.amdhsa_dx10_clamp 1
		.amdhsa_ieee_mode 1
		.amdhsa_fp16_overflow 0
		.amdhsa_tg_split 0
		.amdhsa_exception_fp_ieee_invalid_op 0
		.amdhsa_exception_fp_denorm_src 0
		.amdhsa_exception_fp_ieee_div_zero 0
		.amdhsa_exception_fp_ieee_overflow 0
		.amdhsa_exception_fp_ieee_underflow 0
		.amdhsa_exception_fp_ieee_inexact 0
		.amdhsa_exception_int_div_zero 0
	.end_amdhsa_kernel
	.section	.text._ZL36rocblas_hemvn_kernel_lower_block_sumILi64EidPddEviT1_lS1_lT2_lT0_lPT3_i,"axG",@progbits,_ZL36rocblas_hemvn_kernel_lower_block_sumILi64EidPddEviT1_lS1_lT2_lT0_lPT3_i,comdat
.Lfunc_end113:
	.size	_ZL36rocblas_hemvn_kernel_lower_block_sumILi64EidPddEviT1_lS1_lT2_lT0_lPT3_i, .Lfunc_end113-_ZL36rocblas_hemvn_kernel_lower_block_sumILi64EidPddEviT1_lS1_lT2_lT0_lPT3_i
                                        ; -- End function
	.section	.AMDGPU.csdata,"",@progbits
; Kernel info:
; codeLenInByte = 620
; NumSgprs: 25
; NumVgprs: 10
; NumAgprs: 0
; TotalNumVgprs: 10
; ScratchSize: 0
; MemoryBound: 0
; FloatMode: 240
; IeeeMode: 1
; LDSByteSize: 0 bytes/workgroup (compile time only)
; SGPRBlocks: 3
; VGPRBlocks: 1
; NumSGPRsForWavesPerEU: 25
; NumVGPRsForWavesPerEU: 10
; AccumOffset: 12
; Occupancy: 8
; WaveLimiterHint : 0
; COMPUTE_PGM_RSRC2:SCRATCH_EN: 0
; COMPUTE_PGM_RSRC2:USER_SGPR: 6
; COMPUTE_PGM_RSRC2:TRAP_HANDLER: 0
; COMPUTE_PGM_RSRC2:TGID_X_EN: 1
; COMPUTE_PGM_RSRC2:TGID_Y_EN: 0
; COMPUTE_PGM_RSRC2:TGID_Z_EN: 1
; COMPUTE_PGM_RSRC2:TIDIG_COMP_CNT: 0
; COMPUTE_PGM_RSRC3_GFX90A:ACCUM_OFFSET: 2
; COMPUTE_PGM_RSRC3_GFX90A:TG_SPLIT: 0
	.section	.text._ZL26rocblas_hemvn_kernel_upperILb0ELi64ELi4ELi33ELi32ELi16ElPK19rocblas_complex_numIfES3_PS1_EviT6_lT7_lT5_lS6_lS7_lS5_lT8_i,"axG",@progbits,_ZL26rocblas_hemvn_kernel_upperILb0ELi64ELi4ELi33ELi32ELi16ElPK19rocblas_complex_numIfES3_PS1_EviT6_lT7_lT5_lS6_lS7_lS5_lT8_i,comdat
	.globl	_ZL26rocblas_hemvn_kernel_upperILb0ELi64ELi4ELi33ELi32ELi16ElPK19rocblas_complex_numIfES3_PS1_EviT6_lT7_lT5_lS6_lS7_lS5_lT8_i ; -- Begin function _ZL26rocblas_hemvn_kernel_upperILb0ELi64ELi4ELi33ELi32ELi16ElPK19rocblas_complex_numIfES3_PS1_EviT6_lT7_lT5_lS6_lS7_lS5_lT8_i
	.p2align	8
	.type	_ZL26rocblas_hemvn_kernel_upperILb0ELi64ELi4ELi33ELi32ELi16ElPK19rocblas_complex_numIfES3_PS1_EviT6_lT7_lT5_lS6_lS7_lS5_lT8_i,@function
_ZL26rocblas_hemvn_kernel_upperILb0ELi64ELi4ELi33ELi32ELi16ElPK19rocblas_complex_numIfES3_PS1_EviT6_lT7_lT5_lS6_lS7_lS5_lT8_i: ; @_ZL26rocblas_hemvn_kernel_upperILb0ELi64ELi4ELi33ELi32ELi16ElPK19rocblas_complex_numIfES3_PS1_EviT6_lT7_lT5_lS6_lS7_lS5_lT8_i
; %bb.0:
	s_load_dwordx2 s[2:3], s[4:5], 0x84
	s_add_u32 s0, s4, 0x78
	s_addc_u32 s1, s5, 0
	s_waitcnt lgkmcnt(0)
	s_lshr_b32 s8, s2, 16
	s_and_b32 s2, s2, 0xffff
	s_and_b32 s3, s3, 0xffff
	s_mul_i32 s2, s8, s2
	s_mul_i32 s2, s2, s3
	s_cmpk_lg_i32 s2, 0x100
	s_cbranch_scc1 .LBB114_148
; %bb.1:
	s_load_dwordx16 s[8:23], s[4:5], 0x8
	s_waitcnt lgkmcnt(0)
	s_mul_i32 s3, s7, s11
	s_mul_hi_u32 s11, s7, s10
	s_mul_i32 s2, s7, s10
	s_add_i32 s3, s11, s3
	s_lshl_b64 s[2:3], s[2:3], 3
	s_add_u32 s2, s8, s2
	s_addc_u32 s3, s9, s3
	s_load_dwordx2 s[8:9], s[2:3], 0x0
	s_load_dwordx2 s[34:35], s[4:5], 0x68
	s_load_dwordx8 s[24:31], s[4:5], 0x48
	s_waitcnt lgkmcnt(0)
	s_or_b32 s2, s8, s9
	s_bitset0_b32 s2, 31
	s_cmp_lg_u32 s2, 0
	s_cselect_b64 s[2:3], -1, 0
	s_mov_b64 s[8:9], -1
	s_and_b64 vcc, exec, s[2:3]
	s_cbranch_vccnz .LBB114_3
; %bb.2:
	s_mul_i32 s8, s7, s31
	s_mul_hi_u32 s9, s7, s30
	s_add_i32 s9, s9, s8
	s_mul_i32 s8, s7, s30
	s_lshl_b64 s[8:9], s[8:9], 3
	s_add_u32 s8, s28, s8
	s_addc_u32 s9, s29, s9
	s_load_dwordx2 s[8:9], s[8:9], 0x0
	s_waitcnt lgkmcnt(0)
	v_cmp_neq_f32_e64 s[10:11], s8, 1.0
	v_cmp_neq_f32_e64 s[8:9], s9, 0
	s_or_b64 s[8:9], s[10:11], s[8:9]
.LBB114_3:
	s_andn2_b64 vcc, exec, s[8:9]
	s_cbranch_vccnz .LBB114_148
; %bb.4:
	s_andn2_b64 vcc, exec, s[2:3]
	s_cbranch_vccnz .LBB114_148
; %bb.5:
	s_load_dword s33, s[0:1], 0x0
	s_load_dword s37, s[4:5], 0x0
	s_mul_i32 s0, s7, s27
	s_mul_hi_u32 s1, s7, s26
	s_add_i32 s1, s1, s0
	s_mul_i32 s0, s7, s26
	s_lshl_b64 s[0:1], s[0:1], 3
	s_add_u32 s2, s20, s0
	s_addc_u32 s3, s21, s1
	s_lshl_b64 s[0:1], s[22:23], 3
	s_add_u32 s2, s2, s0
	s_addc_u32 s3, s3, s1
	s_waitcnt lgkmcnt(0)
	s_ashr_i32 s38, s37, 31
	s_lshr_b32 s1, s38, 26
	v_and_b32_e32 v65, 0x3ff, v0
	s_lshl_b32 s22, s6, 6
	s_add_i32 s1, s37, s1
	s_andn2_b32 s1, s1, 63
	v_add_u32_e32 v28, s22, v65
	s_add_i32 s0, s33, -1
	s_sub_i32 s36, s37, s1
	v_ashrrev_i32_e32 v29, 31, v28
	v_bfe_u32 v120, v0, 10, 10
	s_cmp_eq_u32 s6, s0
	v_mul_lo_u32 v2, v29, s24
	v_mul_lo_u32 v3, v28, s25
	v_mad_u64_u32 v[0:1], s[0:1], v28, s24, 0
	v_add3_u32 v1, v1, v3, v2
	v_lshlrev_b64 v[0:1], 3, v[0:1]
	v_mov_b32_e32 v2, s3
	v_add_co_u32_e32 v14, vcc, s2, v0
	s_cselect_b32 s20, s36, 0
	v_addc_co_u32_e32 v15, vcc, v2, v1, vcc
	v_cmp_eq_u32_e64 s[0:1], 0, v120
	s_and_saveexec_b64 s[2:3], s[0:1]
	s_cbranch_execz .LBB114_10
; %bb.6:
	s_cmp_lg_u32 s20, 0
	s_cselect_b64 s[4:5], -1, 0
	v_cmp_le_i32_e32 vcc, s20, v65
	v_mov_b32_e32 v0, 0x2380
	s_and_b64 s[4:5], s[4:5], vcc
	v_lshl_add_u32 v0, v65, 3, v0
	s_and_saveexec_b64 s[8:9], s[4:5]
	s_xor_b64 s[4:5], exec, s[8:9]
	s_cbranch_execz .LBB114_8
; %bb.7:
	v_mov_b32_e32 v2, 0
	v_mov_b32_e32 v3, v2
	ds_write_b64 v0, v[2:3]
                                        ; implicit-def: $vgpr0
.LBB114_8:
	s_andn2_saveexec_b64 s[4:5], s[4:5]
	s_cbranch_execz .LBB114_10
; %bb.9:
	global_load_dwordx2 v[2:3], v[14:15], off
	s_waitcnt vmcnt(0)
	ds_write_b64 v0, v[2:3]
.LBB114_10:
	s_or_b64 exec, exec, s[2:3]
	s_mul_i32 s2, s7, s19
	s_mul_hi_u32 s3, s7, s18
	s_add_i32 s3, s3, s2
	s_mul_i32 s2, s7, s18
	s_lshl_b64 s[2:3], s[2:3], 3
	s_add_u32 s4, s12, s2
	s_addc_u32 s5, s13, s3
	s_lshl_b64 s[2:3], s[14:15], 3
	s_add_u32 s4, s4, s2
	s_addc_u32 s5, s5, s3
	s_ashr_i32 s23, s22, 31
	v_lshl_add_u32 v22, v120, 6, v65
	s_lshl_b64 s[2:3], s[22:23], 3
	v_and_b32_e32 v0, 31, v65
	v_lshrrev_b32_e32 v10, 5, v22
	s_add_u32 s4, s4, s2
	v_mov_b32_e32 v1, 0
	s_addc_u32 s5, s5, s3
	v_mad_u64_u32 v[2:3], s[2:3], v10, s16, v[0:1]
	v_mov_b32_e32 v4, v3
	v_mad_u64_u32 v[4:5], s[2:3], v10, s17, v[4:5]
	s_mul_i32 s2, s22, s17
	s_mul_hi_u32 s3, s22, s16
	s_add_i32 s2, s3, s2
	s_mul_i32 s3, s23, s16
	s_add_i32 s3, s2, s3
	s_mul_i32 s2, s22, s16
	s_lshl_b64 s[2:3], s[2:3], 3
	s_add_u32 s2, s2, s4
	v_mov_b32_e32 v3, v4
	s_addc_u32 s3, s3, s5
	v_lshlrev_b64 v[12:13], 3, v[2:3]
	s_cmp_eq_u32 s20, 0
	v_mov_b32_e32 v3, s3
	v_add_co_u32_e32 v2, vcc, s2, v12
	s_cselect_b64 s[18:19], -1, 0
	s_cmp_lg_u32 s20, 0
	v_addc_co_u32_e32 v3, vcc, v3, v13, vcc
	s_cselect_b64 s[26:27], -1, 0
	s_and_b64 vcc, exec, s[26:27]
	v_cmp_gt_i32_e64 s[2:3], s20, v0
	v_lshlrev_b32_e32 v11, 3, v0
	s_mul_i32 s39, s17, 0xc0
	s_cbranch_vccz .LBB114_26
; %bb.11:
	v_sub_co_u32_e32 v4, vcc, v2, v11
	s_ashr_i32 s21, s20, 31
	v_subbrev_co_u32_e32 v5, vcc, 0, v3, vcc
	s_lshl_b64 s[4:5], s[20:21], 3
	v_mov_b32_e32 v6, s5
	v_add_co_u32_e32 v4, vcc, s4, v4
	v_addc_co_u32_e32 v5, vcc, v5, v6, vcc
	v_add_co_u32_e32 v4, vcc, -8, v4
	v_addc_co_u32_e32 v5, vcc, -1, v5, vcc
	v_cndmask_b32_e64 v5, v5, v3, s[2:3]
	v_cndmask_b32_e64 v4, v4, v2, s[2:3]
	v_cmp_gt_i32_e32 vcc, s20, v10
	v_mov_b32_e32 v7, 0
	s_and_saveexec_b64 s[8:9], vcc
	s_cbranch_execz .LBB114_13
; %bb.12:
	global_load_dwordx2 v[6:7], v[4:5], off
	s_waitcnt vmcnt(0)
	v_mov_b32_e32 v1, v6
.LBB114_13:
	s_or_b64 exec, exec, s[8:9]
	v_mul_u32_u24_e32 v6, 33, v10
	v_add_lshl_u32 v8, v6, v0, 3
	v_mov_b32_e32 v6, v1
	v_add_u32_e32 v1, 8, v10
	v_cmp_le_i32_e32 vcc, s20, v1
	ds_write_b64 v8, v[6:7]
	s_and_saveexec_b64 s[8:9], vcc
	s_xor_b64 s[8:9], exec, s[8:9]
	s_cbranch_execz .LBB114_15
; %bb.14:
	v_mul_u32_u24_e32 v1, 33, v1
	v_mov_b32_e32 v6, 0
	v_add_lshl_u32 v1, v1, v0, 3
	v_mov_b32_e32 v7, v6
	ds_write_b64 v1, v[6:7]
.LBB114_15:
	s_andn2_saveexec_b64 s[8:9], s[8:9]
	s_cbranch_execz .LBB114_17
; %bb.16:
	s_lshl_b64 s[10:11], s[16:17], 6
	v_mov_b32_e32 v1, s11
	v_add_co_u32_e32 v6, vcc, s10, v4
	v_addc_co_u32_e32 v7, vcc, v5, v1, vcc
	global_load_dwordx2 v[6:7], v[6:7], off
	s_waitcnt vmcnt(0)
	ds_write_b64 v8, v[6:7] offset:2112
.LBB114_17:
	s_or_b64 exec, exec, s[8:9]
	v_add_u32_e32 v1, 16, v10
	v_cmp_le_i32_e32 vcc, s20, v1
	s_and_saveexec_b64 s[8:9], vcc
	s_xor_b64 s[8:9], exec, s[8:9]
	s_cbranch_execz .LBB114_19
; %bb.18:
	v_mov_b32_e32 v6, 0
	v_mov_b32_e32 v7, v6
	ds_write_b64 v8, v[6:7] offset:4224
.LBB114_19:
	s_andn2_saveexec_b64 s[8:9], s[8:9]
	s_cbranch_execz .LBB114_21
; %bb.20:
	s_lshl_b64 s[10:11], s[16:17], 7
	v_mov_b32_e32 v1, s11
	v_add_co_u32_e32 v6, vcc, s10, v4
	v_addc_co_u32_e32 v7, vcc, v5, v1, vcc
	global_load_dwordx2 v[6:7], v[6:7], off
	s_waitcnt vmcnt(0)
	ds_write_b64 v8, v[6:7] offset:4224
.LBB114_21:
	s_or_b64 exec, exec, s[8:9]
	v_add_u32_e32 v1, 24, v10
	v_cmp_le_i32_e32 vcc, s20, v1
	s_and_saveexec_b64 s[8:9], vcc
	s_xor_b64 s[8:9], exec, s[8:9]
	s_cbranch_execz .LBB114_23
; %bb.22:
	v_mov_b32_e32 v6, 0
	v_mov_b32_e32 v7, v6
	ds_write_b64 v8, v[6:7] offset:6336
                                        ; implicit-def: $vgpr8
.LBB114_23:
	s_andn2_saveexec_b64 s[8:9], s[8:9]
	s_cbranch_execz .LBB114_25
; %bb.24:
	v_mov_b32_e32 v1, 0xc0
	v_mad_u64_u32 v[6:7], s[10:11], s16, v1, v[4:5]
	v_add_u32_e32 v7, s39, v7
	global_load_dwordx2 v[6:7], v[6:7], off
	s_waitcnt vmcnt(0)
	ds_write_b64 v8, v[6:7] offset:6336
.LBB114_25:
	s_or_b64 exec, exec, s[8:9]
	v_add_co_u32_e32 v1, vcc, v4, v11
	v_addc_co_u32_e32 v4, vcc, 0, v5, vcc
	v_mov_b32_e32 v5, s5
	v_subrev_co_u32_e32 v1, vcc, s4, v1
	v_subb_co_u32_e32 v4, vcc, v4, v5, vcc
	v_add_co_u32_e32 v1, vcc, 8, v1
	v_addc_co_u32_e32 v4, vcc, 0, v4, vcc
	v_cndmask_b32_e64 v5, v4, v3, s[2:3]
	v_cndmask_b32_e64 v4, v1, v2, s[2:3]
	v_mul_u32_u24_e32 v1, 33, v10
	s_branch .LBB114_28
.LBB114_26:
                                        ; implicit-def: $vgpr4_vgpr5
	v_mul_u32_u24_e32 v1, 33, v10
	s_cbranch_execz .LBB114_28
; %bb.27:
	s_lshl_b64 s[2:3], s[16:17], 6
	v_mov_b32_e32 v16, s3
	v_add_co_u32_e32 v4, vcc, s2, v2
	v_addc_co_u32_e32 v5, vcc, v3, v16, vcc
	global_load_dwordx2 v[6:7], v[2:3], off
	global_load_dwordx2 v[8:9], v[4:5], off
	v_add_co_u32_e32 v4, vcc, s2, v4
	v_addc_co_u32_e32 v5, vcc, v5, v16, vcc
	v_mov_b32_e32 v16, 0xc0
	v_mad_u64_u32 v[16:17], s[2:3], s16, v16, v[2:3]
	v_add_u32_e32 v17, s39, v17
	global_load_dwordx2 v[18:19], v[16:17], off
	global_load_dwordx2 v[20:21], v[4:5], off
	v_add_lshl_u32 v4, v1, v0, 3
	s_waitcnt vmcnt(3)
	ds_write_b64 v4, v[6:7]
	s_waitcnt vmcnt(2)
	ds_write_b64 v4, v[8:9] offset:2112
	s_waitcnt vmcnt(1)
	ds_write_b64 v4, v[18:19] offset:6336
	;; [unrolled: 2-line block ×3, first 2 shown]
	v_pk_mov_b32 v[4:5], v[2:3], v[2:3] op_sel:[0,1]
.LBB114_28:
	v_lshlrev_b32_e32 v2, 2, v10
	v_mul_u32_u24_e32 v18, 33, v0
	v_cmp_gt_u32_e64 s[4:5], v2, v0
	v_add_lshl_u32 v16, v2, v18, 3
	s_waitcnt lgkmcnt(0)
	s_barrier
	s_and_saveexec_b64 s[2:3], s[4:5]
	s_cbranch_execz .LBB114_30
; %bb.29:
	v_mul_u32_u24_e32 v3, 0x84, v10
	v_add_lshl_u32 v3, v3, v0, 3
	ds_read_b64 v[6:7], v3
	s_waitcnt lgkmcnt(0)
	ds_write_b64 v16, v[6:7]
.LBB114_30:
	s_or_b64 exec, exec, s[2:3]
	v_cmp_ge_u32_e64 s[14:15], v2, v0
	s_and_saveexec_b64 s[2:3], s[14:15]
	s_cbranch_execz .LBB114_32
; %bb.31:
	v_or_b32_e32 v3, 1, v2
	v_mul_u32_u24_e32 v3, 33, v3
	v_add_lshl_u32 v3, v3, v0, 3
	ds_read_b64 v[6:7], v3
	s_waitcnt lgkmcnt(0)
	ds_write_b64 v16, v[6:7] offset:8
.LBB114_32:
	s_or_b64 exec, exec, s[2:3]
	v_or_b32_e32 v3, 2, v2
	v_cmp_gt_u32_e64 s[8:9], v3, v0
	s_and_saveexec_b64 s[2:3], s[8:9]
	s_cbranch_execz .LBB114_34
; %bb.33:
	v_mul_u32_u24_e32 v3, 33, v3
	v_add_lshl_u32 v3, v3, v0, 3
	ds_read_b64 v[6:7], v3
	s_waitcnt lgkmcnt(0)
	ds_write_b64 v16, v[6:7] offset:16
.LBB114_34:
	s_or_b64 exec, exec, s[2:3]
	v_or_b32_e32 v3, 3, v2
	v_cmp_gt_u32_e64 s[10:11], v3, v0
	v_mad_u32_u24 v3, v3, 33, v0
	v_lshlrev_b32_e32 v19, 3, v3
	s_and_saveexec_b64 s[2:3], s[10:11]
	s_cbranch_execz .LBB114_36
; %bb.35:
	ds_read_b64 v[6:7], v19
	s_waitcnt lgkmcnt(0)
	ds_write_b64 v16, v[6:7] offset:24
.LBB114_36:
	s_or_b64 exec, exec, s[2:3]
	v_mul_u32_u24_e32 v3, 0x84, v10
	v_add_lshl_u32 v20, v3, v0, 3
	s_waitcnt lgkmcnt(0)
	s_barrier
	v_lshlrev_b32_e32 v17, 3, v2
	v_add_u32_e32 v21, 0xfffffdf0, v19
	ds_read_b64 v[2:3], v20
	ds_read_b128 v[6:9], v17 offset:9088
	ds_read2_b64 v[24:27], v21 offset1:33
	ds_read_b64 v[34:35], v19
	ds_read_b128 v[30:33], v17 offset:9104
	s_mov_b32 s12, 0
	s_mov_b32 s13, s12
	s_waitcnt lgkmcnt(3)
	v_pk_mul_f32 v[36:37], v[6:7], v[2:3] op_sel:[0,1]
	v_pk_fma_f32 v[38:39], v[6:7], v[2:3], v[36:37] op_sel:[0,0,1] op_sel_hi:[1,1,0] neg_lo:[0,0,1] neg_hi:[0,0,1]
	v_pk_fma_f32 v[2:3], v[6:7], v[2:3], v[36:37] op_sel:[0,0,1] op_sel_hi:[1,0,0]
	s_waitcnt lgkmcnt(2)
	v_pk_mul_f32 v[6:7], v[8:9], v[24:25] op_sel:[0,1]
	v_pk_fma_f32 v[36:37], v[8:9], v[24:25], v[6:7] op_sel:[0,0,1] op_sel_hi:[1,1,0] neg_lo:[0,0,1] neg_hi:[0,0,1]
	v_pk_fma_f32 v[6:7], v[8:9], v[24:25], v[6:7] op_sel:[0,0,1] op_sel_hi:[1,0,0]
	v_mov_b32_e32 v39, v3
	v_mov_b32_e32 v37, v7
	s_waitcnt lgkmcnt(0)
	v_pk_mul_f32 v[6:7], v[30:31], v[26:27] op_sel:[0,1]
	v_pk_add_f32 v[2:3], v[38:39], 0 op_sel_hi:[1,0]
	v_pk_fma_f32 v[8:9], v[30:31], v[26:27], v[6:7] op_sel:[0,0,1] op_sel_hi:[1,1,0] neg_lo:[0,0,1] neg_hi:[0,0,1]
	v_pk_fma_f32 v[6:7], v[30:31], v[26:27], v[6:7] op_sel:[0,0,1] op_sel_hi:[1,0,0]
	v_pk_add_f32 v[2:3], v[2:3], v[36:37]
	v_mov_b32_e32 v9, v7
	v_pk_mul_f32 v[6:7], v[32:33], v[34:35] op_sel:[0,1]
	v_pk_add_f32 v[2:3], v[2:3], v[8:9]
	v_pk_fma_f32 v[8:9], v[32:33], v[34:35], v[6:7] op_sel:[0,0,1] op_sel_hi:[1,1,0] neg_lo:[0,0,1] neg_hi:[0,0,1]
	v_pk_fma_f32 v[6:7], v[32:33], v[34:35], v[6:7] op_sel:[0,0,1] op_sel_hi:[1,0,0]
	v_mov_b32_e32 v9, v7
	v_add_lshl_u32 v23, v10, v18, 3
	v_pk_add_f32 v[2:3], v[2:3], v[8:9]
	v_cmp_gt_u32_e64 s[2:3], 32, v22
	v_pk_mov_b32 v[30:31], s[12:13], s[12:13] op_sel:[0,1]
	v_lshlrev_b32_e32 v24, 3, v18
	s_barrier
	ds_write_b64 v23, v[2:3]
	s_waitcnt lgkmcnt(0)
	s_barrier
	s_and_saveexec_b64 s[12:13], s[2:3]
	s_cbranch_execz .LBB114_38
; %bb.37:
	ds_read2_b64 v[6:9], v24 offset1:7
	ds_read2_b64 v[30:33], v24 offset0:1 offset1:2
	ds_read2_b64 v[34:37], v24 offset0:3 offset1:4
	s_waitcnt lgkmcnt(1)
	v_add_f32_e32 v2, v30, v6
	v_add_f32_e32 v3, v31, v7
	;; [unrolled: 1-line block ×4, first 2 shown]
	ds_read2_b64 v[30:33], v24 offset0:5 offset1:6
	s_waitcnt lgkmcnt(1)
	v_add_f32_e32 v2, v2, v34
	v_add_f32_e32 v3, v3, v35
	;; [unrolled: 1-line block ×4, first 2 shown]
	s_waitcnt lgkmcnt(0)
	v_add_f32_e32 v2, v2, v30
	v_add_f32_e32 v3, v3, v31
	;; [unrolled: 1-line block ×4, first 2 shown]
	v_pk_add_f32 v[30:31], v[2:3], v[8:9]
.LBB114_38:
	s_or_b64 exec, exec, s[12:13]
	s_lshl_b64 s[12:13], s[16:17], 8
	v_mov_b32_e32 v2, s13
	v_add_co_u32_e32 v6, vcc, s12, v4
	v_addc_co_u32_e32 v7, vcc, v5, v2, vcc
	v_add_co_u32_e32 v4, vcc, 0x100, v6
	v_addc_co_u32_e32 v5, vcc, 0, v7, vcc
	s_and_b64 vcc, exec, s[26:27]
	s_barrier
	s_cbranch_vccz .LBB114_54
; %bb.39:
	v_sub_co_u32_e32 v3, vcc, v4, v11
	s_ashr_i32 s21, s20, 31
	v_subbrev_co_u32_e32 v8, vcc, 0, v5, vcc
	s_lshl_b64 s[28:29], s[20:21], 3
	v_mov_b32_e32 v9, s29
	v_add_co_u32_e32 v3, vcc, s28, v3
	v_addc_co_u32_e32 v8, vcc, v8, v9, vcc
	v_or_b32_e32 v2, 32, v0
	v_add_co_u32_e32 v9, vcc, 0xfffffef8, v3
	v_addc_co_u32_e32 v3, vcc, -1, v8, vcc
	v_cmp_gt_i32_e64 s[12:13], s20, v2
	s_sub_i32 s21, s20, 32
	v_mov_b32_e32 v8, 0
	v_cndmask_b32_e64 v3, v3, v5, s[12:13]
	v_cndmask_b32_e64 v2, v9, v4, s[12:13]
	v_cmp_gt_i32_e32 vcc, s21, v10
	v_mov_b32_e32 v9, v8
	s_and_saveexec_b64 s[30:31], vcc
	s_cbranch_execz .LBB114_41
; %bb.40:
	global_load_dwordx2 v[8:9], v[2:3], off
.LBB114_41:
	s_or_b64 exec, exec, s[30:31]
	v_add_lshl_u32 v25, v1, v0, 3
	s_waitcnt vmcnt(0)
	ds_write_b64 v25, v[8:9]
	v_add_u32_e32 v8, 8, v10
	v_cmp_le_i32_e32 vcc, s21, v8
	s_and_saveexec_b64 s[30:31], vcc
	s_xor_b64 s[30:31], exec, s[30:31]
	s_cbranch_execz .LBB114_43
; %bb.42:
	v_mul_u32_u24_e32 v8, 33, v8
	v_add_lshl_u32 v26, v8, v0, 3
	v_mov_b32_e32 v8, 0
	v_mov_b32_e32 v9, v8
	ds_write_b64 v26, v[8:9]
.LBB114_43:
	s_andn2_saveexec_b64 s[30:31], s[30:31]
	s_cbranch_execz .LBB114_45
; %bb.44:
	s_lshl_b64 s[40:41], s[16:17], 6
	v_mov_b32_e32 v9, s41
	v_add_co_u32_e32 v8, vcc, s40, v2
	v_addc_co_u32_e32 v9, vcc, v3, v9, vcc
	global_load_dwordx2 v[8:9], v[8:9], off
	s_waitcnt vmcnt(0)
	ds_write_b64 v25, v[8:9] offset:2112
.LBB114_45:
	s_or_b64 exec, exec, s[30:31]
	v_add_u32_e32 v8, 16, v10
	v_cmp_le_i32_e32 vcc, s21, v8
	s_and_saveexec_b64 s[30:31], vcc
	s_xor_b64 s[30:31], exec, s[30:31]
	s_cbranch_execz .LBB114_47
; %bb.46:
	v_mov_b32_e32 v8, 0
	v_mov_b32_e32 v9, v8
	ds_write_b64 v25, v[8:9] offset:4224
.LBB114_47:
	s_andn2_saveexec_b64 s[30:31], s[30:31]
	s_cbranch_execz .LBB114_49
; %bb.48:
	s_lshl_b64 s[40:41], s[16:17], 7
	v_mov_b32_e32 v9, s41
	v_add_co_u32_e32 v8, vcc, s40, v2
	v_addc_co_u32_e32 v9, vcc, v3, v9, vcc
	global_load_dwordx2 v[8:9], v[8:9], off
	s_waitcnt vmcnt(0)
	ds_write_b64 v25, v[8:9] offset:4224
.LBB114_49:
	s_or_b64 exec, exec, s[30:31]
	v_add_u32_e32 v8, 24, v10
	v_cmp_le_i32_e32 vcc, s21, v8
	s_and_saveexec_b64 s[30:31], vcc
	s_xor_b64 s[30:31], exec, s[30:31]
	s_cbranch_execz .LBB114_51
; %bb.50:
	v_mov_b32_e32 v8, 0
	v_mov_b32_e32 v9, v8
	ds_write_b64 v25, v[8:9] offset:6336
                                        ; implicit-def: $vgpr25
.LBB114_51:
	s_andn2_saveexec_b64 s[30:31], s[30:31]
	s_cbranch_execz .LBB114_53
; %bb.52:
	v_mov_b32_e32 v8, 0xc0
	v_mad_u64_u32 v[8:9], s[40:41], s16, v8, v[2:3]
	v_add_u32_e32 v9, s39, v9
	global_load_dwordx2 v[8:9], v[8:9], off
	s_waitcnt vmcnt(0)
	ds_write_b64 v25, v[8:9] offset:6336
.LBB114_53:
	s_or_b64 exec, exec, s[30:31]
	v_add_co_u32_e32 v2, vcc, v2, v11
	v_addc_co_u32_e32 v3, vcc, 0, v3, vcc
	v_mov_b32_e32 v8, s29
	v_subrev_co_u32_e32 v2, vcc, s28, v2
	v_subb_co_u32_e32 v3, vcc, v3, v8, vcc
	v_add_co_u32_e32 v2, vcc, 0x108, v2
	v_addc_co_u32_e32 v3, vcc, 0, v3, vcc
	v_cndmask_b32_e64 v3, v3, v5, s[12:13]
	v_cndmask_b32_e64 v2, v2, v4, s[12:13]
	s_branch .LBB114_56
.LBB114_54:
                                        ; implicit-def: $vgpr2_vgpr3
	s_cbranch_execz .LBB114_56
; %bb.55:
	s_lshl_b64 s[12:13], s[16:17], 6
	v_mov_b32_e32 v9, s13
	v_add_co_u32_e32 v2, vcc, s12, v6
	v_addc_co_u32_e32 v3, vcc, v7, v9, vcc
	v_mov_b32_e32 v25, 0xc0
	v_add_co_u32_e32 v8, vcc, s12, v2
	v_mad_u64_u32 v[26:27], s[12:13], s16, v25, v[6:7]
	v_addc_co_u32_e32 v9, vcc, v3, v9, vcc
	v_add_u32_e32 v27, s39, v27
	global_load_dwordx2 v[32:33], v[6:7], off offset:256
	global_load_dwordx2 v[34:35], v[2:3], off offset:256
	;; [unrolled: 1-line block ×4, first 2 shown]
	v_add_lshl_u32 v2, v1, v0, 3
	s_waitcnt vmcnt(3)
	ds_write_b64 v2, v[32:33]
	s_waitcnt vmcnt(2)
	ds_write_b64 v2, v[34:35] offset:2112
	s_waitcnt vmcnt(1)
	ds_write_b64 v2, v[36:37] offset:4224
	;; [unrolled: 2-line block ×3, first 2 shown]
	v_pk_mov_b32 v[2:3], v[4:5], v[4:5] op_sel:[0,1]
.LBB114_56:
	s_waitcnt lgkmcnt(0)
	s_barrier
	s_and_saveexec_b64 s[12:13], s[4:5]
	s_cbranch_execnz .LBB114_79
; %bb.57:
	s_or_b64 exec, exec, s[12:13]
	s_and_saveexec_b64 s[4:5], s[14:15]
	s_cbranch_execnz .LBB114_80
.LBB114_58:
	s_or_b64 exec, exec, s[4:5]
	s_and_saveexec_b64 s[4:5], s[8:9]
	s_cbranch_execnz .LBB114_81
.LBB114_59:
	s_or_b64 exec, exec, s[4:5]
	v_add_u32_e32 v25, 0x2380, v17
	s_and_saveexec_b64 s[4:5], s[10:11]
	s_cbranch_execz .LBB114_61
.LBB114_60:
	ds_read_b64 v[4:5], v19
	s_waitcnt lgkmcnt(0)
	ds_write_b64 v16, v[4:5] offset:24
.LBB114_61:
	s_or_b64 exec, exec, s[4:5]
	s_waitcnt lgkmcnt(0)
	s_barrier
	ds_read_b64 v[8:9], v20
	ds_read_b128 v[4:7], v25 offset:256
	ds_read2_b64 v[32:35], v21 offset1:33
	ds_read_b64 v[16:17], v19
	ds_read_b128 v[36:39], v25 offset:272
	v_cmp_eq_u32_e64 s[4:5], 1, v10
	s_waitcnt lgkmcnt(3)
	v_pk_mul_f32 v[26:27], v[4:5], v[8:9] op_sel:[0,1]
	v_pk_fma_f32 v[40:41], v[4:5], v[8:9], v[26:27] op_sel:[0,0,1] op_sel_hi:[1,1,0] neg_lo:[0,0,1] neg_hi:[0,0,1]
	v_pk_fma_f32 v[4:5], v[4:5], v[8:9], v[26:27] op_sel:[0,0,1] op_sel_hi:[1,0,0]
	s_waitcnt lgkmcnt(2)
	v_pk_mul_f32 v[8:9], v[6:7], v[32:33] op_sel:[0,1]
	v_pk_fma_f32 v[26:27], v[6:7], v[32:33], v[8:9] op_sel:[0,0,1] op_sel_hi:[1,1,0] neg_lo:[0,0,1] neg_hi:[0,0,1]
	v_pk_fma_f32 v[6:7], v[6:7], v[32:33], v[8:9] op_sel:[0,0,1] op_sel_hi:[1,0,0]
	v_mov_b32_e32 v41, v5
	v_mov_b32_e32 v27, v7
	s_waitcnt lgkmcnt(0)
	v_pk_mul_f32 v[6:7], v[36:37], v[34:35] op_sel:[0,1]
	v_pk_add_f32 v[4:5], v[40:41], 0 op_sel_hi:[1,0]
	v_pk_fma_f32 v[8:9], v[36:37], v[34:35], v[6:7] op_sel:[0,0,1] op_sel_hi:[1,1,0] neg_lo:[0,0,1] neg_hi:[0,0,1]
	v_pk_fma_f32 v[6:7], v[36:37], v[34:35], v[6:7] op_sel:[0,0,1] op_sel_hi:[1,0,0]
	v_pk_add_f32 v[4:5], v[4:5], v[26:27]
	v_mov_b32_e32 v9, v7
	v_pk_mul_f32 v[6:7], v[38:39], v[16:17] op_sel:[0,1]
	v_pk_add_f32 v[4:5], v[4:5], v[8:9]
	v_pk_fma_f32 v[8:9], v[38:39], v[16:17], v[6:7] op_sel:[0,0,1] op_sel_hi:[1,1,0] neg_lo:[0,0,1] neg_hi:[0,0,1]
	v_pk_fma_f32 v[6:7], v[38:39], v[16:17], v[6:7] op_sel:[0,0,1] op_sel_hi:[1,0,0]
	v_mov_b32_e32 v9, v7
	v_pk_add_f32 v[4:5], v[4:5], v[8:9]
	s_barrier
	ds_write_b64 v23, v[4:5]
	s_waitcnt lgkmcnt(0)
	s_barrier
	s_and_saveexec_b64 s[8:9], s[4:5]
	s_cbranch_execz .LBB114_63
; %bb.62:
	ds_read2_b64 v[4:7], v24 offset1:7
	ds_read2_b64 v[30:33], v24 offset0:1 offset1:2
	ds_read2_b64 v[34:37], v24 offset0:3 offset1:4
	s_waitcnt lgkmcnt(1)
	v_add_f32_e32 v4, v30, v4
	v_add_f32_e32 v5, v31, v5
	;; [unrolled: 1-line block ×4, first 2 shown]
	ds_read2_b64 v[30:33], v24 offset0:5 offset1:6
	s_waitcnt lgkmcnt(1)
	v_add_f32_e32 v4, v4, v34
	v_add_f32_e32 v5, v5, v35
	v_add_f32_e32 v4, v4, v36
	v_add_f32_e32 v5, v5, v37
	s_waitcnt lgkmcnt(0)
	v_add_f32_e32 v4, v4, v30
	v_add_f32_e32 v5, v5, v31
	v_pk_add_f32 v[4:5], v[4:5], v[32:33]
	v_pk_add_f32 v[30:31], v[4:5], v[6:7]
.LBB114_63:
	s_or_b64 exec, exec, s[8:9]
	v_add_co_u32_e32 v4, vcc, 0xffffff00, v2
	v_addc_co_u32_e32 v5, vcc, -1, v3, vcc
	s_and_b64 vcc, exec, s[26:27]
	s_barrier
	s_cbranch_vccz .LBB114_82
; %bb.64:
	v_sub_co_u32_e32 v6, vcc, v2, v11
	s_ashr_i32 s21, s20, 31
	v_subbrev_co_u32_e32 v7, vcc, 0, v3, vcc
	s_lshl_b64 s[10:11], s[20:21], 3
	v_mov_b32_e32 v8, s11
	v_add_co_u32_e32 v6, vcc, s10, v6
	v_addc_co_u32_e32 v7, vcc, v7, v8, vcc
	v_add_co_u32_e32 v6, vcc, 0xfffffef8, v6
	v_addc_co_u32_e32 v7, vcc, -1, v7, vcc
	v_cmp_gt_i32_e32 vcc, s20, v0
	s_sub_i32 s14, s20, 32
	v_mov_b32_e32 v8, 0
	v_cndmask_b32_e32 v7, v7, v5, vcc
	v_cndmask_b32_e32 v6, v6, v4, vcc
	v_cmp_gt_i32_e64 s[8:9], s14, v10
	v_mov_b32_e32 v9, v8
	s_and_saveexec_b64 s[12:13], s[8:9]
	s_cbranch_execz .LBB114_66
; %bb.65:
	global_load_dwordx2 v[8:9], v[6:7], off
.LBB114_66:
	s_or_b64 exec, exec, s[12:13]
	v_add_lshl_u32 v16, v1, v0, 3
	s_waitcnt vmcnt(0)
	ds_write_b64 v16, v[8:9]
	v_add_u32_e32 v8, 8, v10
	v_cmp_le_i32_e64 s[8:9], s14, v8
	s_and_saveexec_b64 s[12:13], s[8:9]
	s_xor_b64 s[8:9], exec, s[12:13]
	s_cbranch_execz .LBB114_68
; %bb.67:
	v_mul_u32_u24_e32 v9, 33, v8
	v_mov_b32_e32 v26, 0
	v_add_lshl_u32 v9, v9, v0, 3
	v_mov_b32_e32 v27, v26
	ds_write_b64 v9, v[26:27]
.LBB114_68:
	s_andn2_saveexec_b64 s[12:13], s[8:9]
	s_cbranch_execz .LBB114_70
; %bb.69:
	s_lshl_b64 s[8:9], s[16:17], 6
	v_mov_b32_e32 v9, s9
	v_add_co_u32_e64 v26, s[8:9], s8, v6
	v_addc_co_u32_e64 v27, s[8:9], v7, v9, s[8:9]
	global_load_dwordx2 v[26:27], v[26:27], off
	s_waitcnt vmcnt(0)
	ds_write_b64 v16, v[26:27] offset:2112
.LBB114_70:
	s_or_b64 exec, exec, s[12:13]
	v_add_u32_e32 v9, 16, v10
	v_cmp_le_i32_e64 s[8:9], s14, v9
	s_and_saveexec_b64 s[12:13], s[8:9]
	s_xor_b64 s[8:9], exec, s[12:13]
	s_cbranch_execz .LBB114_72
; %bb.71:
	v_mov_b32_e32 v26, 0
	v_mov_b32_e32 v27, v26
	ds_write_b64 v16, v[26:27] offset:4224
.LBB114_72:
	s_andn2_saveexec_b64 s[12:13], s[8:9]
	s_cbranch_execz .LBB114_74
; %bb.73:
	s_lshl_b64 s[8:9], s[16:17], 7
	v_mov_b32_e32 v17, s9
	v_add_co_u32_e64 v26, s[8:9], s8, v6
	v_addc_co_u32_e64 v27, s[8:9], v7, v17, s[8:9]
	global_load_dwordx2 v[26:27], v[26:27], off
	s_waitcnt vmcnt(0)
	ds_write_b64 v16, v[26:27] offset:4224
.LBB114_74:
	s_or_b64 exec, exec, s[12:13]
	v_add_u32_e32 v26, 24, v10
	v_cmp_le_i32_e64 s[8:9], s14, v26
	s_and_saveexec_b64 s[12:13], s[8:9]
	s_xor_b64 s[8:9], exec, s[12:13]
	s_cbranch_execz .LBB114_76
; %bb.75:
	v_mov_b32_e32 v32, 0
	v_mov_b32_e32 v33, v32
	ds_write_b64 v16, v[32:33] offset:6336
                                        ; implicit-def: $vgpr16
.LBB114_76:
	s_andn2_saveexec_b64 s[8:9], s[8:9]
	s_cbranch_execz .LBB114_78
; %bb.77:
	v_mov_b32_e32 v17, 0xc0
	v_mad_u64_u32 v[32:33], s[12:13], s16, v17, v[6:7]
	v_add_u32_e32 v33, s39, v33
	global_load_dwordx2 v[32:33], v[32:33], off
	s_waitcnt vmcnt(0)
	ds_write_b64 v16, v[32:33] offset:6336
.LBB114_78:
	s_or_b64 exec, exec, s[8:9]
	v_add_co_u32_e64 v6, s[8:9], v6, v11
	v_addc_co_u32_e64 v7, s[8:9], 0, v7, s[8:9]
	v_mov_b32_e32 v11, s11
	v_subrev_co_u32_e64 v6, s[8:9], s10, v6
	v_subb_co_u32_e64 v7, s[8:9], v7, v11, s[8:9]
	v_add_co_u32_e64 v6, s[8:9], 8, v6
	v_addc_co_u32_e64 v7, s[8:9], 0, v7, s[8:9]
	v_cndmask_b32_e32 v17, v7, v5, vcc
	v_cndmask_b32_e32 v16, v6, v4, vcc
	s_branch .LBB114_84
.LBB114_79:
	ds_read_b64 v[4:5], v20
	s_waitcnt lgkmcnt(0)
	ds_write_b64 v16, v[4:5]
	s_or_b64 exec, exec, s[12:13]
	s_and_saveexec_b64 s[4:5], s[14:15]
	s_cbranch_execz .LBB114_58
.LBB114_80:
	ds_read_b64 v[4:5], v21
	s_waitcnt lgkmcnt(0)
	ds_write_b64 v16, v[4:5] offset:8
	s_or_b64 exec, exec, s[4:5]
	s_and_saveexec_b64 s[4:5], s[8:9]
	s_cbranch_execz .LBB114_59
.LBB114_81:
	ds_read_b64 v[4:5], v21 offset:264
	s_waitcnt lgkmcnt(0)
	ds_write_b64 v16, v[4:5] offset:16
	s_or_b64 exec, exec, s[4:5]
	v_add_u32_e32 v25, 0x2380, v17
	s_and_saveexec_b64 s[4:5], s[10:11]
	s_cbranch_execnz .LBB114_60
	s_branch .LBB114_61
.LBB114_82:
                                        ; implicit-def: $vgpr16_vgpr17
                                        ; implicit-def: $vgpr8
                                        ; implicit-def: $vgpr9
                                        ; implicit-def: $vgpr26
	s_cbranch_execz .LBB114_84
; %bb.83:
	s_lshl_b64 s[8:9], s[16:17], 6
	v_mov_b32_e32 v9, s9
	v_add_co_u32_e32 v6, vcc, s8, v2
	v_addc_co_u32_e32 v7, vcc, v3, v9, vcc
	v_add_co_u32_e32 v8, vcc, s8, v6
	v_addc_co_u32_e32 v9, vcc, v7, v9, vcc
	global_load_dwordx2 v[16:17], v[6:7], off offset:-256
	global_load_dwordx2 v[32:33], v[8:9], off offset:-256
	v_mov_b32_e32 v8, 0xc0
	global_load_dwordx2 v[6:7], v[2:3], off offset:-256
	v_mad_u64_u32 v[2:3], s[8:9], s16, v8, v[2:3]
	v_add_u32_e32 v3, s39, v3
	global_load_dwordx2 v[2:3], v[2:3], off offset:-256
	v_add_lshl_u32 v0, v1, v0, 3
	v_add_u32_e32 v8, 8, v10
	v_add_u32_e32 v9, 16, v10
	;; [unrolled: 1-line block ×3, first 2 shown]
	s_waitcnt vmcnt(1)
	ds_write_b64 v0, v[6:7]
	ds_write_b64 v0, v[16:17] offset:2112
	ds_write_b64 v0, v[32:33] offset:4224
	s_waitcnt vmcnt(0)
	ds_write_b64 v0, v[2:3] offset:6336
	v_pk_mov_b32 v[16:17], v[4:5], v[4:5] op_sel:[0,1]
.LBB114_84:
	v_lshlrev_b32_e32 v38, 3, v10
	v_add_lshl_u32 v36, v8, v18, 3
	v_lshlrev_b32_e32 v34, 3, v8
	v_add_lshl_u32 v32, v9, v18, 3
	;; [unrolled: 2-line block ×3, first 2 shown]
	v_lshlrev_b32_e32 v40, 3, v26
	s_waitcnt lgkmcnt(0)
	s_barrier
	ds_read2_b64 v[4:7], v21 offset1:33
	ds_read_b64 v[20:21], v20
	ds_read_b128 v[8:11], v25 offset:256
	ds_read_b64 v[26:27], v23
	ds_read_b128 v[0:3], v25 offset:272
	ds_read_b64 v[32:33], v32
	ds_read_b64 v[34:35], v34 offset:9088
	ds_read_b64 v[36:37], v36
	ds_read_b64 v[38:39], v38 offset:9088
	;; [unrolled: 2-line block ×4, first 2 shown]
	s_waitcnt lgkmcnt(4)
	v_pk_mul_f32 v[46:47], v[38:39], v[26:27] op_sel:[0,1]
	v_pk_fma_f32 v[48:49], v[38:39], v[26:27], v[46:47] op_sel:[0,0,1] op_sel_hi:[1,1,0] neg_lo:[0,0,1] neg_hi:[0,0,1]
	v_pk_fma_f32 v[26:27], v[38:39], v[26:27], v[46:47] op_sel:[0,0,1] op_sel_hi:[1,0,0]
	v_pk_mul_f32 v[38:39], v[34:35], v[36:37] op_sel:[0,1]
	v_pk_fma_f32 v[46:47], v[34:35], v[36:37], v[38:39] op_sel:[0,0,1] op_sel_hi:[1,1,0] neg_lo:[0,0,1] neg_hi:[0,0,1]
	v_pk_fma_f32 v[34:35], v[34:35], v[36:37], v[38:39] op_sel:[0,0,1] op_sel_hi:[1,0,0]
	v_mov_b32_e32 v47, v35
	s_waitcnt lgkmcnt(0)
	v_pk_mul_f32 v[34:35], v[44:45], v[32:33] op_sel:[0,1]
	v_mov_b32_e32 v49, v27
	v_pk_fma_f32 v[36:37], v[44:45], v[32:33], v[34:35] op_sel:[0,0,1] op_sel_hi:[1,1,0] neg_lo:[0,0,1] neg_hi:[0,0,1]
	v_pk_fma_f32 v[32:33], v[44:45], v[32:33], v[34:35] op_sel:[0,0,1] op_sel_hi:[1,0,0]
	v_pk_add_f32 v[26:27], v[48:49], 0 op_sel_hi:[1,0]
	v_mov_b32_e32 v37, v33
	v_pk_mul_f32 v[32:33], v[40:41], v[42:43] op_sel:[0,1]
	v_pk_add_f32 v[26:27], v[26:27], v[46:47]
	v_pk_fma_f32 v[34:35], v[40:41], v[42:43], v[32:33] op_sel:[0,0,1] op_sel_hi:[1,1,0] neg_lo:[0,0,1] neg_hi:[0,0,1]
	v_pk_fma_f32 v[32:33], v[40:41], v[42:43], v[32:33] op_sel:[0,0,1] op_sel_hi:[1,0,0]
	v_pk_add_f32 v[26:27], v[26:27], v[36:37]
	v_mov_b32_e32 v35, v33
	v_pk_add_f32 v[26:27], v[26:27], v[34:35]
	s_barrier
	ds_write_b64 v23, v[26:27]
	s_waitcnt lgkmcnt(0)
	s_barrier
	s_and_saveexec_b64 s[8:9], s[4:5]
	s_cbranch_execz .LBB114_86
; %bb.85:
	ds_read2_b64 v[32:35], v24 offset1:1
	ds_read2_b64 v[36:39], v24 offset0:2 offset1:3
	ds_read2_b64 v[40:43], v24 offset0:6 offset1:7
	s_waitcnt lgkmcnt(2)
	v_pk_add_f32 v[26:27], v[30:31], v[32:33]
	ds_read2_b64 v[30:33], v24 offset0:4 offset1:5
	v_pk_add_f32 v[26:27], v[26:27], v[34:35]
	s_waitcnt lgkmcnt(2)
	v_pk_add_f32 v[26:27], v[26:27], v[36:37]
	v_pk_add_f32 v[26:27], v[26:27], v[38:39]
	s_waitcnt lgkmcnt(0)
	v_pk_add_f32 v[26:27], v[26:27], v[30:31]
	v_pk_add_f32 v[26:27], v[26:27], v[32:33]
	;; [unrolled: 1-line block ×4, first 2 shown]
.LBB114_86:
	s_or_b64 exec, exec, s[8:9]
	v_pk_mul_f32 v[26:27], v[8:9], v[20:21] op_sel:[0,1]
	v_pk_fma_f32 v[32:33], v[8:9], v[20:21], v[26:27] op_sel:[0,0,1] op_sel_hi:[1,1,0] neg_lo:[0,0,1] neg_hi:[0,0,1]
	v_pk_fma_f32 v[8:9], v[8:9], v[20:21], v[26:27] op_sel:[0,0,1] op_sel_hi:[1,0,0]
	v_pk_mul_f32 v[20:21], v[10:11], v[4:5] op_sel:[0,1]
	v_mov_b32_e32 v33, v9
	v_pk_fma_f32 v[26:27], v[10:11], v[4:5], v[20:21] op_sel:[0,0,1] op_sel_hi:[1,1,0] neg_lo:[0,0,1] neg_hi:[0,0,1]
	v_pk_fma_f32 v[4:5], v[10:11], v[4:5], v[20:21] op_sel:[0,0,1] op_sel_hi:[1,0,0]
	v_pk_add_f32 v[8:9], v[32:33], 0 op_sel_hi:[1,0]
	v_mov_b32_e32 v27, v5
	v_pk_add_f32 v[4:5], v[8:9], v[26:27]
	v_pk_mul_f32 v[8:9], v[0:1], v[6:7] op_sel:[0,1]
	v_pk_fma_f32 v[10:11], v[0:1], v[6:7], v[8:9] op_sel:[0,0,1] op_sel_hi:[1,1,0] neg_lo:[0,0,1] neg_hi:[0,0,1]
	v_pk_fma_f32 v[0:1], v[0:1], v[6:7], v[8:9] op_sel:[0,0,1] op_sel_hi:[1,0,0]
	v_mov_b32_e32 v11, v1
	v_pk_add_f32 v[0:1], v[4:5], v[10:11]
	v_pk_mul_f32 v[4:5], v[2:3], v[18:19] op_sel:[0,1]
	v_pk_fma_f32 v[6:7], v[2:3], v[18:19], v[4:5] op_sel:[0,0,1] op_sel_hi:[1,1,0] neg_lo:[0,0,1] neg_hi:[0,0,1]
	v_pk_fma_f32 v[2:3], v[2:3], v[18:19], v[4:5] op_sel:[0,0,1] op_sel_hi:[1,0,0]
	v_mov_b32_e32 v7, v3
	v_pk_add_f32 v[0:1], v[0:1], v[6:7]
	s_barrier
	ds_write_b64 v23, v[0:1]
	s_waitcnt lgkmcnt(0)
	s_barrier
	s_and_saveexec_b64 s[4:5], s[2:3]
	s_cbranch_execz .LBB114_88
; %bb.87:
	ds_read2_b64 v[0:3], v24 offset1:1
	ds_read2_b64 v[4:7], v24 offset0:2 offset1:3
	ds_read2_b64 v[8:11], v24 offset0:4 offset1:5
	s_waitcnt lgkmcnt(2)
	v_pk_add_f32 v[0:1], v[30:31], v[0:1]
	v_pk_add_f32 v[18:19], v[0:1], v[2:3]
	ds_read2_b64 v[0:3], v24 offset0:6 offset1:7
	s_waitcnt lgkmcnt(2)
	v_pk_add_f32 v[4:5], v[18:19], v[4:5]
	v_pk_add_f32 v[4:5], v[4:5], v[6:7]
	s_waitcnt lgkmcnt(1)
	v_pk_add_f32 v[4:5], v[4:5], v[8:9]
	v_pk_add_f32 v[4:5], v[4:5], v[10:11]
	;; [unrolled: 3-line block ×3, first 2 shown]
.LBB114_88:
	s_or_b64 exec, exec, s[4:5]
	s_mul_hi_u32 s2, s37, s7
	s_mul_i32 s38, s38, s7
	s_add_i32 s2, s2, s38
	s_mul_i32 s4, s37, s7
	s_mul_i32 s2, s2, s33
	s_mul_hi_u32 s3, s4, s33
	s_add_i32 s3, s3, s2
	s_mul_i32 s2, s4, s33
	s_lshl_b64 s[2:3], s[2:3], 3
	s_add_u32 s4, s34, s2
	s_addc_u32 s5, s35, s3
	s_mul_hi_i32 s3, s37, s6
	s_mul_i32 s2, s37, s6
	s_lshl_b64 s[2:3], s[2:3], 3
	s_add_u32 s7, s4, s2
	s_addc_u32 s21, s5, s3
	s_add_i32 s2, s6, 1
	s_cmp_ge_u32 s2, s33
	v_lshlrev_b32_e32 v32, 3, v65
	s_barrier
	s_cbranch_scc1 .LBB114_146
; %bb.89:
	s_mul_i32 s2, s22, s25
	s_mul_hi_u32 s3, s22, s24
	s_add_i32 s2, s3, s2
	s_mul_i32 s3, s23, s24
	s_add_i32 s3, s2, s3
	s_mul_i32 s2, s22, s24
	s_lshl_b64 s[2:3], s[2:3], 3
	v_mov_b32_e32 v0, s3
	v_subrev_co_u32_e32 v121, vcc, s2, v14
	v_and_b32_e32 v1, 48, v65
	v_subb_co_u32_e32 v122, vcc, v15, v0, vcc
	v_and_b32_e32 v0, 15, v65
	v_lshlrev_b32_e32 v2, 3, v1
	s_movk_i32 s4, 0x218
	v_lshrrev_b32_e32 v4, 4, v22
	v_mad_u32_u24 v123, v0, s4, v2
	v_or_b32_e32 v2, 0x78, v32
	v_lshlrev_b32_e32 v5, 5, v120
	v_mad_u32_u24 v124, v0, s4, v2
	v_lshlrev_b32_e32 v2, 5, v4
	v_add_u32_e32 v3, 0x100, v5
	v_mad_u32_u24 v125, v0, s4, v2
	v_or_b32_e32 v126, v1, v0
	v_mad_u64_u32 v[0:1], s[4:5], s16, v3, 0
	v_mov_b32_e32 v2, v1
	v_mad_u64_u32 v[2:3], s[4:5], s17, v3, v[2:3]
	v_mov_b32_e32 v1, v2
	v_sub_co_u32_e32 v0, vcc, v0, v12
	v_subb_co_u32_e32 v1, vcc, v1, v13, vcc
	v_add_co_u32_e32 v34, vcc, v16, v0
	v_add_u32_e32 v3, 0x110, v5
	v_addc_co_u32_e32 v33, vcc, v17, v1, vcc
	v_mad_u64_u32 v[0:1], s[4:5], s16, v3, 0
	v_mov_b32_e32 v2, v1
	v_mad_u64_u32 v[2:3], s[4:5], s17, v3, v[2:3]
	v_mov_b32_e32 v1, v2
	v_sub_co_u32_e32 v0, vcc, v0, v12
	v_subb_co_u32_e32 v1, vcc, v1, v13, vcc
	v_add_co_u32_e32 v36, vcc, v16, v0
	v_add_u32_e32 v3, 0x108, v5
	v_addc_co_u32_e32 v35, vcc, v17, v1, vcc
	;; [unrolled: 9-line block ×12, first 2 shown]
	v_mad_u64_u32 v[0:1], s[4:5], s16, v3, 0
	v_mov_b32_e32 v2, v1
	v_mad_u64_u32 v[2:3], s[4:5], s17, v3, v[2:3]
	v_mov_b32_e32 v1, v2
	v_sub_co_u32_e32 v6, vcc, v0, v12
	v_add_u32_e32 v3, 0x288, v5
	v_subb_co_u32_e32 v7, vcc, v1, v13, vcc
	v_mad_u64_u32 v[0:1], s[4:5], s16, v3, 0
	v_mov_b32_e32 v2, v1
	v_mad_u64_u32 v[2:3], s[4:5], s17, v3, v[2:3]
	v_mov_b32_e32 v1, v2
	v_sub_co_u32_e32 v8, vcc, v0, v12
	v_add_u32_e32 v3, 0x290, v5
	v_subb_co_u32_e32 v9, vcc, v1, v13, vcc
	;; [unrolled: 7-line block ×3, first 2 shown]
	v_mad_u64_u32 v[0:1], s[4:5], s16, v3, 0
	v_mov_b32_e32 v2, v1
	v_add_co_u32_e32 v58, vcc, v16, v6
	v_mad_u64_u32 v[2:3], s[4:5], s17, v3, v[2:3]
	v_addc_co_u32_e32 v57, vcc, v17, v7, vcc
	v_mov_b32_e32 v1, v2
	v_sub_co_u32_e32 v0, vcc, v0, v12
	v_subb_co_u32_e32 v1, vcc, v1, v13, vcc
	v_add_co_u32_e32 v60, vcc, v16, v8
	v_addc_co_u32_e32 v59, vcc, v17, v9, vcc
	v_add_co_u32_e32 v62, vcc, v16, v10
	v_addc_co_u32_e32 v61, vcc, v17, v11, vcc
	v_add_co_u32_e32 v64, vcc, v16, v0
	s_movk_i32 s4, 0x860
	v_mul_i32_i24_e32 v0, 0xffffffe8, v4
	v_lshlrev_b32_e32 v129, 2, v120
	v_cmp_gt_u32_e64 s[2:3], 64, v22
	v_addc_co_u32_e32 v63, vcc, v17, v1, vcc
	s_add_i32 s23, s33, -2
	v_add_u32_e32 v127, 0x2180, v5
	s_add_i32 s22, s22, 64
	s_lshl_b64 s[10:11], s[16:17], 9
	v_add_u32_e32 v128, v125, v0
	v_add_u32_e32 v130, 0x2180, v32
	;; [unrolled: 1-line block ×3, first 2 shown]
	v_or_b32_e32 v132, 1, v129
	v_or_b32_e32 v133, 2, v129
	;; [unrolled: 1-line block ×3, first 2 shown]
	v_mad_u32_u24 v135, v120, s4, v32
	v_add_u32_e32 v136, 16, v129
	v_add_u32_e32 v137, 17, v129
	;; [unrolled: 1-line block ×12, first 2 shown]
	v_mov_b32_e32 v66, 0
	s_branch .LBB114_91
.LBB114_90:                             ;   in Loop: Header=BB114_91 Depth=1
	s_or_b64 exec, exec, s[4:5]
	v_mul_f32_e32 v0, v77, v69
	v_fma_f32 v0, v76, v68, -v0
	v_mul_f32_e32 v2, v79, v71
	v_add_f32_e32 v0, v30, v0
	v_fma_f32 v2, v78, v70, -v2
	v_add_f32_e32 v0, v0, v2
	v_mul_f32_e32 v2, v81, v73
	v_fma_f32 v2, v80, v72, -v2
	v_mul_f32_e32 v1, v77, v68
	v_add_f32_e32 v0, v0, v2
	v_mul_f32_e32 v2, v83, v75
	v_mul_f32_e32 v3, v79, v70
	v_fma_f32 v2, v82, v74, -v2
	v_fmac_f32_e32 v1, v76, v69
	v_mul_f32_e32 v4, v81, v72
	v_add_f32_e32 v0, v0, v2
	v_add_f32_e32 v1, v31, v1
	v_fmac_f32_e32 v3, v78, v71
	v_mul_f32_e32 v2, v93, v85
	v_mul_f32_e32 v5, v83, v74
	v_add_f32_e32 v1, v1, v3
	v_fmac_f32_e32 v4, v80, v73
	v_fma_f32 v2, v92, v84, -v2
	v_add_f32_e32 v1, v1, v4
	v_fmac_f32_e32 v5, v82, v75
	v_mul_f32_e32 v6, v93, v84
	v_add_f32_e32 v0, v0, v2
	v_mul_f32_e32 v2, v95, v87
	v_add_f32_e32 v1, v1, v5
	v_fma_f32 v2, v94, v86, -v2
	v_mul_f32_e32 v7, v95, v86
	v_fmac_f32_e32 v6, v92, v85
	v_add_f32_e32 v0, v0, v2
	v_mul_f32_e32 v2, v97, v89
	v_mul_f32_e32 v3, v97, v88
	v_add_f32_e32 v1, v1, v6
	v_fmac_f32_e32 v7, v94, v87
	v_fma_f32 v2, v96, v88, -v2
	v_add_f32_e32 v1, v1, v7
	v_fmac_f32_e32 v3, v96, v89
	v_mul_f32_e32 v4, v99, v91
	v_mul_f32_e32 v5, v99, v90
	v_pk_add_f32 v[0:1], v[0:1], v[2:3]
	v_mov_b32_e32 v2, v101
	v_fma_f32 v4, v98, v90, -v4
	v_fmac_f32_e32 v5, v98, v91
	v_pk_mul_f32 v[2:3], v[108:109], v[2:3] op_sel_hi:[1,0]
	v_pk_add_f32 v[0:1], v[0:1], v[4:5]
	v_pk_fma_f32 v[4:5], v[108:109], v[100:101], v[2:3] op_sel:[0,0,1] op_sel_hi:[1,1,0] neg_lo:[0,0,1] neg_hi:[0,0,1]
	v_pk_fma_f32 v[2:3], v[108:109], v[100:101], v[2:3] op_sel:[0,0,1] op_sel_hi:[1,0,0]
	v_mov_b32_e32 v2, v103
	v_mov_b32_e32 v5, v3
	v_pk_mul_f32 v[2:3], v[8:9], v[2:3] op_sel_hi:[1,0]
	v_pk_add_f32 v[0:1], v[0:1], v[4:5]
	v_pk_fma_f32 v[4:5], v[8:9], v[102:103], v[2:3] op_sel:[0,0,1] op_sel_hi:[1,1,0] neg_lo:[0,0,1] neg_hi:[0,0,1]
	v_pk_fma_f32 v[2:3], v[8:9], v[102:103], v[2:3] op_sel:[0,0,1] op_sel_hi:[1,0,0]
	v_mov_b32_e32 v2, v105
	v_mov_b32_e32 v5, v3
	;; [unrolled: 6-line block ×5, first 2 shown]
	v_pk_mul_f32 v[2:3], v[18:19], v[2:3] op_sel_hi:[1,0]
	v_pk_fma_f32 v[6:7], v[18:19], v[114:115], v[2:3] op_sel:[0,0,1] op_sel_hi:[1,1,0] neg_lo:[0,0,1] neg_hi:[0,0,1]
	v_pk_fma_f32 v[2:3], v[18:19], v[114:115], v[2:3] op_sel:[0,0,1] op_sel_hi:[1,0,0]
	v_mov_b32_e32 v2, v117
	v_mov_b32_e32 v7, v3
	v_pk_mul_f32 v[2:3], v[12:13], v[2:3] op_sel_hi:[1,0]
	v_pk_fma_f32 v[8:9], v[12:13], v[116:117], v[2:3] op_sel:[0,0,1] op_sel_hi:[1,1,0] neg_lo:[0,0,1] neg_hi:[0,0,1]
	v_pk_fma_f32 v[2:3], v[12:13], v[116:117], v[2:3] op_sel:[0,0,1] op_sel_hi:[1,0,0]
	v_mov_b32_e32 v2, v119
	v_mov_b32_e32 v9, v3
	v_pk_mul_f32 v[2:3], v[14:15], v[2:3] op_sel_hi:[1,0]
	v_pk_add_f32 v[0:1], v[0:1], v[4:5]
	v_pk_fma_f32 v[10:11], v[14:15], v[118:119], v[2:3] op_sel:[0,0,1] op_sel_hi:[1,1,0] neg_lo:[0,0,1] neg_hi:[0,0,1]
	v_pk_fma_f32 v[2:3], v[14:15], v[118:119], v[2:3] op_sel:[0,0,1] op_sel_hi:[1,0,0]
	v_pk_add_f32 v[0:1], v[0:1], v[6:7]
	v_mov_b32_e32 v11, v3
	v_pk_add_f32 v[0:1], v[0:1], v[8:9]
	v_pk_add_f32 v[30:31], v[0:1], v[10:11]
	v_mov_b32_e32 v0, s11
	v_add_co_u32_e32 v34, vcc, s10, v34
	v_addc_co_u32_e32 v33, vcc, v33, v0, vcc
	v_add_co_u32_e32 v36, vcc, s10, v36
	v_addc_co_u32_e32 v35, vcc, v35, v0, vcc
	;; [unrolled: 2-line block ×15, first 2 shown]
	s_add_i32 s4, s6, 1
	s_add_i32 s22, s22, 64
	;; [unrolled: 1-line block ×3, first 2 shown]
	v_add_co_u32_e32 v64, vcc, s10, v64
	v_addc_co_u32_e32 v63, vcc, v63, v0, vcc
	s_cmp_ge_u32 s5, s33
	s_mov_b32 s6, s4
	s_barrier
	s_cbranch_scc1 .LBB114_146
.LBB114_91:                             ; =>This Inner Loop Header: Depth=1
	s_cmp_eq_u32 s23, s6
	s_cselect_b32 s26, s36, 0
	s_and_saveexec_b64 s[4:5], s[0:1]
	s_cbranch_execz .LBB114_96
; %bb.92:                               ;   in Loop: Header=BB114_91 Depth=1
	s_cmp_lg_u32 s26, 0
	s_cselect_b64 s[8:9], -1, 0
	v_cmp_le_i32_e32 vcc, s26, v65
	s_and_b64 s[8:9], s[8:9], vcc
	s_and_saveexec_b64 s[12:13], s[8:9]
	s_xor_b64 s[8:9], exec, s[12:13]
	s_cbranch_execz .LBB114_94
; %bb.93:                               ;   in Loop: Header=BB114_91 Depth=1
	v_mov_b32_e32 v67, v66
	ds_write_b64 v130, v[66:67]
.LBB114_94:                             ;   in Loop: Header=BB114_91 Depth=1
	s_andn2_saveexec_b64 s[8:9], s[8:9]
	s_cbranch_execz .LBB114_96
; %bb.95:                               ;   in Loop: Header=BB114_91 Depth=1
	s_ashr_i32 s8, s22, 31
	s_mul_i32 s9, s22, s25
	s_mul_hi_u32 s12, s22, s24
	s_add_i32 s9, s12, s9
	s_mul_i32 s8, s8, s24
	s_add_i32 s9, s9, s8
	s_mul_i32 s8, s22, s24
	s_lshl_b64 s[8:9], s[8:9], 3
	v_mov_b32_e32 v1, s9
	v_add_co_u32_e32 v0, vcc, s8, v121
	v_addc_co_u32_e32 v1, vcc, v122, v1, vcc
	global_load_dwordx2 v[0:1], v[0:1], off
	s_waitcnt vmcnt(0)
	ds_write_b64 v130, v[0:1]
.LBB114_96:                             ;   in Loop: Header=BB114_91 Depth=1
	s_or_b64 exec, exec, s[4:5]
	s_cmp_eq_u32 s26, 0
	v_add_co_u32_e32 v0, vcc, v34, v32
	s_cselect_b64 s[12:13], -1, 0
	s_cmp_lg_u32 s26, 0
	v_addc_co_u32_e32 v1, vcc, 0, v33, vcc
	s_cselect_b64 s[8:9], -1, 0
	s_and_b64 vcc, exec, s[8:9]
	s_waitcnt lgkmcnt(0)
	s_barrier
	s_cbranch_vccz .LBB114_104
; %bb.97:                               ;   in Loop: Header=BB114_91 Depth=1
	v_pk_mov_b32 v[70:71], 0, 0
	v_cmp_gt_i32_e32 vcc, s26, v129
	v_pk_mov_b32 v[68:69], v[70:71], v[70:71] op_sel:[0,1]
	s_and_saveexec_b64 s[4:5], vcc
	s_cbranch_execz .LBB114_99
; %bb.98:                               ;   in Loop: Header=BB114_91 Depth=1
	global_load_dwordx2 v[68:69], v[0:1], off
.LBB114_99:                             ;   in Loop: Header=BB114_91 Depth=1
	s_or_b64 exec, exec, s[4:5]
	v_cmp_gt_i32_e32 vcc, s26, v132
	s_and_saveexec_b64 s[4:5], vcc
	s_cbranch_execz .LBB114_101
; %bb.100:                              ;   in Loop: Header=BB114_91 Depth=1
	v_add_co_u32_e32 v2, vcc, v38, v32
	v_addc_co_u32_e32 v3, vcc, 0, v37, vcc
	global_load_dwordx2 v[70:71], v[2:3], off
.LBB114_101:                            ;   in Loop: Header=BB114_91 Depth=1
	s_or_b64 exec, exec, s[4:5]
	v_cmp_gt_i32_e32 vcc, s26, v133
	v_pk_mov_b32 v[72:73], 0, 0
	s_and_saveexec_b64 s[4:5], vcc
	s_cbranch_execz .LBB114_103
; %bb.102:                              ;   in Loop: Header=BB114_91 Depth=1
	v_add_co_u32_e32 v2, vcc, v36, v32
	v_addc_co_u32_e32 v3, vcc, 0, v35, vcc
	global_load_dwordx2 v[72:73], v[2:3], off
.LBB114_103:                            ;   in Loop: Header=BB114_91 Depth=1
	s_or_b64 exec, exec, s[4:5]
	v_cmp_gt_i32_e64 s[4:5], s26, v134
	s_mov_b64 s[14:15], 0
	s_branch .LBB114_106
.LBB114_104:                            ;   in Loop: Header=BB114_91 Depth=1
	s_mov_b64 s[4:5], 0
                                        ; implicit-def: $sgpr14_sgpr15
                                        ; implicit-def: $vgpr72_vgpr73
                                        ; implicit-def: $vgpr70_vgpr71
                                        ; implicit-def: $vgpr68_vgpr69
	s_cbranch_execz .LBB114_106
; %bb.105:                              ;   in Loop: Header=BB114_91 Depth=1
	global_load_dwordx2 v[68:69], v[0:1], off
	v_add_co_u32_e32 v0, vcc, v38, v32
	v_addc_co_u32_e32 v1, vcc, 0, v37, vcc
	global_load_dwordx2 v[70:71], v[0:1], off
	v_add_co_u32_e32 v0, vcc, v36, v32
	v_addc_co_u32_e32 v1, vcc, 0, v35, vcc
	global_load_dwordx2 v[72:73], v[0:1], off
	s_or_b64 s[4:5], s[4:5], exec
                                        ; implicit-def: $sgpr14_sgpr15
.LBB114_106:                            ;   in Loop: Header=BB114_91 Depth=1
	v_pk_mov_b32 v[74:75], s[14:15], s[14:15] op_sel:[0,1]
	s_and_saveexec_b64 s[14:15], s[4:5]
	s_cbranch_execz .LBB114_108
; %bb.107:                              ;   in Loop: Header=BB114_91 Depth=1
	v_add_co_u32_e32 v0, vcc, v40, v32
	v_addc_co_u32_e32 v1, vcc, 0, v39, vcc
	global_load_dwordx2 v[74:75], v[0:1], off
.LBB114_108:                            ;   in Loop: Header=BB114_91 Depth=1
	s_or_b64 exec, exec, s[14:15]
	ds_read_b64 v[0:1], v131
	ds_read_b64 v[76:77], v127
	v_cndmask_b32_e64 v8, 0, 1, s[8:9]
	v_cmp_ne_u32_e64 s[4:5], 1, v8
	s_andn2_b64 vcc, exec, s[8:9]
	s_waitcnt vmcnt(0) lgkmcnt(1)
	v_mul_f32_e32 v2, v1, v69
	v_mul_f32_e32 v3, v1, v68
	v_fma_f32 v2, v0, v68, -v2
	v_fmac_f32_e32 v3, v0, v69
	v_mul_f32_e32 v4, v1, v71
	ds_write_b64 v135, v[2:3]
	v_mul_f32_e32 v3, v1, v70
	v_fma_f32 v2, v0, v70, -v4
	v_fmac_f32_e32 v3, v0, v71
	ds_read_b64 v[78:79], v127 offset:8
	ds_write_b64 v135, v[2:3] offset:536
	v_mul_f32_e32 v2, v1, v73
	v_mul_f32_e32 v3, v1, v72
	v_fma_f32 v2, v0, v72, -v2
	v_fmac_f32_e32 v3, v0, v73
	ds_read_b64 v[80:81], v127 offset:16
	ds_write_b64 v135, v[2:3] offset:1072
	v_mul_f32_e32 v2, v1, v75
	v_mul_f32_e32 v3, v0, v75
	v_fma_f32 v2, v0, v74, -v2
	v_fmac_f32_e32 v3, v1, v74
	ds_read_b64 v[82:83], v127 offset:24
	ds_write_b64 v135, v[2:3] offset:1608
	s_waitcnt lgkmcnt(0)
	s_barrier
	ds_read2_b64 v[4:7], v125 offset1:1
	ds_read2_b64 v[0:3], v125 offset0:2 offset1:3
	v_add_co_u32_e64 v8, s[8:9], v42, v32
	v_addc_co_u32_e64 v9, s[8:9], 0, v41, s[8:9]
	s_waitcnt lgkmcnt(0)
	s_barrier
	s_cbranch_vccnz .LBB114_116
; %bb.109:                              ;   in Loop: Header=BB114_91 Depth=1
	v_pk_mov_b32 v[86:87], 0, 0
	v_cmp_gt_i32_e32 vcc, s26, v136
	v_pk_mov_b32 v[84:85], v[86:87], v[86:87] op_sel:[0,1]
	s_and_saveexec_b64 s[8:9], vcc
	s_cbranch_execz .LBB114_111
; %bb.110:                              ;   in Loop: Header=BB114_91 Depth=1
	global_load_dwordx2 v[84:85], v[8:9], off
.LBB114_111:                            ;   in Loop: Header=BB114_91 Depth=1
	s_or_b64 exec, exec, s[8:9]
	v_cmp_gt_i32_e32 vcc, s26, v137
	s_and_saveexec_b64 s[8:9], vcc
	s_cbranch_execz .LBB114_113
; %bb.112:                              ;   in Loop: Header=BB114_91 Depth=1
	v_add_co_u32_e32 v10, vcc, v44, v32
	v_addc_co_u32_e32 v11, vcc, 0, v43, vcc
	global_load_dwordx2 v[86:87], v[10:11], off
.LBB114_113:                            ;   in Loop: Header=BB114_91 Depth=1
	s_or_b64 exec, exec, s[8:9]
	v_cmp_gt_i32_e32 vcc, s26, v138
	v_pk_mov_b32 v[88:89], 0, 0
	s_and_saveexec_b64 s[8:9], vcc
	s_cbranch_execz .LBB114_115
; %bb.114:                              ;   in Loop: Header=BB114_91 Depth=1
	v_add_co_u32_e32 v10, vcc, v46, v32
	v_addc_co_u32_e32 v11, vcc, 0, v45, vcc
	global_load_dwordx2 v[88:89], v[10:11], off
.LBB114_115:                            ;   in Loop: Header=BB114_91 Depth=1
	s_or_b64 exec, exec, s[8:9]
	v_cmp_gt_i32_e64 s[8:9], s26, v139
	s_mov_b64 s[14:15], 0
	s_branch .LBB114_118
.LBB114_116:                            ;   in Loop: Header=BB114_91 Depth=1
	s_mov_b64 s[8:9], 0
                                        ; implicit-def: $sgpr14_sgpr15
                                        ; implicit-def: $vgpr88_vgpr89
                                        ; implicit-def: $vgpr86_vgpr87
                                        ; implicit-def: $vgpr84_vgpr85
	s_cbranch_execz .LBB114_118
; %bb.117:                              ;   in Loop: Header=BB114_91 Depth=1
	global_load_dwordx2 v[84:85], v[8:9], off
	v_add_co_u32_e32 v8, vcc, v44, v32
	v_addc_co_u32_e32 v9, vcc, 0, v43, vcc
	global_load_dwordx2 v[86:87], v[8:9], off
	v_add_co_u32_e32 v8, vcc, v46, v32
	v_addc_co_u32_e32 v9, vcc, 0, v45, vcc
	global_load_dwordx2 v[88:89], v[8:9], off
	s_or_b64 s[8:9], s[8:9], exec
                                        ; implicit-def: $sgpr14_sgpr15
.LBB114_118:                            ;   in Loop: Header=BB114_91 Depth=1
	v_pk_mov_b32 v[90:91], s[14:15], s[14:15] op_sel:[0,1]
	s_and_saveexec_b64 s[14:15], s[8:9]
	s_cbranch_execz .LBB114_120
; %bb.119:                              ;   in Loop: Header=BB114_91 Depth=1
	v_add_co_u32_e32 v8, vcc, v48, v32
	v_addc_co_u32_e32 v9, vcc, 0, v47, vcc
	global_load_dwordx2 v[90:91], v[8:9], off
.LBB114_120:                            ;   in Loop: Header=BB114_91 Depth=1
	s_or_b64 exec, exec, s[14:15]
	ds_read_b64 v[8:9], v131
	ds_read_b64 v[92:93], v127 offset:128
	s_and_b64 vcc, exec, s[4:5]
	s_waitcnt vmcnt(0) lgkmcnt(1)
	v_mul_f32_e32 v10, v9, v85
	v_mul_f32_e32 v11, v9, v84
	v_fma_f32 v10, v8, v84, -v10
	v_fmac_f32_e32 v11, v8, v85
	v_mul_f32_e32 v12, v9, v87
	ds_write_b64 v135, v[10:11]
	v_mul_f32_e32 v11, v9, v86
	v_fma_f32 v10, v8, v86, -v12
	v_fmac_f32_e32 v11, v8, v87
	ds_read_b64 v[94:95], v127 offset:136
	ds_write_b64 v135, v[10:11] offset:536
	v_mul_f32_e32 v10, v9, v89
	v_mul_f32_e32 v11, v9, v88
	v_fma_f32 v10, v8, v88, -v10
	v_fmac_f32_e32 v11, v8, v89
	ds_read_b64 v[96:97], v127 offset:144
	ds_write_b64 v135, v[10:11] offset:1072
	v_mul_f32_e32 v10, v9, v91
	v_mul_f32_e32 v11, v8, v91
	v_fma_f32 v10, v8, v90, -v10
	v_fmac_f32_e32 v11, v9, v90
	ds_read_b64 v[98:99], v127 offset:152
	ds_write_b64 v135, v[10:11] offset:1608
	s_waitcnt lgkmcnt(0)
	s_barrier
	ds_read2_b64 v[16:19], v125 offset1:1
	ds_read2_b64 v[12:15], v125 offset0:2 offset1:3
	v_add_co_u32_e64 v8, s[8:9], v50, v32
	v_addc_co_u32_e64 v9, s[8:9], 0, v49, s[8:9]
	s_waitcnt lgkmcnt(0)
	s_barrier
	s_cbranch_vccnz .LBB114_128
; %bb.121:                              ;   in Loop: Header=BB114_91 Depth=1
	v_pk_mov_b32 v[102:103], 0, 0
	v_cmp_gt_i32_e32 vcc, s26, v140
	v_pk_mov_b32 v[100:101], v[102:103], v[102:103] op_sel:[0,1]
	s_and_saveexec_b64 s[8:9], vcc
	s_cbranch_execz .LBB114_123
; %bb.122:                              ;   in Loop: Header=BB114_91 Depth=1
	global_load_dwordx2 v[100:101], v[8:9], off
.LBB114_123:                            ;   in Loop: Header=BB114_91 Depth=1
	s_or_b64 exec, exec, s[8:9]
	v_cmp_gt_i32_e32 vcc, s26, v141
	s_and_saveexec_b64 s[8:9], vcc
	s_cbranch_execz .LBB114_125
; %bb.124:                              ;   in Loop: Header=BB114_91 Depth=1
	v_add_co_u32_e32 v10, vcc, v52, v32
	v_addc_co_u32_e32 v11, vcc, 0, v51, vcc
	global_load_dwordx2 v[102:103], v[10:11], off
.LBB114_125:                            ;   in Loop: Header=BB114_91 Depth=1
	s_or_b64 exec, exec, s[8:9]
	v_cmp_gt_i32_e32 vcc, s26, v142
	v_pk_mov_b32 v[104:105], 0, 0
	s_and_saveexec_b64 s[8:9], vcc
	s_cbranch_execz .LBB114_127
; %bb.126:                              ;   in Loop: Header=BB114_91 Depth=1
	v_add_co_u32_e32 v10, vcc, v54, v32
	v_addc_co_u32_e32 v11, vcc, 0, v53, vcc
	global_load_dwordx2 v[104:105], v[10:11], off
.LBB114_127:                            ;   in Loop: Header=BB114_91 Depth=1
	s_or_b64 exec, exec, s[8:9]
	v_cmp_gt_i32_e64 s[8:9], s26, v143
	s_mov_b64 s[14:15], 0
	s_branch .LBB114_130
.LBB114_128:                            ;   in Loop: Header=BB114_91 Depth=1
	s_mov_b64 s[8:9], 0
                                        ; implicit-def: $sgpr14_sgpr15
                                        ; implicit-def: $vgpr104_vgpr105
                                        ; implicit-def: $vgpr102_vgpr103
                                        ; implicit-def: $vgpr100_vgpr101
	s_cbranch_execz .LBB114_130
; %bb.129:                              ;   in Loop: Header=BB114_91 Depth=1
	global_load_dwordx2 v[100:101], v[8:9], off
	v_add_co_u32_e32 v8, vcc, v52, v32
	v_addc_co_u32_e32 v9, vcc, 0, v51, vcc
	global_load_dwordx2 v[102:103], v[8:9], off
	v_add_co_u32_e32 v8, vcc, v54, v32
	v_addc_co_u32_e32 v9, vcc, 0, v53, vcc
	global_load_dwordx2 v[104:105], v[8:9], off
	s_or_b64 s[8:9], s[8:9], exec
                                        ; implicit-def: $sgpr14_sgpr15
.LBB114_130:                            ;   in Loop: Header=BB114_91 Depth=1
	v_pk_mov_b32 v[106:107], s[14:15], s[14:15] op_sel:[0,1]
	s_and_saveexec_b64 s[14:15], s[8:9]
	s_cbranch_execz .LBB114_132
; %bb.131:                              ;   in Loop: Header=BB114_91 Depth=1
	v_add_co_u32_e32 v8, vcc, v56, v32
	v_addc_co_u32_e32 v9, vcc, 0, v55, vcc
	global_load_dwordx2 v[106:107], v[8:9], off
.LBB114_132:                            ;   in Loop: Header=BB114_91 Depth=1
	s_or_b64 exec, exec, s[14:15]
	ds_read_b64 v[8:9], v131
	ds_read_b64 v[108:109], v127 offset:256
	s_and_b64 vcc, exec, s[4:5]
	v_add_co_u32_e64 v118, s[4:5], v58, v32
	s_waitcnt vmcnt(0) lgkmcnt(1)
	v_mul_f32_e32 v10, v9, v101
	v_mul_f32_e32 v11, v9, v100
	;; [unrolled: 1-line block ×4, first 2 shown]
	v_fma_f32 v10, v8, v100, -v10
	v_fmac_f32_e32 v11, v8, v101
	v_fma_f32 v20, v8, v102, -v20
	v_fmac_f32_e32 v21, v8, v103
	ds_write2_b64 v135, v[10:11], v[20:21] offset1:67
	v_mul_f32_e32 v10, v9, v105
	v_mul_f32_e32 v11, v9, v104
	;; [unrolled: 1-line block ×4, first 2 shown]
	v_fma_f32 v10, v8, v104, -v10
	v_fmac_f32_e32 v11, v8, v105
	v_fma_f32 v20, v8, v106, -v20
	v_fmac_f32_e32 v21, v9, v106
	ds_write2_b64 v135, v[10:11], v[20:21] offset0:134 offset1:201
	ds_read2_b64 v[8:11], v127 offset0:33 offset1:34
	ds_read_b64 v[110:111], v127 offset:280
	s_waitcnt lgkmcnt(0)
	s_barrier
	ds_read2_b64 v[24:27], v125 offset1:1
	ds_read2_b64 v[20:23], v125 offset0:2 offset1:3
	v_addc_co_u32_e64 v119, s[4:5], 0, v57, s[4:5]
	s_waitcnt lgkmcnt(0)
	s_barrier
	s_cbranch_vccnz .LBB114_140
; %bb.133:                              ;   in Loop: Header=BB114_91 Depth=1
	v_pk_mov_b32 v[114:115], 0, 0
	v_cmp_gt_i32_e32 vcc, s26, v144
	v_pk_mov_b32 v[112:113], v[114:115], v[114:115] op_sel:[0,1]
	s_and_saveexec_b64 s[4:5], vcc
	s_cbranch_execz .LBB114_135
; %bb.134:                              ;   in Loop: Header=BB114_91 Depth=1
	global_load_dwordx2 v[112:113], v[118:119], off
.LBB114_135:                            ;   in Loop: Header=BB114_91 Depth=1
	s_or_b64 exec, exec, s[4:5]
	v_cmp_gt_i32_e32 vcc, s26, v145
	s_and_saveexec_b64 s[4:5], vcc
	s_cbranch_execz .LBB114_137
; %bb.136:                              ;   in Loop: Header=BB114_91 Depth=1
	v_add_co_u32_e32 v114, vcc, v60, v32
	v_addc_co_u32_e32 v115, vcc, 0, v59, vcc
	global_load_dwordx2 v[114:115], v[114:115], off
.LBB114_137:                            ;   in Loop: Header=BB114_91 Depth=1
	s_or_b64 exec, exec, s[4:5]
	v_cmp_gt_i32_e32 vcc, s26, v146
	v_pk_mov_b32 v[116:117], 0, 0
	s_and_saveexec_b64 s[4:5], vcc
	s_cbranch_execz .LBB114_139
; %bb.138:                              ;   in Loop: Header=BB114_91 Depth=1
	v_add_co_u32_e32 v116, vcc, v62, v32
	v_addc_co_u32_e32 v117, vcc, 0, v61, vcc
	global_load_dwordx2 v[116:117], v[116:117], off
.LBB114_139:                            ;   in Loop: Header=BB114_91 Depth=1
	s_or_b64 exec, exec, s[4:5]
	v_cmp_gt_i32_e64 s[4:5], s26, v147
	s_mov_b64 s[8:9], 0
	s_branch .LBB114_142
.LBB114_140:                            ;   in Loop: Header=BB114_91 Depth=1
	s_mov_b64 s[4:5], 0
                                        ; implicit-def: $sgpr8_sgpr9
                                        ; implicit-def: $vgpr116_vgpr117
                                        ; implicit-def: $vgpr114_vgpr115
                                        ; implicit-def: $vgpr112_vgpr113
	s_cbranch_execz .LBB114_142
; %bb.141:                              ;   in Loop: Header=BB114_91 Depth=1
	s_waitcnt vmcnt(0)
	v_add_co_u32_e32 v114, vcc, v60, v32
	v_addc_co_u32_e32 v115, vcc, 0, v59, vcc
	v_add_co_u32_e32 v116, vcc, v62, v32
	v_addc_co_u32_e32 v117, vcc, 0, v61, vcc
	global_load_dwordx2 v[112:113], v[118:119], off
	s_or_b64 s[4:5], s[4:5], exec
	global_load_dwordx2 v[114:115], v[114:115], off
                                        ; implicit-def: $sgpr8_sgpr9
	s_nop 0
	global_load_dwordx2 v[116:117], v[116:117], off
.LBB114_142:                            ;   in Loop: Header=BB114_91 Depth=1
	v_pk_mov_b32 v[118:119], s[8:9], s[8:9] op_sel:[0,1]
	s_and_saveexec_b64 s[8:9], s[4:5]
	s_cbranch_execz .LBB114_144
; %bb.143:                              ;   in Loop: Header=BB114_91 Depth=1
	v_add_co_u32_e32 v118, vcc, v64, v32
	v_addc_co_u32_e32 v119, vcc, 0, v63, vcc
	global_load_dwordx2 v[118:119], v[118:119], off
.LBB114_144:                            ;   in Loop: Header=BB114_91 Depth=1
	s_or_b64 exec, exec, s[8:9]
	v_pk_add_f32 v[24:25], v[24:25], 0 op_sel_hi:[1,0]
	v_pk_add_f32 v[24:25], v[24:25], v[26:27]
	v_pk_add_f32 v[20:21], v[24:25], v[20:21]
	;; [unrolled: 1-line block ×3, first 2 shown]
	ds_read_b64 v[20:21], v131
	v_pk_add_f32 v[16:17], v[16:17], 0 op_sel_hi:[1,0]
	v_pk_add_f32 v[16:17], v[16:17], v[18:19]
	v_pk_add_f32 v[12:13], v[16:17], v[12:13]
	;; [unrolled: 1-line block ×3, first 2 shown]
	s_waitcnt vmcnt(0) lgkmcnt(0)
	v_mul_f32_e32 v12, v21, v113
	v_mul_f32_e32 v13, v21, v112
	;; [unrolled: 1-line block ×4, first 2 shown]
	v_fma_f32 v12, v20, v112, -v12
	v_fmac_f32_e32 v13, v20, v113
	v_fma_f32 v14, v20, v114, -v14
	v_fmac_f32_e32 v15, v20, v115
	ds_write2_b64 v135, v[12:13], v[14:15] offset1:67
	v_mul_f32_e32 v12, v21, v117
	v_mul_f32_e32 v13, v21, v116
	;; [unrolled: 1-line block ×4, first 2 shown]
	v_fma_f32 v12, v20, v116, -v12
	v_fmac_f32_e32 v13, v20, v117
	v_fma_f32 v14, v20, v118, -v14
	v_fmac_f32_e32 v15, v21, v118
	ds_write2_b64 v135, v[12:13], v[14:15] offset0:134 offset1:201
	ds_read_b128 v[16:19], v127 offset:384
	ds_read_b128 v[12:15], v127 offset:400
	s_waitcnt lgkmcnt(0)
	s_barrier
	ds_read2_b64 v[20:23], v125 offset1:1
	v_pk_add_f32 v[4:5], v[4:5], 0 op_sel_hi:[1,0]
	v_pk_add_f32 v[148:149], v[4:5], v[6:7]
	ds_read2_b64 v[4:7], v125 offset0:2 offset1:3
	v_pk_add_f32 v[0:1], v[148:149], v[0:1]
	v_pk_add_f32 v[0:1], v[0:1], v[2:3]
	s_waitcnt lgkmcnt(1)
	v_pk_add_f32 v[2:3], v[20:21], 0 op_sel_hi:[1,0]
	v_cmp_gt_i32_e32 vcc, s26, v65
	v_pk_add_f32 v[2:3], v[2:3], v[22:23]
	s_or_b64 s[4:5], s[12:13], vcc
	s_waitcnt lgkmcnt(0)
	v_pk_add_f32 v[2:3], v[2:3], v[4:5]
	s_and_b64 s[8:9], s[2:3], s[4:5]
	v_pk_add_f32 v[2:3], v[2:3], v[6:7]
	s_barrier
	ds_write2_b64 v128, v[0:1], v[26:27] offset1:16
	ds_write2_b64 v128, v[24:25], v[2:3] offset0:32 offset1:48
	s_waitcnt lgkmcnt(0)
	s_barrier
	s_and_saveexec_b64 s[4:5], s[8:9]
	s_cbranch_execz .LBB114_90
; %bb.145:                              ;   in Loop: Header=BB114_91 Depth=1
	ds_read_b64 v[20:21], v123
	ds_read2_b64 v[0:3], v123 offset0:1 offset1:2
	ds_read2_b64 v[4:7], v123 offset0:3 offset1:4
	v_mov_b32_e32 v25, s21
	s_waitcnt lgkmcnt(1)
	v_add_f32_e32 v0, v0, v20
	v_add_f32_e32 v1, v1, v21
	;; [unrolled: 1-line block ×4, first 2 shown]
	ds_read2_b64 v[0:3], v123 offset0:5 offset1:6
	s_waitcnt lgkmcnt(1)
	v_add_f32_e32 v4, v20, v4
	v_add_f32_e32 v5, v21, v5
	;; [unrolled: 1-line block ×3, first 2 shown]
	v_add_u32_e32 v4, s22, v126
	v_add_f32_e32 v21, v5, v7
	v_ashrrev_i32_e32 v5, 31, v4
	v_lshlrev_b64 v[22:23], 3, v[4:5]
	ds_read2_b64 v[4:7], v123 offset0:7 offset1:8
	v_add_co_u32_e32 v24, vcc, s7, v22
	v_addc_co_u32_e32 v25, vcc, v25, v23, vcc
	s_waitcnt lgkmcnt(1)
	v_pk_add_f32 v[0:1], v[20:21], v[0:1]
	ds_read2_b64 v[20:23], v123 offset0:9 offset1:10
	v_pk_add_f32 v[0:1], v[0:1], v[2:3]
	s_waitcnt lgkmcnt(1)
	v_pk_add_f32 v[0:1], v[0:1], v[4:5]
	v_pk_add_f32 v[4:5], v[0:1], v[6:7]
	ds_read2_b64 v[0:3], v123 offset0:11 offset1:12
	s_waitcnt lgkmcnt(1)
	v_pk_add_f32 v[20:21], v[4:5], v[20:21]
	ds_read2_b64 v[4:7], v123 offset0:13 offset1:14
	v_pk_add_f32 v[20:21], v[20:21], v[22:23]
	ds_read_b64 v[22:23], v124
	s_waitcnt lgkmcnt(2)
	v_pk_add_f32 v[0:1], v[20:21], v[0:1]
	v_pk_add_f32 v[0:1], v[0:1], v[2:3]
	s_waitcnt lgkmcnt(1)
	v_pk_add_f32 v[0:1], v[0:1], v[4:5]
	v_pk_add_f32 v[0:1], v[0:1], v[6:7]
	s_waitcnt lgkmcnt(0)
	v_pk_add_f32 v[0:1], v[0:1], v[22:23]
	global_store_dwordx2 v[24:25], v[0:1], off
	s_branch .LBB114_90
.LBB114_146:
	s_movk_i32 s2, 0x218
	v_cmp_gt_i32_e32 vcc, s20, v65
	v_mad_u32_u24 v0, v120, s2, v32
	s_or_b64 s[2:3], s[18:19], vcc
	s_and_b64 s[0:1], s[0:1], s[2:3]
	ds_write_b64 v0, v[30:31]
	s_waitcnt lgkmcnt(0)
	s_barrier
	s_and_saveexec_b64 s[2:3], s[0:1]
	s_cbranch_execz .LBB114_148
; %bb.147:
	ds_read2_b64 v[0:3], v32 offset1:67
	ds_read2_b64 v[4:7], v32 offset0:134 offset1:201
	v_lshlrev_b64 v[8:9], 3, v[28:29]
	v_mov_b32_e32 v10, s21
	v_add_co_u32_e32 v8, vcc, s7, v8
	s_waitcnt lgkmcnt(1)
	v_pk_add_f32 v[0:1], v[2:3], v[0:1]
	s_waitcnt lgkmcnt(0)
	v_pk_add_f32 v[0:1], v[0:1], v[4:5]
	v_addc_co_u32_e32 v9, vcc, v10, v9, vcc
	v_pk_add_f32 v[0:1], v[0:1], v[6:7]
	global_store_dwordx2 v[8:9], v[0:1], off
.LBB114_148:
	s_endpgm
	.section	.rodata,"a",@progbits
	.p2align	6, 0x0
	.amdhsa_kernel _ZL26rocblas_hemvn_kernel_upperILb0ELi64ELi4ELi33ELi32ELi16ElPK19rocblas_complex_numIfES3_PS1_EviT6_lT7_lT5_lS6_lS7_lS5_lT8_i
		.amdhsa_group_segment_fixed_size 9600
		.amdhsa_private_segment_fixed_size 0
		.amdhsa_kernarg_size 376
		.amdhsa_user_sgpr_count 6
		.amdhsa_user_sgpr_private_segment_buffer 1
		.amdhsa_user_sgpr_dispatch_ptr 0
		.amdhsa_user_sgpr_queue_ptr 0
		.amdhsa_user_sgpr_kernarg_segment_ptr 1
		.amdhsa_user_sgpr_dispatch_id 0
		.amdhsa_user_sgpr_flat_scratch_init 0
		.amdhsa_user_sgpr_kernarg_preload_length 0
		.amdhsa_user_sgpr_kernarg_preload_offset 0
		.amdhsa_user_sgpr_private_segment_size 0
		.amdhsa_uses_dynamic_stack 0
		.amdhsa_system_sgpr_private_segment_wavefront_offset 0
		.amdhsa_system_sgpr_workgroup_id_x 1
		.amdhsa_system_sgpr_workgroup_id_y 0
		.amdhsa_system_sgpr_workgroup_id_z 1
		.amdhsa_system_sgpr_workgroup_info 0
		.amdhsa_system_vgpr_workitem_id 1
		.amdhsa_next_free_vgpr 150
		.amdhsa_next_free_sgpr 42
		.amdhsa_accum_offset 152
		.amdhsa_reserve_vcc 1
		.amdhsa_reserve_flat_scratch 0
		.amdhsa_float_round_mode_32 0
		.amdhsa_float_round_mode_16_64 0
		.amdhsa_float_denorm_mode_32 3
		.amdhsa_float_denorm_mode_16_64 3
		.amdhsa_dx10_clamp 1
		.amdhsa_ieee_mode 1
		.amdhsa_fp16_overflow 0
		.amdhsa_tg_split 0
		.amdhsa_exception_fp_ieee_invalid_op 0
		.amdhsa_exception_fp_denorm_src 0
		.amdhsa_exception_fp_ieee_div_zero 0
		.amdhsa_exception_fp_ieee_overflow 0
		.amdhsa_exception_fp_ieee_underflow 0
		.amdhsa_exception_fp_ieee_inexact 0
		.amdhsa_exception_int_div_zero 0
	.end_amdhsa_kernel
	.section	.text._ZL26rocblas_hemvn_kernel_upperILb0ELi64ELi4ELi33ELi32ELi16ElPK19rocblas_complex_numIfES3_PS1_EviT6_lT7_lT5_lS6_lS7_lS5_lT8_i,"axG",@progbits,_ZL26rocblas_hemvn_kernel_upperILb0ELi64ELi4ELi33ELi32ELi16ElPK19rocblas_complex_numIfES3_PS1_EviT6_lT7_lT5_lS6_lS7_lS5_lT8_i,comdat
.Lfunc_end114:
	.size	_ZL26rocblas_hemvn_kernel_upperILb0ELi64ELi4ELi33ELi32ELi16ElPK19rocblas_complex_numIfES3_PS1_EviT6_lT7_lT5_lS6_lS7_lS5_lT8_i, .Lfunc_end114-_ZL26rocblas_hemvn_kernel_upperILb0ELi64ELi4ELi33ELi32ELi16ElPK19rocblas_complex_numIfES3_PS1_EviT6_lT7_lT5_lS6_lS7_lS5_lT8_i
                                        ; -- End function
	.section	.AMDGPU.csdata,"",@progbits
; Kernel info:
; codeLenInByte = 8680
; NumSgprs: 46
; NumVgprs: 150
; NumAgprs: 0
; TotalNumVgprs: 150
; ScratchSize: 0
; MemoryBound: 1
; FloatMode: 240
; IeeeMode: 1
; LDSByteSize: 9600 bytes/workgroup (compile time only)
; SGPRBlocks: 5
; VGPRBlocks: 18
; NumSGPRsForWavesPerEU: 46
; NumVGPRsForWavesPerEU: 150
; AccumOffset: 152
; Occupancy: 3
; WaveLimiterHint : 0
; COMPUTE_PGM_RSRC2:SCRATCH_EN: 0
; COMPUTE_PGM_RSRC2:USER_SGPR: 6
; COMPUTE_PGM_RSRC2:TRAP_HANDLER: 0
; COMPUTE_PGM_RSRC2:TGID_X_EN: 1
; COMPUTE_PGM_RSRC2:TGID_Y_EN: 0
; COMPUTE_PGM_RSRC2:TGID_Z_EN: 1
; COMPUTE_PGM_RSRC2:TIDIG_COMP_CNT: 1
; COMPUTE_PGM_RSRC3_GFX90A:ACCUM_OFFSET: 37
; COMPUTE_PGM_RSRC3_GFX90A:TG_SPLIT: 0
	.section	.text._ZL26rocblas_hemvn_kernel_upperILb0ELi64ELi4ELi33ELi32ELi16EiPK19rocblas_complex_numIfES3_PS1_EviT6_lT7_lT5_lS6_lS7_lS5_lT8_i,"axG",@progbits,_ZL26rocblas_hemvn_kernel_upperILb0ELi64ELi4ELi33ELi32ELi16EiPK19rocblas_complex_numIfES3_PS1_EviT6_lT7_lT5_lS6_lS7_lS5_lT8_i,comdat
	.globl	_ZL26rocblas_hemvn_kernel_upperILb0ELi64ELi4ELi33ELi32ELi16EiPK19rocblas_complex_numIfES3_PS1_EviT6_lT7_lT5_lS6_lS7_lS5_lT8_i ; -- Begin function _ZL26rocblas_hemvn_kernel_upperILb0ELi64ELi4ELi33ELi32ELi16EiPK19rocblas_complex_numIfES3_PS1_EviT6_lT7_lT5_lS6_lS7_lS5_lT8_i
	.p2align	8
	.type	_ZL26rocblas_hemvn_kernel_upperILb0ELi64ELi4ELi33ELi32ELi16EiPK19rocblas_complex_numIfES3_PS1_EviT6_lT7_lT5_lS6_lS7_lS5_lT8_i,@function
_ZL26rocblas_hemvn_kernel_upperILb0ELi64ELi4ELi33ELi32ELi16EiPK19rocblas_complex_numIfES3_PS1_EviT6_lT7_lT5_lS6_lS7_lS5_lT8_i: ; @_ZL26rocblas_hemvn_kernel_upperILb0ELi64ELi4ELi33ELi32ELi16EiPK19rocblas_complex_numIfES3_PS1_EviT6_lT7_lT5_lS6_lS7_lS5_lT8_i
; %bb.0:
	s_load_dwordx2 s[2:3], s[4:5], 0x84
	s_add_u32 s0, s4, 0x78
	s_addc_u32 s1, s5, 0
	s_waitcnt lgkmcnt(0)
	s_lshr_b32 s8, s2, 16
	s_and_b32 s2, s2, 0xffff
	s_and_b32 s3, s3, 0xffff
	s_mul_i32 s2, s8, s2
	s_mul_i32 s2, s2, s3
	s_cmpk_lg_i32 s2, 0x100
	s_cbranch_scc1 .LBB115_148
; %bb.1:
	s_load_dwordx8 s[16:23], s[4:5], 0x8
	s_waitcnt lgkmcnt(0)
	s_mul_i32 s3, s7, s19
	s_mul_hi_u32 s8, s7, s18
	s_mul_i32 s2, s7, s18
	s_add_i32 s3, s8, s3
	s_lshl_b64 s[2:3], s[2:3], 3
	s_add_u32 s2, s16, s2
	s_addc_u32 s3, s17, s3
	s_load_dwordx2 s[8:9], s[2:3], 0x0
	s_load_dwordx8 s[12:19], s[4:5], 0x50
	s_waitcnt lgkmcnt(0)
	s_or_b32 s2, s8, s9
	s_bitset0_b32 s2, 31
	s_cmp_lg_u32 s2, 0
	s_cselect_b64 s[2:3], -1, 0
	s_mov_b64 s[8:9], -1
	s_and_b64 vcc, exec, s[2:3]
	s_cbranch_vccnz .LBB115_3
; %bb.2:
	s_mul_i32 s8, s7, s17
	s_mul_hi_u32 s9, s7, s16
	s_add_i32 s9, s9, s8
	s_mul_i32 s8, s7, s16
	s_lshl_b64 s[8:9], s[8:9], 3
	s_add_u32 s8, s14, s8
	s_addc_u32 s9, s15, s9
	s_load_dwordx2 s[8:9], s[8:9], 0x0
	s_waitcnt lgkmcnt(0)
	v_cmp_neq_f32_e64 s[10:11], s8, 1.0
	v_cmp_neq_f32_e64 s[8:9], s9, 0
	s_or_b64 s[8:9], s[10:11], s[8:9]
.LBB115_3:
	s_andn2_b64 vcc, exec, s[8:9]
	s_cbranch_vccnz .LBB115_148
; %bb.4:
	s_andn2_b64 vcc, exec, s[2:3]
	s_cbranch_vccnz .LBB115_148
; %bb.5:
	s_load_dword s33, s[0:1], 0x0
	s_load_dword s40, s[4:5], 0x0
	s_load_dwordx4 s[8:11], s[4:5], 0x30
	s_load_dwordx2 s[2:3], s[4:5], 0x40
	s_load_dword s39, s[4:5], 0x48
	s_mul_i32 s0, s7, s13
	s_mul_hi_u32 s1, s7, s12
	s_add_i32 s1, s1, s0
	s_mul_i32 s0, s7, s12
	s_lshl_b64 s[0:1], s[0:1], 3
	s_waitcnt lgkmcnt(0)
	s_add_u32 s10, s10, s0
	s_addc_u32 s11, s11, s1
	s_lshl_b64 s[0:1], s[2:3], 3
	s_add_u32 s0, s10, s0
	s_addc_u32 s1, s11, s1
	v_and_b32_e32 v30, 0x3ff, v0
	s_lshl_b32 s24, s6, 6
	s_ashr_i32 s41, s40, 31
	s_lshr_b32 s3, s41, 26
	v_add_u32_e32 v28, s24, v30
	v_bfe_u32 v71, v0, 10, 10
	s_add_i32 s3, s40, s3
	v_mul_lo_u32 v0, v28, s39
	s_andn2_b32 s3, s3, 63
	v_ashrrev_i32_e32 v1, 31, v0
	s_add_i32 s2, s33, -1
	s_sub_i32 s38, s40, s3
	v_lshlrev_b64 v[0:1], 3, v[0:1]
	s_cmp_eq_u32 s6, s2
	v_mov_b32_e32 v2, s1
	v_add_co_u32_e32 v12, vcc, s0, v0
	s_cselect_b32 s16, s38, 0
	v_addc_co_u32_e32 v13, vcc, v2, v1, vcc
	v_cmp_eq_u32_e64 s[0:1], 0, v71
	s_and_saveexec_b64 s[2:3], s[0:1]
	s_cbranch_execz .LBB115_10
; %bb.6:
	s_cmp_lg_u32 s16, 0
	s_cselect_b64 s[10:11], -1, 0
	v_cmp_le_i32_e32 vcc, s16, v30
	v_mov_b32_e32 v0, 0x2380
	s_and_b64 s[10:11], s[10:11], vcc
	v_lshl_add_u32 v0, v30, 3, v0
	s_and_saveexec_b64 s[12:13], s[10:11]
	s_xor_b64 s[10:11], exec, s[12:13]
	s_cbranch_execz .LBB115_8
; %bb.7:
	v_mov_b32_e32 v2, 0
	v_mov_b32_e32 v3, v2
	ds_write_b64 v0, v[2:3]
                                        ; implicit-def: $vgpr0
.LBB115_8:
	s_andn2_saveexec_b64 s[10:11], s[10:11]
	s_cbranch_execz .LBB115_10
; %bb.9:
	global_load_dwordx2 v[2:3], v[12:13], off
	s_waitcnt vmcnt(0)
	ds_write_b64 v0, v[2:3]
.LBB115_10:
	s_or_b64 exec, exec, s[2:3]
	s_mul_i32 s2, s7, s9
	s_mul_hi_u32 s3, s7, s8
	s_add_i32 s3, s3, s2
	s_mul_i32 s2, s7, s8
	s_lshl_b64 s[2:3], s[2:3], 3
	s_add_u32 s8, s20, s2
	s_addc_u32 s9, s21, s3
	s_lshl_b64 s[2:3], s[22:23], 3
	s_load_dword s22, s[4:5], 0x28
	s_add_u32 s8, s8, s2
	s_addc_u32 s9, s9, s3
	s_ashr_i32 s25, s24, 31
	v_lshl_add_u32 v22, v71, 6, v30
	s_lshl_b64 s[2:3], s[24:25], 3
	v_and_b32_e32 v0, 31, v30
	v_lshrrev_b32_e32 v1, 5, v22
	s_add_u32 s4, s8, s2
	s_addc_u32 s5, s9, s3
	s_waitcnt lgkmcnt(0)
	v_mad_u64_u32 v[2:3], s[2:3], v1, s22, v[0:1]
	s_mul_i32 s2, s24, s22
	s_ashr_i32 s3, s2, 31
	s_lshl_b64 s[2:3], s[2:3], 3
	s_add_u32 s2, s2, s4
	v_ashrrev_i32_e32 v3, 31, v2
	s_addc_u32 s3, s3, s5
	v_lshlrev_b64 v[14:15], 3, v[2:3]
	s_cmp_eq_u32 s16, 0
	v_mov_b32_e32 v3, s3
	v_add_co_u32_e32 v2, vcc, s2, v14
	s_cselect_b64 s[20:21], -1, 0
	s_cmp_lg_u32 s16, 0
	v_addc_co_u32_e32 v3, vcc, v3, v15, vcc
	s_cselect_b64 s[30:31], -1, 0
	s_and_b64 vcc, exec, s[30:31]
	v_cmp_gt_i32_e64 s[2:3], s16, v0
	v_lshlrev_b32_e32 v10, 3, v0
	s_cbranch_vccz .LBB115_26
; %bb.11:
	v_sub_co_u32_e32 v4, vcc, v2, v10
	s_ashr_i32 s17, s16, 31
	v_subbrev_co_u32_e32 v5, vcc, 0, v3, vcc
	s_lshl_b64 s[4:5], s[16:17], 3
	v_mov_b32_e32 v6, s5
	v_add_co_u32_e32 v4, vcc, s4, v4
	v_addc_co_u32_e32 v5, vcc, v5, v6, vcc
	v_add_co_u32_e32 v4, vcc, -8, v4
	v_addc_co_u32_e32 v5, vcc, -1, v5, vcc
	v_mov_b32_e32 v6, 0
	v_cndmask_b32_e64 v5, v5, v3, s[2:3]
	v_cndmask_b32_e64 v4, v4, v2, s[2:3]
	v_cmp_gt_i32_e32 vcc, s16, v1
	v_mov_b32_e32 v7, v6
	s_and_saveexec_b64 s[8:9], vcc
	s_cbranch_execz .LBB115_13
; %bb.12:
	global_load_dwordx2 v[6:7], v[4:5], off
.LBB115_13:
	s_or_b64 exec, exec, s[8:9]
	v_mul_u32_u24_e32 v8, 33, v1
	v_add_lshl_u32 v8, v8, v0, 3
	s_waitcnt vmcnt(0)
	ds_write_b64 v8, v[6:7]
	v_add_u32_e32 v6, 8, v1
	v_cmp_le_i32_e32 vcc, s16, v6
	s_and_saveexec_b64 s[8:9], vcc
	s_xor_b64 s[8:9], exec, s[8:9]
	s_cbranch_execz .LBB115_15
; %bb.14:
	v_mul_u32_u24_e32 v6, 33, v6
	v_add_lshl_u32 v9, v6, v0, 3
	v_mov_b32_e32 v6, 0
	v_mov_b32_e32 v7, v6
	ds_write_b64 v9, v[6:7]
.LBB115_15:
	s_andn2_saveexec_b64 s[8:9], s[8:9]
	s_cbranch_execz .LBB115_17
; %bb.16:
	s_lshl_b32 s10, s22, 3
	s_ashr_i32 s11, s10, 31
	s_lshl_b64 s[10:11], s[10:11], 3
	v_mov_b32_e32 v7, s11
	v_add_co_u32_e32 v6, vcc, s10, v4
	v_addc_co_u32_e32 v7, vcc, v5, v7, vcc
	global_load_dwordx2 v[6:7], v[6:7], off
	s_waitcnt vmcnt(0)
	ds_write_b64 v8, v[6:7] offset:2112
.LBB115_17:
	s_or_b64 exec, exec, s[8:9]
	v_add_u32_e32 v6, 16, v1
	v_cmp_le_i32_e32 vcc, s16, v6
	s_and_saveexec_b64 s[8:9], vcc
	s_xor_b64 s[8:9], exec, s[8:9]
	s_cbranch_execz .LBB115_19
; %bb.18:
	v_mov_b32_e32 v6, 0
	v_mov_b32_e32 v7, v6
	ds_write_b64 v8, v[6:7] offset:4224
.LBB115_19:
	s_andn2_saveexec_b64 s[8:9], s[8:9]
	s_cbranch_execz .LBB115_21
; %bb.20:
	s_lshl_b32 s10, s22, 4
	s_ashr_i32 s11, s10, 31
	s_lshl_b64 s[10:11], s[10:11], 3
	v_mov_b32_e32 v7, s11
	v_add_co_u32_e32 v6, vcc, s10, v4
	v_addc_co_u32_e32 v7, vcc, v5, v7, vcc
	global_load_dwordx2 v[6:7], v[6:7], off
	s_waitcnt vmcnt(0)
	ds_write_b64 v8, v[6:7] offset:4224
.LBB115_21:
	s_or_b64 exec, exec, s[8:9]
	v_add_u32_e32 v6, 24, v1
	v_cmp_le_i32_e32 vcc, s16, v6
	s_and_saveexec_b64 s[8:9], vcc
	s_xor_b64 s[8:9], exec, s[8:9]
	s_cbranch_execz .LBB115_23
; %bb.22:
	v_mov_b32_e32 v6, 0
	v_mov_b32_e32 v7, v6
	ds_write_b64 v8, v[6:7] offset:6336
                                        ; implicit-def: $vgpr8
.LBB115_23:
	s_andn2_saveexec_b64 s[8:9], s[8:9]
	s_cbranch_execz .LBB115_25
; %bb.24:
	s_mul_i32 s10, s22, 24
	s_ashr_i32 s11, s10, 31
	s_lshl_b64 s[10:11], s[10:11], 3
	v_mov_b32_e32 v7, s11
	v_add_co_u32_e32 v6, vcc, s10, v4
	v_addc_co_u32_e32 v7, vcc, v5, v7, vcc
	global_load_dwordx2 v[6:7], v[6:7], off
	s_waitcnt vmcnt(0)
	ds_write_b64 v8, v[6:7] offset:6336
.LBB115_25:
	s_or_b64 exec, exec, s[8:9]
	v_add_co_u32_e32 v4, vcc, v4, v10
	v_addc_co_u32_e32 v5, vcc, 0, v5, vcc
	v_mov_b32_e32 v6, s5
	v_subrev_co_u32_e32 v4, vcc, s4, v4
	v_subb_co_u32_e32 v5, vcc, v5, v6, vcc
	v_add_co_u32_e32 v4, vcc, 8, v4
	v_addc_co_u32_e32 v5, vcc, 0, v5, vcc
	v_cndmask_b32_e64 v5, v5, v3, s[2:3]
	v_cndmask_b32_e64 v4, v4, v2, s[2:3]
	v_mul_u32_u24_e32 v11, 33, v1
	s_branch .LBB115_28
.LBB115_26:
                                        ; implicit-def: $vgpr4_vgpr5
	v_mul_u32_u24_e32 v11, 33, v1
	s_cbranch_execz .LBB115_28
; %bb.27:
	s_lshl_b32 s2, s22, 3
	s_ashr_i32 s3, s2, 31
	s_lshl_b64 s[2:3], s[2:3], 3
	v_mov_b32_e32 v5, s3
	v_add_co_u32_e32 v4, vcc, s2, v2
	s_ashr_i32 s23, s22, 31
	v_addc_co_u32_e32 v5, vcc, v3, v5, vcc
	s_lshl_b64 s[2:3], s[22:23], 6
	global_load_dwordx2 v[6:7], v[2:3], off
	global_load_dwordx2 v[8:9], v[4:5], off
	v_mov_b32_e32 v18, s3
	v_add_co_u32_e32 v4, vcc, s2, v4
	v_addc_co_u32_e32 v5, vcc, v5, v18, vcc
	global_load_dwordx2 v[16:17], v[4:5], off
	v_add_co_u32_e32 v4, vcc, s2, v4
	v_addc_co_u32_e32 v5, vcc, v5, v18, vcc
	global_load_dwordx2 v[4:5], v[4:5], off
	v_add_lshl_u32 v18, v11, v0, 3
	s_waitcnt vmcnt(3)
	ds_write_b64 v18, v[6:7]
	s_waitcnt vmcnt(2)
	ds_write_b64 v18, v[8:9] offset:2112
	s_waitcnt vmcnt(1)
	ds_write_b64 v18, v[16:17] offset:4224
	;; [unrolled: 2-line block ×3, first 2 shown]
	v_pk_mov_b32 v[4:5], v[2:3], v[2:3] op_sel:[0,1]
.LBB115_28:
	v_lshlrev_b32_e32 v2, 2, v1
	v_mul_u32_u24_e32 v18, 33, v0
	v_cmp_gt_u32_e64 s[4:5], v2, v0
	v_add_lshl_u32 v16, v2, v18, 3
	s_waitcnt lgkmcnt(0)
	s_barrier
	s_and_saveexec_b64 s[2:3], s[4:5]
	s_cbranch_execz .LBB115_30
; %bb.29:
	v_mul_u32_u24_e32 v3, 0x84, v1
	v_add_lshl_u32 v3, v3, v0, 3
	ds_read_b64 v[6:7], v3
	s_waitcnt lgkmcnt(0)
	ds_write_b64 v16, v[6:7]
.LBB115_30:
	s_or_b64 exec, exec, s[2:3]
	v_cmp_ge_u32_e64 s[14:15], v2, v0
	s_and_saveexec_b64 s[2:3], s[14:15]
	s_cbranch_execz .LBB115_32
; %bb.31:
	v_or_b32_e32 v3, 1, v2
	v_mul_u32_u24_e32 v3, 33, v3
	v_add_lshl_u32 v3, v3, v0, 3
	ds_read_b64 v[6:7], v3
	s_waitcnt lgkmcnt(0)
	ds_write_b64 v16, v[6:7] offset:8
.LBB115_32:
	s_or_b64 exec, exec, s[2:3]
	v_or_b32_e32 v3, 2, v2
	v_cmp_gt_u32_e64 s[8:9], v3, v0
	s_and_saveexec_b64 s[2:3], s[8:9]
	s_cbranch_execz .LBB115_34
; %bb.33:
	v_mul_u32_u24_e32 v3, 33, v3
	v_add_lshl_u32 v3, v3, v0, 3
	ds_read_b64 v[6:7], v3
	s_waitcnt lgkmcnt(0)
	ds_write_b64 v16, v[6:7] offset:16
.LBB115_34:
	s_or_b64 exec, exec, s[2:3]
	v_or_b32_e32 v3, 3, v2
	v_cmp_gt_u32_e64 s[10:11], v3, v0
	v_mad_u32_u24 v3, v3, 33, v0
	v_lshlrev_b32_e32 v19, 3, v3
	s_and_saveexec_b64 s[2:3], s[10:11]
	s_cbranch_execz .LBB115_36
; %bb.35:
	ds_read_b64 v[6:7], v19
	s_waitcnt lgkmcnt(0)
	ds_write_b64 v16, v[6:7] offset:24
.LBB115_36:
	s_or_b64 exec, exec, s[2:3]
	v_mul_u32_u24_e32 v3, 0x84, v1
	v_add_lshl_u32 v20, v3, v0, 3
	s_waitcnt lgkmcnt(0)
	s_barrier
	v_lshlrev_b32_e32 v17, 3, v2
	v_add_u32_e32 v21, 0xfffffdf0, v19
	ds_read_b64 v[2:3], v20
	ds_read_b128 v[6:9], v17 offset:9088
	ds_read2_b64 v[24:27], v21 offset1:33
	ds_read_b64 v[36:37], v19
	ds_read_b128 v[32:35], v17 offset:9104
	s_mov_b32 s12, 0
	s_mov_b32 s13, s12
	s_waitcnt lgkmcnt(3)
	v_pk_mul_f32 v[38:39], v[6:7], v[2:3] op_sel:[0,1]
	v_pk_fma_f32 v[40:41], v[6:7], v[2:3], v[38:39] op_sel:[0,0,1] op_sel_hi:[1,1,0] neg_lo:[0,0,1] neg_hi:[0,0,1]
	v_pk_fma_f32 v[2:3], v[6:7], v[2:3], v[38:39] op_sel:[0,0,1] op_sel_hi:[1,0,0]
	s_waitcnt lgkmcnt(2)
	v_pk_mul_f32 v[6:7], v[8:9], v[24:25] op_sel:[0,1]
	v_pk_fma_f32 v[38:39], v[8:9], v[24:25], v[6:7] op_sel:[0,0,1] op_sel_hi:[1,1,0] neg_lo:[0,0,1] neg_hi:[0,0,1]
	v_pk_fma_f32 v[6:7], v[8:9], v[24:25], v[6:7] op_sel:[0,0,1] op_sel_hi:[1,0,0]
	v_mov_b32_e32 v41, v3
	v_mov_b32_e32 v39, v7
	s_waitcnt lgkmcnt(0)
	v_pk_mul_f32 v[6:7], v[32:33], v[26:27] op_sel:[0,1]
	v_pk_add_f32 v[2:3], v[40:41], 0 op_sel_hi:[1,0]
	v_pk_fma_f32 v[8:9], v[32:33], v[26:27], v[6:7] op_sel:[0,0,1] op_sel_hi:[1,1,0] neg_lo:[0,0,1] neg_hi:[0,0,1]
	v_pk_fma_f32 v[6:7], v[32:33], v[26:27], v[6:7] op_sel:[0,0,1] op_sel_hi:[1,0,0]
	v_pk_add_f32 v[2:3], v[2:3], v[38:39]
	v_mov_b32_e32 v9, v7
	v_pk_mul_f32 v[6:7], v[34:35], v[36:37] op_sel:[0,1]
	v_pk_add_f32 v[2:3], v[2:3], v[8:9]
	v_pk_fma_f32 v[8:9], v[34:35], v[36:37], v[6:7] op_sel:[0,0,1] op_sel_hi:[1,1,0] neg_lo:[0,0,1] neg_hi:[0,0,1]
	v_pk_fma_f32 v[6:7], v[34:35], v[36:37], v[6:7] op_sel:[0,0,1] op_sel_hi:[1,0,0]
	v_mov_b32_e32 v9, v7
	v_add_lshl_u32 v23, v1, v18, 3
	v_pk_add_f32 v[2:3], v[2:3], v[8:9]
	v_cmp_gt_u32_e64 s[2:3], 32, v22
	v_pk_mov_b32 v[32:33], s[12:13], s[12:13] op_sel:[0,1]
	v_lshlrev_b32_e32 v24, 3, v18
	s_barrier
	ds_write_b64 v23, v[2:3]
	s_waitcnt lgkmcnt(0)
	s_barrier
	s_and_saveexec_b64 s[12:13], s[2:3]
	s_cbranch_execz .LBB115_38
; %bb.37:
	ds_read2_b64 v[6:9], v24 offset1:7
	ds_read2_b64 v[32:35], v24 offset0:1 offset1:2
	ds_read2_b64 v[36:39], v24 offset0:3 offset1:4
	s_waitcnt lgkmcnt(1)
	v_add_f32_e32 v2, v32, v6
	v_add_f32_e32 v3, v33, v7
	;; [unrolled: 1-line block ×4, first 2 shown]
	ds_read2_b64 v[32:35], v24 offset0:5 offset1:6
	s_waitcnt lgkmcnt(1)
	v_add_f32_e32 v2, v2, v36
	v_add_f32_e32 v3, v3, v37
	v_add_f32_e32 v2, v2, v38
	v_add_f32_e32 v3, v3, v39
	s_waitcnt lgkmcnt(0)
	v_add_f32_e32 v2, v2, v32
	v_add_f32_e32 v3, v3, v33
	;; [unrolled: 1-line block ×4, first 2 shown]
	v_pk_add_f32 v[32:33], v[2:3], v[8:9]
.LBB115_38:
	s_or_b64 exec, exec, s[12:13]
	s_lshl_b32 s26, s22, 5
	s_ashr_i32 s27, s26, 31
	s_lshl_b64 s[28:29], s[26:27], 3
	v_mov_b32_e32 v2, s29
	v_add_co_u32_e32 v6, vcc, s28, v4
	v_addc_co_u32_e32 v7, vcc, v5, v2, vcc
	v_add_co_u32_e32 v4, vcc, 0x100, v6
	v_addc_co_u32_e32 v5, vcc, 0, v7, vcc
	s_and_b64 vcc, exec, s[30:31]
	s_barrier
	s_cbranch_vccz .LBB115_54
; %bb.39:
	v_sub_co_u32_e32 v3, vcc, v4, v10
	s_ashr_i32 s17, s16, 31
	v_subbrev_co_u32_e32 v8, vcc, 0, v5, vcc
	s_lshl_b64 s[34:35], s[16:17], 3
	v_mov_b32_e32 v9, s35
	v_add_co_u32_e32 v3, vcc, s34, v3
	v_addc_co_u32_e32 v8, vcc, v8, v9, vcc
	v_or_b32_e32 v2, 32, v0
	v_add_co_u32_e32 v9, vcc, 0xfffffef8, v3
	v_addc_co_u32_e32 v3, vcc, -1, v8, vcc
	v_cmp_gt_i32_e64 s[12:13], s16, v2
	s_sub_i32 s17, s16, 32
	v_mov_b32_e32 v8, 0
	v_cndmask_b32_e64 v3, v3, v5, s[12:13]
	v_cndmask_b32_e64 v2, v9, v4, s[12:13]
	v_cmp_gt_i32_e32 vcc, s17, v1
	v_mov_b32_e32 v9, v8
	s_and_saveexec_b64 s[36:37], vcc
	s_cbranch_execz .LBB115_41
; %bb.40:
	global_load_dwordx2 v[8:9], v[2:3], off
.LBB115_41:
	s_or_b64 exec, exec, s[36:37]
	v_add_lshl_u32 v25, v11, v0, 3
	s_waitcnt vmcnt(0)
	ds_write_b64 v25, v[8:9]
	v_add_u32_e32 v8, 8, v1
	v_cmp_le_i32_e32 vcc, s17, v8
	s_and_saveexec_b64 s[36:37], vcc
	s_xor_b64 s[36:37], exec, s[36:37]
	s_cbranch_execz .LBB115_43
; %bb.42:
	v_mul_u32_u24_e32 v8, 33, v8
	v_add_lshl_u32 v26, v8, v0, 3
	v_mov_b32_e32 v8, 0
	v_mov_b32_e32 v9, v8
	ds_write_b64 v26, v[8:9]
.LBB115_43:
	s_andn2_saveexec_b64 s[36:37], s[36:37]
	s_cbranch_execz .LBB115_45
; %bb.44:
	s_lshl_b32 s42, s22, 3
	s_ashr_i32 s43, s42, 31
	s_lshl_b64 s[42:43], s[42:43], 3
	v_mov_b32_e32 v9, s43
	v_add_co_u32_e32 v8, vcc, s42, v2
	v_addc_co_u32_e32 v9, vcc, v3, v9, vcc
	global_load_dwordx2 v[8:9], v[8:9], off
	s_waitcnt vmcnt(0)
	ds_write_b64 v25, v[8:9] offset:2112
.LBB115_45:
	s_or_b64 exec, exec, s[36:37]
	v_add_u32_e32 v8, 16, v1
	v_cmp_le_i32_e32 vcc, s17, v8
	s_and_saveexec_b64 s[36:37], vcc
	s_xor_b64 s[36:37], exec, s[36:37]
	s_cbranch_execz .LBB115_47
; %bb.46:
	v_mul_u32_u24_e32 v8, 33, v8
	v_add_lshl_u32 v26, v8, v0, 3
	v_mov_b32_e32 v8, 0
	v_mov_b32_e32 v9, v8
	ds_write_b64 v26, v[8:9]
.LBB115_47:
	s_andn2_saveexec_b64 s[36:37], s[36:37]
	s_cbranch_execz .LBB115_49
; %bb.48:
	s_lshl_b32 s42, s22, 4
	s_ashr_i32 s43, s42, 31
	s_lshl_b64 s[42:43], s[42:43], 3
	v_mov_b32_e32 v9, s43
	v_add_co_u32_e32 v8, vcc, s42, v2
	v_addc_co_u32_e32 v9, vcc, v3, v9, vcc
	global_load_dwordx2 v[8:9], v[8:9], off
	s_waitcnt vmcnt(0)
	ds_write_b64 v25, v[8:9] offset:4224
.LBB115_49:
	s_or_b64 exec, exec, s[36:37]
	v_add_u32_e32 v8, 24, v1
	v_cmp_le_i32_e32 vcc, s17, v8
	s_and_saveexec_b64 s[36:37], vcc
	s_xor_b64 s[36:37], exec, s[36:37]
	s_cbranch_execz .LBB115_51
; %bb.50:
	v_mov_b32_e32 v8, 0
	v_mov_b32_e32 v9, v8
	ds_write_b64 v25, v[8:9] offset:6336
                                        ; implicit-def: $vgpr25
.LBB115_51:
	s_andn2_saveexec_b64 s[36:37], s[36:37]
	s_cbranch_execz .LBB115_53
; %bb.52:
	s_mul_i32 s42, s22, 24
	s_ashr_i32 s43, s42, 31
	s_lshl_b64 s[42:43], s[42:43], 3
	v_mov_b32_e32 v9, s43
	v_add_co_u32_e32 v8, vcc, s42, v2
	v_addc_co_u32_e32 v9, vcc, v3, v9, vcc
	global_load_dwordx2 v[8:9], v[8:9], off
	s_waitcnt vmcnt(0)
	ds_write_b64 v25, v[8:9] offset:6336
.LBB115_53:
	s_or_b64 exec, exec, s[36:37]
	v_add_co_u32_e32 v2, vcc, v2, v10
	v_addc_co_u32_e32 v3, vcc, 0, v3, vcc
	v_mov_b32_e32 v8, s35
	v_subrev_co_u32_e32 v2, vcc, s34, v2
	v_subb_co_u32_e32 v3, vcc, v3, v8, vcc
	v_add_co_u32_e32 v2, vcc, 0x108, v2
	v_addc_co_u32_e32 v3, vcc, 0, v3, vcc
	v_cndmask_b32_e64 v3, v3, v5, s[12:13]
	v_cndmask_b32_e64 v2, v2, v4, s[12:13]
	s_branch .LBB115_56
.LBB115_54:
                                        ; implicit-def: $vgpr2_vgpr3
	s_cbranch_execz .LBB115_56
; %bb.55:
	s_lshl_b32 s12, s22, 3
	s_ashr_i32 s13, s12, 31
	s_lshl_b64 s[12:13], s[12:13], 3
	v_mov_b32_e32 v3, s13
	v_add_co_u32_e32 v2, vcc, s12, v6
	s_ashr_i32 s23, s22, 31
	v_addc_co_u32_e32 v3, vcc, v7, v3, vcc
	s_lshl_b64 s[12:13], s[22:23], 6
	v_mov_b32_e32 v25, s13
	v_add_co_u32_e32 v8, vcc, s12, v2
	v_addc_co_u32_e32 v9, vcc, v3, v25, vcc
	v_add_co_u32_e32 v26, vcc, s12, v8
	v_addc_co_u32_e32 v27, vcc, v9, v25, vcc
	global_load_dwordx2 v[34:35], v[6:7], off offset:256
	global_load_dwordx2 v[36:37], v[2:3], off offset:256
	;; [unrolled: 1-line block ×4, first 2 shown]
	v_add_lshl_u32 v2, v11, v0, 3
	s_waitcnt vmcnt(3)
	ds_write_b64 v2, v[34:35]
	s_waitcnt vmcnt(2)
	ds_write_b64 v2, v[36:37] offset:2112
	s_waitcnt vmcnt(1)
	ds_write_b64 v2, v[38:39] offset:4224
	;; [unrolled: 2-line block ×3, first 2 shown]
	v_pk_mov_b32 v[2:3], v[4:5], v[4:5] op_sel:[0,1]
.LBB115_56:
	s_waitcnt lgkmcnt(0)
	s_barrier
	s_and_saveexec_b64 s[12:13], s[4:5]
	s_cbranch_execnz .LBB115_79
; %bb.57:
	s_or_b64 exec, exec, s[12:13]
	s_and_saveexec_b64 s[4:5], s[14:15]
	s_cbranch_execnz .LBB115_80
.LBB115_58:
	s_or_b64 exec, exec, s[4:5]
	s_and_saveexec_b64 s[4:5], s[8:9]
	s_cbranch_execnz .LBB115_81
.LBB115_59:
	s_or_b64 exec, exec, s[4:5]
	v_add_u32_e32 v25, 0x2380, v17
	s_and_saveexec_b64 s[4:5], s[10:11]
	s_cbranch_execz .LBB115_61
.LBB115_60:
	ds_read_b64 v[4:5], v19
	s_waitcnt lgkmcnt(0)
	ds_write_b64 v16, v[4:5] offset:24
.LBB115_61:
	s_or_b64 exec, exec, s[4:5]
	s_waitcnt lgkmcnt(0)
	s_barrier
	ds_read_b64 v[8:9], v20
	ds_read_b128 v[4:7], v25 offset:256
	ds_read2_b64 v[34:37], v21 offset1:33
	ds_read_b64 v[16:17], v19
	ds_read_b128 v[38:41], v25 offset:272
	v_cmp_eq_u32_e64 s[4:5], 1, v1
	s_waitcnt lgkmcnt(3)
	v_pk_mul_f32 v[26:27], v[4:5], v[8:9] op_sel:[0,1]
	v_pk_fma_f32 v[42:43], v[4:5], v[8:9], v[26:27] op_sel:[0,0,1] op_sel_hi:[1,1,0] neg_lo:[0,0,1] neg_hi:[0,0,1]
	v_pk_fma_f32 v[4:5], v[4:5], v[8:9], v[26:27] op_sel:[0,0,1] op_sel_hi:[1,0,0]
	s_waitcnt lgkmcnt(2)
	v_pk_mul_f32 v[8:9], v[6:7], v[34:35] op_sel:[0,1]
	v_pk_fma_f32 v[26:27], v[6:7], v[34:35], v[8:9] op_sel:[0,0,1] op_sel_hi:[1,1,0] neg_lo:[0,0,1] neg_hi:[0,0,1]
	v_pk_fma_f32 v[6:7], v[6:7], v[34:35], v[8:9] op_sel:[0,0,1] op_sel_hi:[1,0,0]
	v_mov_b32_e32 v43, v5
	v_mov_b32_e32 v27, v7
	s_waitcnt lgkmcnt(0)
	v_pk_mul_f32 v[6:7], v[38:39], v[36:37] op_sel:[0,1]
	v_pk_add_f32 v[4:5], v[42:43], 0 op_sel_hi:[1,0]
	v_pk_fma_f32 v[8:9], v[38:39], v[36:37], v[6:7] op_sel:[0,0,1] op_sel_hi:[1,1,0] neg_lo:[0,0,1] neg_hi:[0,0,1]
	v_pk_fma_f32 v[6:7], v[38:39], v[36:37], v[6:7] op_sel:[0,0,1] op_sel_hi:[1,0,0]
	v_pk_add_f32 v[4:5], v[4:5], v[26:27]
	v_mov_b32_e32 v9, v7
	v_pk_mul_f32 v[6:7], v[40:41], v[16:17] op_sel:[0,1]
	v_pk_add_f32 v[4:5], v[4:5], v[8:9]
	v_pk_fma_f32 v[8:9], v[40:41], v[16:17], v[6:7] op_sel:[0,0,1] op_sel_hi:[1,1,0] neg_lo:[0,0,1] neg_hi:[0,0,1]
	v_pk_fma_f32 v[6:7], v[40:41], v[16:17], v[6:7] op_sel:[0,0,1] op_sel_hi:[1,0,0]
	v_mov_b32_e32 v9, v7
	v_pk_add_f32 v[4:5], v[4:5], v[8:9]
	s_barrier
	ds_write_b64 v23, v[4:5]
	s_waitcnt lgkmcnt(0)
	s_barrier
	s_and_saveexec_b64 s[8:9], s[4:5]
	s_cbranch_execz .LBB115_63
; %bb.62:
	ds_read2_b64 v[4:7], v24 offset1:7
	ds_read2_b64 v[32:35], v24 offset0:1 offset1:2
	ds_read2_b64 v[36:39], v24 offset0:3 offset1:4
	s_waitcnt lgkmcnt(1)
	v_add_f32_e32 v4, v32, v4
	v_add_f32_e32 v5, v33, v5
	;; [unrolled: 1-line block ×4, first 2 shown]
	ds_read2_b64 v[32:35], v24 offset0:5 offset1:6
	s_waitcnt lgkmcnt(1)
	v_add_f32_e32 v4, v4, v36
	v_add_f32_e32 v5, v5, v37
	;; [unrolled: 1-line block ×4, first 2 shown]
	s_waitcnt lgkmcnt(0)
	v_add_f32_e32 v4, v4, v32
	v_add_f32_e32 v5, v5, v33
	v_pk_add_f32 v[4:5], v[4:5], v[34:35]
	v_pk_add_f32 v[32:33], v[4:5], v[6:7]
.LBB115_63:
	s_or_b64 exec, exec, s[8:9]
	v_add_co_u32_e32 v4, vcc, 0xffffff00, v2
	v_addc_co_u32_e32 v5, vcc, -1, v3, vcc
	s_and_b64 vcc, exec, s[30:31]
	s_barrier
	s_cbranch_vccz .LBB115_82
; %bb.64:
	v_sub_co_u32_e32 v6, vcc, v2, v10
	s_ashr_i32 s17, s16, 31
	v_subbrev_co_u32_e32 v7, vcc, 0, v3, vcc
	s_lshl_b64 s[10:11], s[16:17], 3
	v_mov_b32_e32 v8, s11
	v_add_co_u32_e32 v6, vcc, s10, v6
	v_addc_co_u32_e32 v7, vcc, v7, v8, vcc
	v_add_co_u32_e32 v6, vcc, 0xfffffef8, v6
	v_addc_co_u32_e32 v7, vcc, -1, v7, vcc
	v_cmp_gt_i32_e32 vcc, s16, v0
	s_sub_i32 s14, s16, 32
	v_mov_b32_e32 v8, 0
	v_cndmask_b32_e32 v7, v7, v5, vcc
	v_cndmask_b32_e32 v6, v6, v4, vcc
	v_cmp_gt_i32_e64 s[8:9], s14, v1
	v_mov_b32_e32 v9, v8
	s_and_saveexec_b64 s[12:13], s[8:9]
	s_cbranch_execz .LBB115_66
; %bb.65:
	global_load_dwordx2 v[8:9], v[6:7], off
.LBB115_66:
	s_or_b64 exec, exec, s[12:13]
	v_add_lshl_u32 v16, v11, v0, 3
	s_waitcnt vmcnt(0)
	ds_write_b64 v16, v[8:9]
	v_add_u32_e32 v8, 8, v1
	v_cmp_le_i32_e64 s[8:9], s14, v8
	s_and_saveexec_b64 s[12:13], s[8:9]
	s_xor_b64 s[8:9], exec, s[12:13]
	s_cbranch_execz .LBB115_68
; %bb.67:
	v_mul_u32_u24_e32 v9, 33, v8
	v_mov_b32_e32 v26, 0
	v_add_lshl_u32 v9, v9, v0, 3
	v_mov_b32_e32 v27, v26
	ds_write_b64 v9, v[26:27]
.LBB115_68:
	s_andn2_saveexec_b64 s[12:13], s[8:9]
	s_cbranch_execz .LBB115_70
; %bb.69:
	s_lshl_b32 s8, s22, 3
	s_ashr_i32 s9, s8, 31
	s_lshl_b64 s[8:9], s[8:9], 3
	v_mov_b32_e32 v9, s9
	v_add_co_u32_e64 v26, s[8:9], s8, v6
	v_addc_co_u32_e64 v27, s[8:9], v7, v9, s[8:9]
	global_load_dwordx2 v[26:27], v[26:27], off
	s_waitcnt vmcnt(0)
	ds_write_b64 v16, v[26:27] offset:2112
.LBB115_70:
	s_or_b64 exec, exec, s[12:13]
	v_add_u32_e32 v9, 16, v1
	v_cmp_le_i32_e64 s[8:9], s14, v9
	s_and_saveexec_b64 s[12:13], s[8:9]
	s_xor_b64 s[8:9], exec, s[12:13]
	s_cbranch_execz .LBB115_72
; %bb.71:
	v_mov_b32_e32 v26, 0
	v_mov_b32_e32 v27, v26
	ds_write_b64 v16, v[26:27] offset:4224
.LBB115_72:
	s_andn2_saveexec_b64 s[12:13], s[8:9]
	s_cbranch_execz .LBB115_74
; %bb.73:
	s_lshl_b32 s8, s22, 4
	s_ashr_i32 s9, s8, 31
	s_lshl_b64 s[8:9], s[8:9], 3
	v_mov_b32_e32 v17, s9
	v_add_co_u32_e64 v26, s[8:9], s8, v6
	v_addc_co_u32_e64 v27, s[8:9], v7, v17, s[8:9]
	global_load_dwordx2 v[26:27], v[26:27], off
	s_waitcnt vmcnt(0)
	ds_write_b64 v16, v[26:27] offset:4224
.LBB115_74:
	s_or_b64 exec, exec, s[12:13]
	v_add_u32_e32 v26, 24, v1
	v_cmp_le_i32_e64 s[8:9], s14, v26
	s_and_saveexec_b64 s[12:13], s[8:9]
	s_xor_b64 s[8:9], exec, s[12:13]
	s_cbranch_execz .LBB115_76
; %bb.75:
	v_mov_b32_e32 v34, 0
	v_mov_b32_e32 v35, v34
	ds_write_b64 v16, v[34:35] offset:6336
                                        ; implicit-def: $vgpr16
.LBB115_76:
	s_andn2_saveexec_b64 s[12:13], s[8:9]
	s_cbranch_execz .LBB115_78
; %bb.77:
	s_mul_i32 s8, s22, 24
	s_ashr_i32 s9, s8, 31
	s_lshl_b64 s[8:9], s[8:9], 3
	v_mov_b32_e32 v17, s9
	v_add_co_u32_e64 v34, s[8:9], s8, v6
	v_addc_co_u32_e64 v35, s[8:9], v7, v17, s[8:9]
	global_load_dwordx2 v[34:35], v[34:35], off
	s_waitcnt vmcnt(0)
	ds_write_b64 v16, v[34:35] offset:6336
.LBB115_78:
	s_or_b64 exec, exec, s[12:13]
	v_add_co_u32_e64 v6, s[8:9], v6, v10
	v_addc_co_u32_e64 v7, s[8:9], 0, v7, s[8:9]
	v_mov_b32_e32 v10, s11
	v_subrev_co_u32_e64 v6, s[8:9], s10, v6
	v_subb_co_u32_e64 v7, s[8:9], v7, v10, s[8:9]
	v_add_co_u32_e64 v6, s[8:9], 8, v6
	v_addc_co_u32_e64 v7, s[8:9], 0, v7, s[8:9]
	v_cndmask_b32_e32 v17, v7, v5, vcc
	v_cndmask_b32_e32 v16, v6, v4, vcc
	s_branch .LBB115_84
.LBB115_79:
	ds_read_b64 v[4:5], v20
	s_waitcnt lgkmcnt(0)
	ds_write_b64 v16, v[4:5]
	s_or_b64 exec, exec, s[12:13]
	s_and_saveexec_b64 s[4:5], s[14:15]
	s_cbranch_execz .LBB115_58
.LBB115_80:
	ds_read_b64 v[4:5], v21
	s_waitcnt lgkmcnt(0)
	ds_write_b64 v16, v[4:5] offset:8
	s_or_b64 exec, exec, s[4:5]
	s_and_saveexec_b64 s[4:5], s[8:9]
	s_cbranch_execz .LBB115_59
.LBB115_81:
	ds_read_b64 v[4:5], v21 offset:264
	s_waitcnt lgkmcnt(0)
	ds_write_b64 v16, v[4:5] offset:16
	s_or_b64 exec, exec, s[4:5]
	v_add_u32_e32 v25, 0x2380, v17
	s_and_saveexec_b64 s[4:5], s[10:11]
	s_cbranch_execnz .LBB115_60
	s_branch .LBB115_61
.LBB115_82:
                                        ; implicit-def: $vgpr16_vgpr17
                                        ; implicit-def: $vgpr8
                                        ; implicit-def: $vgpr9
                                        ; implicit-def: $vgpr26
	s_cbranch_execz .LBB115_84
; %bb.83:
	s_lshl_b32 s8, s22, 3
	s_ashr_i32 s9, s8, 31
	s_lshl_b64 s[8:9], s[8:9], 3
	global_load_dwordx2 v[6:7], v[2:3], off offset:-256
	v_mov_b32_e32 v8, s9
	v_add_co_u32_e32 v2, vcc, s8, v2
	s_ashr_i32 s23, s22, 31
	v_addc_co_u32_e32 v3, vcc, v3, v8, vcc
	s_lshl_b64 s[8:9], s[22:23], 6
	v_mov_b32_e32 v10, s9
	v_add_co_u32_e32 v8, vcc, s8, v2
	v_addc_co_u32_e32 v9, vcc, v3, v10, vcc
	global_load_dwordx2 v[16:17], v[2:3], off offset:-256
	global_load_dwordx2 v[34:35], v[8:9], off offset:-256
	v_add_co_u32_e32 v2, vcc, s8, v8
	v_addc_co_u32_e32 v3, vcc, v9, v10, vcc
	global_load_dwordx2 v[2:3], v[2:3], off offset:-256
	v_add_lshl_u32 v0, v11, v0, 3
	v_add_u32_e32 v8, 8, v1
	v_add_u32_e32 v9, 16, v1
	v_add_u32_e32 v26, 24, v1
	s_waitcnt vmcnt(3)
	ds_write_b64 v0, v[6:7]
	s_waitcnt vmcnt(2)
	ds_write_b64 v0, v[16:17] offset:2112
	s_waitcnt vmcnt(1)
	ds_write_b64 v0, v[34:35] offset:4224
	;; [unrolled: 2-line block ×3, first 2 shown]
	v_pk_mov_b32 v[16:17], v[4:5], v[4:5] op_sel:[0,1]
.LBB115_84:
	v_lshlrev_b32_e32 v36, 3, v8
	v_add_lshl_u32 v34, v9, v18, 3
	v_lshlrev_b32_e32 v46, 3, v9
	v_add_lshl_u32 v44, v26, v18, 3
	v_lshlrev_b32_e32 v42, 3, v26
	s_waitcnt lgkmcnt(0)
	s_barrier
	v_lshlrev_b32_e32 v29, 3, v1
	v_add_lshl_u32 v31, v8, v18, 3
	ds_read2_b64 v[4:7], v21 offset1:33
	ds_read_b64 v[20:21], v20
	ds_read_b128 v[8:11], v25 offset:256
	ds_read_b64 v[26:27], v23
	ds_read_b128 v[0:3], v25 offset:272
	ds_read_b64 v[34:35], v34
	ds_read_b64 v[36:37], v36 offset:9088
	ds_read_b64 v[38:39], v31
	ds_read_b64 v[40:41], v29 offset:9088
	;; [unrolled: 2-line block ×4, first 2 shown]
	s_waitcnt lgkmcnt(4)
	v_pk_mul_f32 v[48:49], v[40:41], v[26:27] op_sel:[0,1]
	v_pk_fma_f32 v[50:51], v[40:41], v[26:27], v[48:49] op_sel:[0,0,1] op_sel_hi:[1,1,0] neg_lo:[0,0,1] neg_hi:[0,0,1]
	v_pk_fma_f32 v[26:27], v[40:41], v[26:27], v[48:49] op_sel:[0,0,1] op_sel_hi:[1,0,0]
	v_pk_mul_f32 v[40:41], v[36:37], v[38:39] op_sel:[0,1]
	v_pk_fma_f32 v[48:49], v[36:37], v[38:39], v[40:41] op_sel:[0,0,1] op_sel_hi:[1,1,0] neg_lo:[0,0,1] neg_hi:[0,0,1]
	v_pk_fma_f32 v[36:37], v[36:37], v[38:39], v[40:41] op_sel:[0,0,1] op_sel_hi:[1,0,0]
	v_mov_b32_e32 v49, v37
	s_waitcnt lgkmcnt(0)
	v_pk_mul_f32 v[36:37], v[46:47], v[34:35] op_sel:[0,1]
	v_mov_b32_e32 v51, v27
	v_pk_fma_f32 v[38:39], v[46:47], v[34:35], v[36:37] op_sel:[0,0,1] op_sel_hi:[1,1,0] neg_lo:[0,0,1] neg_hi:[0,0,1]
	v_pk_fma_f32 v[34:35], v[46:47], v[34:35], v[36:37] op_sel:[0,0,1] op_sel_hi:[1,0,0]
	v_pk_add_f32 v[26:27], v[50:51], 0 op_sel_hi:[1,0]
	v_mov_b32_e32 v39, v35
	v_pk_mul_f32 v[34:35], v[42:43], v[44:45] op_sel:[0,1]
	v_pk_add_f32 v[26:27], v[26:27], v[48:49]
	v_pk_fma_f32 v[36:37], v[42:43], v[44:45], v[34:35] op_sel:[0,0,1] op_sel_hi:[1,1,0] neg_lo:[0,0,1] neg_hi:[0,0,1]
	v_pk_fma_f32 v[34:35], v[42:43], v[44:45], v[34:35] op_sel:[0,0,1] op_sel_hi:[1,0,0]
	v_pk_add_f32 v[26:27], v[26:27], v[38:39]
	v_mov_b32_e32 v37, v35
	v_pk_add_f32 v[26:27], v[26:27], v[36:37]
	s_barrier
	ds_write_b64 v23, v[26:27]
	s_waitcnt lgkmcnt(0)
	s_barrier
	s_and_saveexec_b64 s[8:9], s[4:5]
	s_cbranch_execz .LBB115_86
; %bb.85:
	ds_read2_b64 v[34:37], v24 offset1:1
	ds_read2_b64 v[38:41], v24 offset0:2 offset1:3
	ds_read2_b64 v[42:45], v24 offset0:6 offset1:7
	s_waitcnt lgkmcnt(2)
	v_pk_add_f32 v[26:27], v[32:33], v[34:35]
	ds_read2_b64 v[32:35], v24 offset0:4 offset1:5
	v_pk_add_f32 v[26:27], v[26:27], v[36:37]
	s_waitcnt lgkmcnt(2)
	v_pk_add_f32 v[26:27], v[26:27], v[38:39]
	v_pk_add_f32 v[26:27], v[26:27], v[40:41]
	s_waitcnt lgkmcnt(0)
	v_pk_add_f32 v[26:27], v[26:27], v[32:33]
	v_pk_add_f32 v[26:27], v[26:27], v[34:35]
	;; [unrolled: 1-line block ×4, first 2 shown]
.LBB115_86:
	s_or_b64 exec, exec, s[8:9]
	v_pk_mul_f32 v[26:27], v[8:9], v[20:21] op_sel:[0,1]
	v_pk_fma_f32 v[34:35], v[8:9], v[20:21], v[26:27] op_sel:[0,0,1] op_sel_hi:[1,1,0] neg_lo:[0,0,1] neg_hi:[0,0,1]
	v_pk_fma_f32 v[8:9], v[8:9], v[20:21], v[26:27] op_sel:[0,0,1] op_sel_hi:[1,0,0]
	v_pk_mul_f32 v[20:21], v[10:11], v[4:5] op_sel:[0,1]
	v_mov_b32_e32 v35, v9
	v_pk_fma_f32 v[26:27], v[10:11], v[4:5], v[20:21] op_sel:[0,0,1] op_sel_hi:[1,1,0] neg_lo:[0,0,1] neg_hi:[0,0,1]
	v_pk_fma_f32 v[4:5], v[10:11], v[4:5], v[20:21] op_sel:[0,0,1] op_sel_hi:[1,0,0]
	v_pk_add_f32 v[8:9], v[34:35], 0 op_sel_hi:[1,0]
	v_mov_b32_e32 v27, v5
	v_pk_add_f32 v[4:5], v[8:9], v[26:27]
	v_pk_mul_f32 v[8:9], v[0:1], v[6:7] op_sel:[0,1]
	v_pk_fma_f32 v[10:11], v[0:1], v[6:7], v[8:9] op_sel:[0,0,1] op_sel_hi:[1,1,0] neg_lo:[0,0,1] neg_hi:[0,0,1]
	v_pk_fma_f32 v[0:1], v[0:1], v[6:7], v[8:9] op_sel:[0,0,1] op_sel_hi:[1,0,0]
	v_mov_b32_e32 v11, v1
	v_pk_add_f32 v[0:1], v[4:5], v[10:11]
	v_pk_mul_f32 v[4:5], v[2:3], v[18:19] op_sel:[0,1]
	v_pk_fma_f32 v[6:7], v[2:3], v[18:19], v[4:5] op_sel:[0,0,1] op_sel_hi:[1,1,0] neg_lo:[0,0,1] neg_hi:[0,0,1]
	v_pk_fma_f32 v[2:3], v[2:3], v[18:19], v[4:5] op_sel:[0,0,1] op_sel_hi:[1,0,0]
	v_mov_b32_e32 v7, v3
	v_pk_add_f32 v[0:1], v[0:1], v[6:7]
	s_barrier
	ds_write_b64 v23, v[0:1]
	s_waitcnt lgkmcnt(0)
	s_barrier
	s_and_saveexec_b64 s[4:5], s[2:3]
	s_cbranch_execz .LBB115_88
; %bb.87:
	ds_read2_b64 v[0:3], v24 offset1:1
	ds_read2_b64 v[4:7], v24 offset0:2 offset1:3
	ds_read2_b64 v[8:11], v24 offset0:4 offset1:5
	s_waitcnt lgkmcnt(2)
	v_pk_add_f32 v[0:1], v[32:33], v[0:1]
	v_pk_add_f32 v[18:19], v[0:1], v[2:3]
	ds_read2_b64 v[0:3], v24 offset0:6 offset1:7
	s_waitcnt lgkmcnt(2)
	v_pk_add_f32 v[4:5], v[18:19], v[4:5]
	v_pk_add_f32 v[4:5], v[4:5], v[6:7]
	s_waitcnt lgkmcnt(1)
	v_pk_add_f32 v[4:5], v[4:5], v[8:9]
	v_pk_add_f32 v[4:5], v[4:5], v[10:11]
	;; [unrolled: 3-line block ×3, first 2 shown]
.LBB115_88:
	s_or_b64 exec, exec, s[4:5]
	s_mul_hi_u32 s2, s40, s7
	s_mul_i32 s41, s41, s7
	s_add_i32 s2, s2, s41
	s_mul_i32 s4, s40, s7
	s_mul_i32 s2, s2, s33
	s_mul_hi_u32 s3, s4, s33
	s_add_i32 s3, s3, s2
	s_mul_i32 s2, s4, s33
	s_lshl_b64 s[2:3], s[2:3], 3
	s_add_u32 s4, s18, s2
	s_addc_u32 s5, s19, s3
	s_mul_hi_i32 s3, s40, s6
	s_mul_i32 s2, s40, s6
	s_lshl_b64 s[2:3], s[2:3], 3
	s_add_u32 s7, s4, s2
	s_addc_u32 s17, s5, s3
	s_add_i32 s8, s6, 1
	s_cmp_ge_u32 s8, s33
	v_lshlrev_b32_e32 v73, 3, v30
	s_barrier
	s_cbranch_scc1 .LBB115_146
; %bb.89:
	s_mul_i32 s2, s24, s39
	s_ashr_i32 s3, s2, 31
	s_lshl_b64 s[2:3], s[2:3], 3
	v_lshlrev_b32_e32 v130, 2, v71
	v_mov_b32_e32 v0, s3
	v_subrev_co_u32_e32 v131, vcc, s2, v12
	v_subb_co_u32_e32 v132, vcc, v13, v0, vcc
	v_mad_u64_u32 v[0:1], s[2:3], v130, s22, v[30:31]
	v_ashrrev_i32_e32 v1, 31, v0
	v_sub_co_u32_e32 v133, vcc, 0, v14
	s_lshl_b32 s2, s22, 4
	v_subb_co_u32_e32 v134, vcc, 0, v15, vcc
	v_lshlrev_b64 v[2:3], 3, v[0:1]
	s_lshl_b32 s30, s39, 6
	s_ashr_i32 s3, s2, 31
	s_ashr_i32 s23, s22, 31
	s_lshl_b32 s14, s22, 1
	s_mul_i32 s34, s22, 3
	s_mul_i32 s39, s39, s8
	v_mov_b32_e32 v4, s29
	v_add_co_u32_e32 v5, vcc, s28, v2
	s_add_i32 s25, s33, -2
	s_ashr_i32 s15, s14, 31
	s_ashr_i32 s35, s34, 31
	s_lshl_b64 s[4:5], s[22:23], 3
	s_lshl_b32 s10, s39, 6
	v_addc_co_u32_e32 v4, vcc, v4, v3, vcc
	s_lshl_b64 s[12:13], s[2:3], 5
	s_lshl_b64 s[8:9], s[22:23], 4
	v_add_co_u32_e32 v34, vcc, v16, v5
	s_add_u32 s11, s8, s28
	v_addc_co_u32_e32 v29, vcc, v17, v4, vcc
	s_addc_u32 s23, s9, s29
	v_mov_b32_e32 v4, s23
	v_add_co_u32_e32 v5, vcc, s11, v2
	v_addc_co_u32_e32 v4, vcc, v4, v3, vcc
	v_add_co_u32_e32 v36, vcc, v16, v5
	s_add_u32 s31, s4, s28
	v_addc_co_u32_e32 v31, vcc, v17, v4, vcc
	s_addc_u32 s36, s5, s29
	v_mov_b32_e32 v4, s36
	v_add_co_u32_e32 v5, vcc, s31, v2
	v_addc_co_u32_e32 v4, vcc, v4, v3, vcc
	s_lshl_b64 s[18:19], s[14:15], 3
	v_add_co_u32_e32 v38, vcc, v16, v5
	s_add_u32 s14, s28, s18
	v_addc_co_u32_e32 v35, vcc, v17, v4, vcc
	s_addc_u32 s15, s29, s19
	v_mov_b32_e32 v4, s15
	v_add_co_u32_e32 v5, vcc, s14, v2
	v_addc_co_u32_e32 v4, vcc, v4, v3, vcc
	s_lshl_b64 s[14:15], s[34:35], 3
	;; [unrolled: 8-line block ×3, first 2 shown]
	v_add_co_u32_e32 v42, vcc, v16, v5
	s_add_u32 s37, s28, s34
	v_addc_co_u32_e32 v39, vcc, v17, v4, vcc
	s_addc_u32 s39, s29, s35
	v_mov_b32_e32 v4, s39
	v_add_co_u32_e32 v5, vcc, s37, v2
	v_addc_co_u32_e32 v4, vcc, v4, v3, vcc
	v_add_co_u32_e32 v44, vcc, v16, v5
	s_add_u32 s31, s31, s34
	v_addc_co_u32_e32 v41, vcc, v17, v4, vcc
	s_addc_u32 s36, s36, s35
	v_mov_b32_e32 v4, s36
	v_add_co_u32_e32 v5, vcc, s31, v2
	v_addc_co_u32_e32 v4, vcc, v4, v3, vcc
	v_add_co_u32_e32 v46, vcc, v16, v5
	s_add_u32 s31, s37, s18
	v_addc_co_u32_e32 v43, vcc, v17, v4, vcc
	s_addc_u32 s36, s39, s19
	v_mov_b32_e32 v4, s36
	v_add_co_u32_e32 v5, vcc, s31, v2
	v_addc_co_u32_e32 v4, vcc, v4, v3, vcc
	v_add_co_u32_e32 v48, vcc, v16, v5
	s_add_u32 s31, s11, s34
	v_addc_co_u32_e32 v45, vcc, v17, v4, vcc
	s_addc_u32 s34, s23, s35
	v_mov_b32_e32 v4, s34
	v_add_co_u32_e32 v5, vcc, s31, v2
	v_addc_co_u32_e32 v4, vcc, v4, v3, vcc
	v_add_co_u32_e32 v50, vcc, v16, v5
	s_add_u32 s31, s37, s14
	v_addc_co_u32_e32 v47, vcc, v17, v4, vcc
	s_addc_u32 s34, s39, s15
	v_mov_b32_e32 v4, s34
	v_add_co_u32_e32 v5, vcc, s31, v2
	v_addc_co_u32_e32 v4, vcc, v4, v3, vcc
	s_lshl_b64 s[34:35], s[2:3], 4
	v_add_co_u32_e32 v52, vcc, v16, v5
	s_add_u32 s3, s34, s28
	v_addc_co_u32_e32 v49, vcc, v17, v4, vcc
	s_addc_u32 s28, s35, s29
	v_mov_b32_e32 v4, s28
	v_add_co_u32_e32 v5, vcc, s3, v2
	v_addc_co_u32_e32 v4, vcc, v4, v3, vcc
	v_add_co_u32_e32 v54, vcc, v16, v5
	s_add_u32 s29, s3, s4
	v_addc_co_u32_e32 v51, vcc, v17, v4, vcc
	s_addc_u32 s31, s28, s5
	v_mov_b32_e32 v4, s31
	v_add_co_u32_e32 v5, vcc, s29, v2
	s_add_u32 s29, s3, s18
	v_addc_co_u32_e32 v4, vcc, v4, v3, vcc
	s_addc_u32 s31, s28, s19
	v_mov_b32_e32 v6, s31
	;; [unrolled: 5-line block ×4, first 2 shown]
	v_add_co_u32_e32 v11, vcc, s3, v2
	v_addc_co_u32_e32 v10, vcc, v10, v3, vcc
	v_mov_b32_e32 v2, s27
	v_add_co_u32_e32 v0, vcc, s26, v0
	v_addc_co_u32_e32 v1, vcc, v2, v1, vcc
	v_lshlrev_b64 v[0:1], 3, v[0:1]
	s_mul_i32 s11, s22, 0x180
	s_mul_hi_i32 s22, s2, 24
	v_mad_i64_i32 v[2:3], s[2:3], s2, 24, v[0:1]
	v_mov_b32_e32 v12, s5
	v_add_co_u32_e32 v13, vcc, s4, v2
	v_addc_co_u32_e32 v12, vcc, v3, v12, vcc
	v_mov_b32_e32 v14, s19
	v_add_co_u32_e32 v15, vcc, s18, v2
	s_add_u32 s2, s11, s8
	v_addc_co_u32_e32 v14, vcc, v3, v14, vcc
	s_addc_u32 s3, s22, s9
	v_mov_b32_e32 v18, s3
	v_add_co_u32_e32 v0, vcc, s2, v0
	v_addc_co_u32_e32 v1, vcc, v18, v1, vcc
	v_mov_b32_e32 v18, s15
	v_add_co_u32_e32 v19, vcc, s14, v2
	v_addc_co_u32_e32 v18, vcc, v3, v18, vcc
	v_add_co_u32_e32 v56, vcc, v16, v2
	v_addc_co_u32_e32 v53, vcc, v17, v3, vcc
	;; [unrolled: 2-line block ×8, first 2 shown]
	v_add_co_u32_e32 v70, vcc, v16, v0
	v_and_b32_e32 v2, 48, v30
	v_addc_co_u32_e32 v67, vcc, v17, v1, vcc
	s_movk_i32 s4, 0x218
	v_and_b32_e32 v1, 15, v30
	v_lshlrev_b32_e32 v3, 3, v2
	v_lshrrev_b32_e32 v0, 4, v22
	v_mad_u32_u24 v135, v1, s4, v3
	v_or_b32_e32 v3, 0x78, v73
	v_mad_u32_u24 v136, v1, s4, v3
	v_lshlrev_b32_e32 v3, 5, v0
	v_add_co_u32_e32 v72, vcc, v16, v19
	v_mad_u32_u24 v137, v1, s4, v3
	v_mov_b32_e32 v3, 0x2180
	s_movk_i32 s4, 0x860
	v_mul_i32_i24_e32 v0, 0xffffffe8, v0
	v_add_u32_e32 v2, s24, v2
	v_addc_co_u32_e32 v69, vcc, v17, v18, vcc
	v_cmp_gt_u32_e64 s[2:3], 64, v22
	v_lshl_add_u32 v138, v71, 5, v3
	v_add3_u32 v74, v2, v1, 64
	v_add_u32_e32 v139, v137, v0
	v_add_u32_e32 v140, 0x2180, v73
	;; [unrolled: 1-line block ×3, first 2 shown]
	v_or_b32_e32 v142, 1, v130
	v_or_b32_e32 v143, 2, v130
	;; [unrolled: 1-line block ×3, first 2 shown]
	v_mad_u32_u24 v145, v71, s4, v73
	v_add_u32_e32 v146, 16, v130
	v_add_u32_e32 v147, 17, v130
	;; [unrolled: 1-line block ×12, first 2 shown]
	v_mov_b32_e32 v76, 0
	s_branch .LBB115_91
.LBB115_90:                             ;   in Loop: Header=BB115_91 Depth=1
	s_or_b64 exec, exec, s[4:5]
	v_mul_f32_e32 v0, v87, v79
	v_fma_f32 v0, v86, v78, -v0
	v_mul_f32_e32 v2, v89, v81
	v_add_f32_e32 v0, v32, v0
	v_fma_f32 v2, v88, v80, -v2
	v_add_f32_e32 v0, v0, v2
	v_mul_f32_e32 v2, v91, v83
	v_fma_f32 v2, v90, v82, -v2
	v_mul_f32_e32 v1, v87, v78
	v_add_f32_e32 v0, v0, v2
	v_mul_f32_e32 v2, v93, v85
	v_mul_f32_e32 v3, v89, v80
	v_fma_f32 v2, v92, v84, -v2
	v_fmac_f32_e32 v1, v86, v79
	v_mul_f32_e32 v4, v91, v82
	v_add_f32_e32 v0, v0, v2
	v_add_f32_e32 v1, v33, v1
	v_fmac_f32_e32 v3, v88, v81
	v_mul_f32_e32 v2, v103, v95
	v_mul_f32_e32 v5, v93, v84
	v_add_f32_e32 v1, v1, v3
	v_fmac_f32_e32 v4, v90, v83
	v_fma_f32 v2, v102, v94, -v2
	v_add_f32_e32 v1, v1, v4
	v_fmac_f32_e32 v5, v92, v85
	v_mul_f32_e32 v6, v103, v94
	v_add_f32_e32 v0, v0, v2
	v_mul_f32_e32 v2, v105, v97
	v_add_f32_e32 v1, v1, v5
	v_fma_f32 v2, v104, v96, -v2
	v_mul_f32_e32 v7, v105, v96
	v_fmac_f32_e32 v6, v102, v95
	v_add_f32_e32 v0, v0, v2
	v_mul_f32_e32 v2, v107, v99
	v_mul_f32_e32 v3, v107, v98
	v_add_f32_e32 v1, v1, v6
	v_fmac_f32_e32 v7, v104, v97
	v_fma_f32 v2, v106, v98, -v2
	v_add_f32_e32 v1, v1, v7
	v_fmac_f32_e32 v3, v106, v99
	v_mul_f32_e32 v4, v109, v101
	v_mul_f32_e32 v5, v109, v100
	v_pk_add_f32 v[0:1], v[0:1], v[2:3]
	v_mov_b32_e32 v2, v111
	v_fma_f32 v4, v108, v100, -v4
	v_fmac_f32_e32 v5, v108, v101
	v_pk_mul_f32 v[2:3], v[118:119], v[2:3] op_sel_hi:[1,0]
	v_pk_add_f32 v[0:1], v[0:1], v[4:5]
	v_pk_fma_f32 v[4:5], v[118:119], v[110:111], v[2:3] op_sel:[0,0,1] op_sel_hi:[1,1,0] neg_lo:[0,0,1] neg_hi:[0,0,1]
	v_pk_fma_f32 v[2:3], v[118:119], v[110:111], v[2:3] op_sel:[0,0,1] op_sel_hi:[1,0,0]
	v_mov_b32_e32 v2, v113
	v_mov_b32_e32 v5, v3
	v_pk_mul_f32 v[2:3], v[8:9], v[2:3] op_sel_hi:[1,0]
	v_pk_add_f32 v[0:1], v[0:1], v[4:5]
	v_pk_fma_f32 v[4:5], v[8:9], v[112:113], v[2:3] op_sel:[0,0,1] op_sel_hi:[1,1,0] neg_lo:[0,0,1] neg_hi:[0,0,1]
	v_pk_fma_f32 v[2:3], v[8:9], v[112:113], v[2:3] op_sel:[0,0,1] op_sel_hi:[1,0,0]
	v_mov_b32_e32 v2, v115
	v_mov_b32_e32 v5, v3
	;; [unrolled: 6-line block ×5, first 2 shown]
	v_pk_mul_f32 v[2:3], v[18:19], v[2:3] op_sel_hi:[1,0]
	v_pk_fma_f32 v[6:7], v[18:19], v[124:125], v[2:3] op_sel:[0,0,1] op_sel_hi:[1,1,0] neg_lo:[0,0,1] neg_hi:[0,0,1]
	v_pk_fma_f32 v[2:3], v[18:19], v[124:125], v[2:3] op_sel:[0,0,1] op_sel_hi:[1,0,0]
	v_mov_b32_e32 v2, v127
	v_mov_b32_e32 v7, v3
	v_pk_mul_f32 v[2:3], v[12:13], v[2:3] op_sel_hi:[1,0]
	v_pk_fma_f32 v[8:9], v[12:13], v[126:127], v[2:3] op_sel:[0,0,1] op_sel_hi:[1,1,0] neg_lo:[0,0,1] neg_hi:[0,0,1]
	v_pk_fma_f32 v[2:3], v[12:13], v[126:127], v[2:3] op_sel:[0,0,1] op_sel_hi:[1,0,0]
	v_mov_b32_e32 v2, v129
	v_mov_b32_e32 v9, v3
	v_pk_mul_f32 v[2:3], v[14:15], v[2:3] op_sel_hi:[1,0]
	v_pk_add_f32 v[0:1], v[0:1], v[4:5]
	v_pk_fma_f32 v[10:11], v[14:15], v[128:129], v[2:3] op_sel:[0,0,1] op_sel_hi:[1,1,0] neg_lo:[0,0,1] neg_hi:[0,0,1]
	v_pk_fma_f32 v[2:3], v[14:15], v[128:129], v[2:3] op_sel:[0,0,1] op_sel_hi:[1,0,0]
	v_pk_add_f32 v[0:1], v[0:1], v[6:7]
	v_mov_b32_e32 v11, v3
	v_pk_add_f32 v[0:1], v[0:1], v[8:9]
	v_pk_add_f32 v[32:33], v[0:1], v[10:11]
	v_mov_b32_e32 v0, s13
	v_add_co_u32_e32 v34, vcc, s12, v34
	v_addc_co_u32_e32 v29, vcc, v29, v0, vcc
	v_add_co_u32_e32 v36, vcc, s12, v36
	v_addc_co_u32_e32 v31, vcc, v31, v0, vcc
	;; [unrolled: 2-line block ×19, first 2 shown]
	s_add_i32 s4, s6, 1
	s_add_i32 s10, s10, s30
	;; [unrolled: 1-line block ×3, first 2 shown]
	v_add_co_u32_e32 v72, vcc, s12, v72
	v_add_u32_e32 v74, 64, v74
	v_addc_co_u32_e32 v69, vcc, v69, v0, vcc
	s_cmp_ge_u32 s5, s33
	s_mov_b32 s6, s4
	s_barrier
	s_cbranch_scc1 .LBB115_146
.LBB115_91:                             ; =>This Inner Loop Header: Depth=1
	s_cmp_eq_u32 s25, s6
	s_cselect_b32 s24, s38, 0
	s_and_saveexec_b64 s[4:5], s[0:1]
	s_cbranch_execz .LBB115_96
; %bb.92:                               ;   in Loop: Header=BB115_91 Depth=1
	s_cmp_lg_u32 s24, 0
	s_cselect_b64 s[8:9], -1, 0
	v_cmp_le_i32_e32 vcc, s24, v30
	s_and_b64 s[8:9], s[8:9], vcc
	s_and_saveexec_b64 s[14:15], s[8:9]
	s_xor_b64 s[8:9], exec, s[14:15]
	s_cbranch_execz .LBB115_94
; %bb.93:                               ;   in Loop: Header=BB115_91 Depth=1
	v_mov_b32_e32 v77, v76
	ds_write_b64 v140, v[76:77]
.LBB115_94:                             ;   in Loop: Header=BB115_91 Depth=1
	s_andn2_saveexec_b64 s[8:9], s[8:9]
	s_cbranch_execz .LBB115_96
; %bb.95:                               ;   in Loop: Header=BB115_91 Depth=1
	s_ashr_i32 s11, s10, 31
	s_lshl_b64 s[8:9], s[10:11], 3
	v_mov_b32_e32 v1, s9
	v_add_co_u32_e32 v0, vcc, s8, v131
	v_addc_co_u32_e32 v1, vcc, v132, v1, vcc
	global_load_dwordx2 v[0:1], v[0:1], off
	s_waitcnt vmcnt(0)
	ds_write_b64 v140, v[0:1]
.LBB115_96:                             ;   in Loop: Header=BB115_91 Depth=1
	s_or_b64 exec, exec, s[4:5]
	s_cmp_eq_u32 s24, 0
	v_add_co_u32_e32 v0, vcc, v34, v133
	s_cselect_b64 s[14:15], -1, 0
	s_cmp_lg_u32 s24, 0
	v_addc_co_u32_e32 v1, vcc, v29, v134, vcc
	s_cselect_b64 s[8:9], -1, 0
	s_and_b64 vcc, exec, s[8:9]
	s_waitcnt lgkmcnt(0)
	s_barrier
	s_cbranch_vccz .LBB115_104
; %bb.97:                               ;   in Loop: Header=BB115_91 Depth=1
	v_pk_mov_b32 v[80:81], 0, 0
	v_cmp_gt_i32_e32 vcc, s24, v130
	v_pk_mov_b32 v[78:79], v[80:81], v[80:81] op_sel:[0,1]
	s_and_saveexec_b64 s[4:5], vcc
	s_cbranch_execz .LBB115_99
; %bb.98:                               ;   in Loop: Header=BB115_91 Depth=1
	global_load_dwordx2 v[78:79], v[0:1], off
.LBB115_99:                             ;   in Loop: Header=BB115_91 Depth=1
	s_or_b64 exec, exec, s[4:5]
	v_cmp_gt_i32_e32 vcc, s24, v142
	s_and_saveexec_b64 s[4:5], vcc
	s_cbranch_execz .LBB115_101
; %bb.100:                              ;   in Loop: Header=BB115_91 Depth=1
	v_add_co_u32_e32 v2, vcc, v38, v133
	v_addc_co_u32_e32 v3, vcc, v35, v134, vcc
	global_load_dwordx2 v[80:81], v[2:3], off
.LBB115_101:                            ;   in Loop: Header=BB115_91 Depth=1
	s_or_b64 exec, exec, s[4:5]
	v_cmp_gt_i32_e32 vcc, s24, v143
	v_pk_mov_b32 v[82:83], 0, 0
	s_and_saveexec_b64 s[4:5], vcc
	s_cbranch_execz .LBB115_103
; %bb.102:                              ;   in Loop: Header=BB115_91 Depth=1
	v_add_co_u32_e32 v2, vcc, v40, v133
	v_addc_co_u32_e32 v3, vcc, v37, v134, vcc
	global_load_dwordx2 v[82:83], v[2:3], off
.LBB115_103:                            ;   in Loop: Header=BB115_91 Depth=1
	s_or_b64 exec, exec, s[4:5]
	v_cmp_gt_i32_e64 s[4:5], s24, v144
	s_mov_b64 s[18:19], 0
	s_branch .LBB115_106
.LBB115_104:                            ;   in Loop: Header=BB115_91 Depth=1
	s_mov_b64 s[4:5], 0
                                        ; implicit-def: $sgpr18_sgpr19
                                        ; implicit-def: $vgpr82_vgpr83
                                        ; implicit-def: $vgpr80_vgpr81
                                        ; implicit-def: $vgpr78_vgpr79
	s_cbranch_execz .LBB115_106
; %bb.105:                              ;   in Loop: Header=BB115_91 Depth=1
	global_load_dwordx2 v[78:79], v[0:1], off
	v_add_co_u32_e32 v0, vcc, v38, v133
	v_addc_co_u32_e32 v1, vcc, v35, v134, vcc
	global_load_dwordx2 v[80:81], v[0:1], off
	v_add_co_u32_e32 v0, vcc, v36, v133
	v_addc_co_u32_e32 v1, vcc, v31, v134, vcc
	global_load_dwordx2 v[82:83], v[0:1], off
	s_or_b64 s[4:5], s[4:5], exec
                                        ; implicit-def: $sgpr18_sgpr19
.LBB115_106:                            ;   in Loop: Header=BB115_91 Depth=1
	v_pk_mov_b32 v[84:85], s[18:19], s[18:19] op_sel:[0,1]
	s_and_saveexec_b64 s[18:19], s[4:5]
	s_cbranch_execz .LBB115_108
; %bb.107:                              ;   in Loop: Header=BB115_91 Depth=1
	v_add_co_u32_e32 v0, vcc, v42, v133
	v_addc_co_u32_e32 v1, vcc, v39, v134, vcc
	global_load_dwordx2 v[84:85], v[0:1], off
.LBB115_108:                            ;   in Loop: Header=BB115_91 Depth=1
	s_or_b64 exec, exec, s[18:19]
	ds_read_b64 v[0:1], v141
	ds_read_b64 v[86:87], v138
	v_cndmask_b32_e64 v8, 0, 1, s[8:9]
	v_cmp_ne_u32_e64 s[4:5], 1, v8
	s_andn2_b64 vcc, exec, s[8:9]
	s_waitcnt vmcnt(0) lgkmcnt(1)
	v_mul_f32_e32 v2, v1, v79
	v_mul_f32_e32 v3, v1, v78
	v_fma_f32 v2, v0, v78, -v2
	v_fmac_f32_e32 v3, v0, v79
	v_mul_f32_e32 v4, v1, v81
	ds_write_b64 v145, v[2:3]
	v_mul_f32_e32 v3, v1, v80
	v_fma_f32 v2, v0, v80, -v4
	v_fmac_f32_e32 v3, v0, v81
	ds_read_b64 v[88:89], v138 offset:8
	ds_write_b64 v145, v[2:3] offset:536
	v_mul_f32_e32 v2, v1, v83
	v_mul_f32_e32 v3, v1, v82
	v_fma_f32 v2, v0, v82, -v2
	v_fmac_f32_e32 v3, v0, v83
	ds_read_b64 v[90:91], v138 offset:16
	ds_write_b64 v145, v[2:3] offset:1072
	v_mul_f32_e32 v2, v1, v85
	v_mul_f32_e32 v3, v0, v85
	v_fma_f32 v2, v0, v84, -v2
	v_fmac_f32_e32 v3, v1, v84
	ds_read_b64 v[92:93], v138 offset:24
	ds_write_b64 v145, v[2:3] offset:1608
	s_waitcnt lgkmcnt(0)
	s_barrier
	ds_read2_b64 v[4:7], v137 offset1:1
	ds_read2_b64 v[0:3], v137 offset0:2 offset1:3
	v_add_co_u32_e64 v8, s[8:9], v44, v133
	v_addc_co_u32_e64 v9, s[8:9], v41, v134, s[8:9]
	s_waitcnt lgkmcnt(0)
	s_barrier
	s_cbranch_vccnz .LBB115_116
; %bb.109:                              ;   in Loop: Header=BB115_91 Depth=1
	v_pk_mov_b32 v[96:97], 0, 0
	v_cmp_gt_i32_e32 vcc, s24, v146
	v_pk_mov_b32 v[94:95], v[96:97], v[96:97] op_sel:[0,1]
	s_and_saveexec_b64 s[8:9], vcc
	s_cbranch_execz .LBB115_111
; %bb.110:                              ;   in Loop: Header=BB115_91 Depth=1
	global_load_dwordx2 v[94:95], v[8:9], off
.LBB115_111:                            ;   in Loop: Header=BB115_91 Depth=1
	s_or_b64 exec, exec, s[8:9]
	v_cmp_gt_i32_e32 vcc, s24, v147
	s_and_saveexec_b64 s[8:9], vcc
	s_cbranch_execz .LBB115_113
; %bb.112:                              ;   in Loop: Header=BB115_91 Depth=1
	v_add_co_u32_e32 v10, vcc, v46, v133
	v_addc_co_u32_e32 v11, vcc, v43, v134, vcc
	global_load_dwordx2 v[96:97], v[10:11], off
.LBB115_113:                            ;   in Loop: Header=BB115_91 Depth=1
	s_or_b64 exec, exec, s[8:9]
	v_cmp_gt_i32_e32 vcc, s24, v148
	v_pk_mov_b32 v[98:99], 0, 0
	s_and_saveexec_b64 s[8:9], vcc
	s_cbranch_execz .LBB115_115
; %bb.114:                              ;   in Loop: Header=BB115_91 Depth=1
	v_add_co_u32_e32 v10, vcc, v48, v133
	v_addc_co_u32_e32 v11, vcc, v45, v134, vcc
	global_load_dwordx2 v[98:99], v[10:11], off
.LBB115_115:                            ;   in Loop: Header=BB115_91 Depth=1
	s_or_b64 exec, exec, s[8:9]
	v_cmp_gt_i32_e64 s[8:9], s24, v149
	s_mov_b64 s[18:19], 0
	s_branch .LBB115_118
.LBB115_116:                            ;   in Loop: Header=BB115_91 Depth=1
	s_mov_b64 s[8:9], 0
                                        ; implicit-def: $sgpr18_sgpr19
                                        ; implicit-def: $vgpr98_vgpr99
                                        ; implicit-def: $vgpr96_vgpr97
                                        ; implicit-def: $vgpr94_vgpr95
	s_cbranch_execz .LBB115_118
; %bb.117:                              ;   in Loop: Header=BB115_91 Depth=1
	global_load_dwordx2 v[94:95], v[8:9], off
	v_add_co_u32_e32 v8, vcc, v46, v133
	v_addc_co_u32_e32 v9, vcc, v43, v134, vcc
	global_load_dwordx2 v[96:97], v[8:9], off
	v_add_co_u32_e32 v8, vcc, v50, v133
	v_addc_co_u32_e32 v9, vcc, v47, v134, vcc
	global_load_dwordx2 v[98:99], v[8:9], off
	s_or_b64 s[8:9], s[8:9], exec
                                        ; implicit-def: $sgpr18_sgpr19
.LBB115_118:                            ;   in Loop: Header=BB115_91 Depth=1
	v_pk_mov_b32 v[100:101], s[18:19], s[18:19] op_sel:[0,1]
	s_and_saveexec_b64 s[18:19], s[8:9]
	s_cbranch_execz .LBB115_120
; %bb.119:                              ;   in Loop: Header=BB115_91 Depth=1
	v_add_co_u32_e32 v8, vcc, v52, v133
	v_addc_co_u32_e32 v9, vcc, v49, v134, vcc
	global_load_dwordx2 v[100:101], v[8:9], off
.LBB115_120:                            ;   in Loop: Header=BB115_91 Depth=1
	s_or_b64 exec, exec, s[18:19]
	ds_read_b64 v[8:9], v141
	ds_read_b64 v[102:103], v138 offset:128
	s_and_b64 vcc, exec, s[4:5]
	s_waitcnt vmcnt(0) lgkmcnt(1)
	v_mul_f32_e32 v10, v9, v95
	v_mul_f32_e32 v11, v9, v94
	v_fma_f32 v10, v8, v94, -v10
	v_fmac_f32_e32 v11, v8, v95
	v_mul_f32_e32 v12, v9, v97
	ds_write_b64 v145, v[10:11]
	v_mul_f32_e32 v11, v9, v96
	v_fma_f32 v10, v8, v96, -v12
	v_fmac_f32_e32 v11, v8, v97
	ds_read_b64 v[104:105], v138 offset:136
	ds_write_b64 v145, v[10:11] offset:536
	v_mul_f32_e32 v10, v9, v99
	v_mul_f32_e32 v11, v9, v98
	v_fma_f32 v10, v8, v98, -v10
	v_fmac_f32_e32 v11, v8, v99
	ds_read_b64 v[106:107], v138 offset:144
	ds_write_b64 v145, v[10:11] offset:1072
	v_mul_f32_e32 v10, v9, v101
	v_mul_f32_e32 v11, v8, v101
	v_fma_f32 v10, v8, v100, -v10
	v_fmac_f32_e32 v11, v9, v100
	ds_read_b64 v[108:109], v138 offset:152
	ds_write_b64 v145, v[10:11] offset:1608
	s_waitcnt lgkmcnt(0)
	s_barrier
	ds_read2_b64 v[16:19], v137 offset1:1
	ds_read2_b64 v[12:15], v137 offset0:2 offset1:3
	v_add_co_u32_e64 v8, s[8:9], v54, v133
	v_addc_co_u32_e64 v9, s[8:9], v51, v134, s[8:9]
	s_waitcnt lgkmcnt(0)
	s_barrier
	s_cbranch_vccnz .LBB115_128
; %bb.121:                              ;   in Loop: Header=BB115_91 Depth=1
	v_pk_mov_b32 v[112:113], 0, 0
	v_cmp_gt_i32_e32 vcc, s24, v150
	v_pk_mov_b32 v[110:111], v[112:113], v[112:113] op_sel:[0,1]
	s_and_saveexec_b64 s[8:9], vcc
	s_cbranch_execz .LBB115_123
; %bb.122:                              ;   in Loop: Header=BB115_91 Depth=1
	global_load_dwordx2 v[110:111], v[8:9], off
.LBB115_123:                            ;   in Loop: Header=BB115_91 Depth=1
	s_or_b64 exec, exec, s[8:9]
	v_cmp_gt_i32_e32 vcc, s24, v151
	s_and_saveexec_b64 s[8:9], vcc
	s_cbranch_execz .LBB115_125
; %bb.124:                              ;   in Loop: Header=BB115_91 Depth=1
	v_add_co_u32_e32 v10, vcc, v58, v133
	v_addc_co_u32_e32 v11, vcc, v55, v134, vcc
	global_load_dwordx2 v[112:113], v[10:11], off
.LBB115_125:                            ;   in Loop: Header=BB115_91 Depth=1
	s_or_b64 exec, exec, s[8:9]
	v_cmp_gt_i32_e32 vcc, s24, v152
	v_pk_mov_b32 v[114:115], 0, 0
	s_and_saveexec_b64 s[8:9], vcc
	s_cbranch_execz .LBB115_127
; %bb.126:                              ;   in Loop: Header=BB115_91 Depth=1
	v_add_co_u32_e32 v10, vcc, v60, v133
	v_addc_co_u32_e32 v11, vcc, v57, v134, vcc
	global_load_dwordx2 v[114:115], v[10:11], off
.LBB115_127:                            ;   in Loop: Header=BB115_91 Depth=1
	s_or_b64 exec, exec, s[8:9]
	v_cmp_gt_i32_e64 s[8:9], s24, v153
	s_mov_b64 s[18:19], 0
	s_branch .LBB115_130
.LBB115_128:                            ;   in Loop: Header=BB115_91 Depth=1
	s_mov_b64 s[8:9], 0
                                        ; implicit-def: $sgpr18_sgpr19
                                        ; implicit-def: $vgpr114_vgpr115
                                        ; implicit-def: $vgpr112_vgpr113
                                        ; implicit-def: $vgpr110_vgpr111
	s_cbranch_execz .LBB115_130
; %bb.129:                              ;   in Loop: Header=BB115_91 Depth=1
	global_load_dwordx2 v[110:111], v[8:9], off
	v_add_co_u32_e32 v8, vcc, v58, v133
	v_addc_co_u32_e32 v9, vcc, v55, v134, vcc
	global_load_dwordx2 v[112:113], v[8:9], off
	v_add_co_u32_e32 v8, vcc, v62, v133
	v_addc_co_u32_e32 v9, vcc, v59, v134, vcc
	global_load_dwordx2 v[114:115], v[8:9], off
	s_or_b64 s[8:9], s[8:9], exec
                                        ; implicit-def: $sgpr18_sgpr19
.LBB115_130:                            ;   in Loop: Header=BB115_91 Depth=1
	v_pk_mov_b32 v[116:117], s[18:19], s[18:19] op_sel:[0,1]
	s_and_saveexec_b64 s[18:19], s[8:9]
	s_cbranch_execz .LBB115_132
; %bb.131:                              ;   in Loop: Header=BB115_91 Depth=1
	v_add_co_u32_e32 v8, vcc, v64, v133
	v_addc_co_u32_e32 v9, vcc, v61, v134, vcc
	global_load_dwordx2 v[116:117], v[8:9], off
.LBB115_132:                            ;   in Loop: Header=BB115_91 Depth=1
	s_or_b64 exec, exec, s[18:19]
	ds_read_b64 v[8:9], v141
	ds_read_b64 v[118:119], v138 offset:256
	s_and_b64 vcc, exec, s[4:5]
	v_add_co_u32_e64 v128, s[4:5], v56, v133
	s_waitcnt vmcnt(0) lgkmcnt(1)
	v_mul_f32_e32 v10, v9, v111
	v_mul_f32_e32 v11, v9, v110
	;; [unrolled: 1-line block ×4, first 2 shown]
	v_fma_f32 v10, v8, v110, -v10
	v_fmac_f32_e32 v11, v8, v111
	v_fma_f32 v20, v8, v112, -v20
	v_fmac_f32_e32 v21, v8, v113
	ds_write2_b64 v145, v[10:11], v[20:21] offset1:67
	v_mul_f32_e32 v10, v9, v115
	v_mul_f32_e32 v11, v9, v114
	;; [unrolled: 1-line block ×4, first 2 shown]
	v_fma_f32 v10, v8, v114, -v10
	v_fmac_f32_e32 v11, v8, v115
	v_fma_f32 v20, v8, v116, -v20
	v_fmac_f32_e32 v21, v9, v116
	ds_write2_b64 v145, v[10:11], v[20:21] offset0:134 offset1:201
	ds_read2_b64 v[8:11], v138 offset0:33 offset1:34
	ds_read_b64 v[120:121], v138 offset:280
	s_waitcnt lgkmcnt(0)
	s_barrier
	ds_read2_b64 v[24:27], v137 offset1:1
	ds_read2_b64 v[20:23], v137 offset0:2 offset1:3
	v_addc_co_u32_e64 v129, s[4:5], v53, v134, s[4:5]
	s_waitcnt lgkmcnt(0)
	s_barrier
	s_cbranch_vccnz .LBB115_140
; %bb.133:                              ;   in Loop: Header=BB115_91 Depth=1
	v_pk_mov_b32 v[124:125], 0, 0
	v_cmp_gt_i32_e32 vcc, s24, v154
	v_pk_mov_b32 v[122:123], v[124:125], v[124:125] op_sel:[0,1]
	s_and_saveexec_b64 s[4:5], vcc
	s_cbranch_execz .LBB115_135
; %bb.134:                              ;   in Loop: Header=BB115_91 Depth=1
	global_load_dwordx2 v[122:123], v[128:129], off
.LBB115_135:                            ;   in Loop: Header=BB115_91 Depth=1
	s_or_b64 exec, exec, s[4:5]
	v_cmp_gt_i32_e32 vcc, s24, v155
	s_and_saveexec_b64 s[4:5], vcc
	s_cbranch_execz .LBB115_137
; %bb.136:                              ;   in Loop: Header=BB115_91 Depth=1
	v_add_co_u32_e32 v124, vcc, v66, v133
	v_addc_co_u32_e32 v125, vcc, v63, v134, vcc
	global_load_dwordx2 v[124:125], v[124:125], off
.LBB115_137:                            ;   in Loop: Header=BB115_91 Depth=1
	s_or_b64 exec, exec, s[4:5]
	v_cmp_gt_i32_e32 vcc, s24, v156
	v_pk_mov_b32 v[126:127], 0, 0
	s_and_saveexec_b64 s[4:5], vcc
	s_cbranch_execz .LBB115_139
; %bb.138:                              ;   in Loop: Header=BB115_91 Depth=1
	v_add_co_u32_e32 v126, vcc, v68, v133
	v_addc_co_u32_e32 v127, vcc, v65, v134, vcc
	global_load_dwordx2 v[126:127], v[126:127], off
.LBB115_139:                            ;   in Loop: Header=BB115_91 Depth=1
	s_or_b64 exec, exec, s[4:5]
	v_cmp_gt_i32_e64 s[4:5], s24, v157
	s_mov_b64 s[8:9], 0
	s_branch .LBB115_142
.LBB115_140:                            ;   in Loop: Header=BB115_91 Depth=1
	s_mov_b64 s[4:5], 0
                                        ; implicit-def: $sgpr8_sgpr9
                                        ; implicit-def: $vgpr126_vgpr127
                                        ; implicit-def: $vgpr124_vgpr125
                                        ; implicit-def: $vgpr122_vgpr123
	s_cbranch_execz .LBB115_142
; %bb.141:                              ;   in Loop: Header=BB115_91 Depth=1
	s_waitcnt vmcnt(0)
	v_add_co_u32_e32 v124, vcc, v66, v133
	v_addc_co_u32_e32 v125, vcc, v63, v134, vcc
	v_add_co_u32_e32 v126, vcc, v70, v133
	v_addc_co_u32_e32 v127, vcc, v67, v134, vcc
	global_load_dwordx2 v[122:123], v[128:129], off
	s_or_b64 s[4:5], s[4:5], exec
	global_load_dwordx2 v[124:125], v[124:125], off
                                        ; implicit-def: $sgpr8_sgpr9
	s_nop 0
	global_load_dwordx2 v[126:127], v[126:127], off
.LBB115_142:                            ;   in Loop: Header=BB115_91 Depth=1
	v_pk_mov_b32 v[128:129], s[8:9], s[8:9] op_sel:[0,1]
	s_and_saveexec_b64 s[8:9], s[4:5]
	s_cbranch_execz .LBB115_144
; %bb.143:                              ;   in Loop: Header=BB115_91 Depth=1
	v_add_co_u32_e32 v128, vcc, v72, v133
	v_addc_co_u32_e32 v129, vcc, v69, v134, vcc
	global_load_dwordx2 v[128:129], v[128:129], off
.LBB115_144:                            ;   in Loop: Header=BB115_91 Depth=1
	s_or_b64 exec, exec, s[8:9]
	v_pk_add_f32 v[24:25], v[24:25], 0 op_sel_hi:[1,0]
	v_pk_add_f32 v[24:25], v[24:25], v[26:27]
	v_pk_add_f32 v[20:21], v[24:25], v[20:21]
	;; [unrolled: 1-line block ×3, first 2 shown]
	ds_read_b64 v[20:21], v141
	v_pk_add_f32 v[16:17], v[16:17], 0 op_sel_hi:[1,0]
	v_pk_add_f32 v[16:17], v[16:17], v[18:19]
	v_pk_add_f32 v[12:13], v[16:17], v[12:13]
	;; [unrolled: 1-line block ×3, first 2 shown]
	s_waitcnt vmcnt(0) lgkmcnt(0)
	v_mul_f32_e32 v12, v21, v123
	v_mul_f32_e32 v13, v21, v122
	;; [unrolled: 1-line block ×4, first 2 shown]
	v_fma_f32 v12, v20, v122, -v12
	v_fmac_f32_e32 v13, v20, v123
	v_fma_f32 v14, v20, v124, -v14
	v_fmac_f32_e32 v15, v20, v125
	ds_write2_b64 v145, v[12:13], v[14:15] offset1:67
	v_mul_f32_e32 v12, v21, v127
	v_mul_f32_e32 v13, v21, v126
	;; [unrolled: 1-line block ×4, first 2 shown]
	v_fma_f32 v12, v20, v126, -v12
	v_fmac_f32_e32 v13, v20, v127
	v_fma_f32 v14, v20, v128, -v14
	v_fmac_f32_e32 v15, v21, v128
	ds_write2_b64 v145, v[12:13], v[14:15] offset0:134 offset1:201
	ds_read_b128 v[16:19], v138 offset:384
	ds_read_b128 v[12:15], v138 offset:400
	s_waitcnt lgkmcnt(0)
	s_barrier
	ds_read2_b64 v[20:23], v137 offset1:1
	v_pk_add_f32 v[4:5], v[4:5], 0 op_sel_hi:[1,0]
	v_pk_add_f32 v[158:159], v[4:5], v[6:7]
	ds_read2_b64 v[4:7], v137 offset0:2 offset1:3
	v_pk_add_f32 v[0:1], v[158:159], v[0:1]
	v_pk_add_f32 v[0:1], v[0:1], v[2:3]
	s_waitcnt lgkmcnt(1)
	v_pk_add_f32 v[2:3], v[20:21], 0 op_sel_hi:[1,0]
	v_cmp_gt_i32_e32 vcc, s24, v30
	v_pk_add_f32 v[2:3], v[2:3], v[22:23]
	s_or_b64 s[4:5], s[14:15], vcc
	s_waitcnt lgkmcnt(0)
	v_pk_add_f32 v[2:3], v[2:3], v[4:5]
	s_and_b64 s[8:9], s[2:3], s[4:5]
	v_pk_add_f32 v[2:3], v[2:3], v[6:7]
	s_barrier
	ds_write2_b64 v139, v[0:1], v[26:27] offset1:16
	ds_write2_b64 v139, v[24:25], v[2:3] offset0:32 offset1:48
	s_waitcnt lgkmcnt(0)
	s_barrier
	s_and_saveexec_b64 s[4:5], s[8:9]
	s_cbranch_execz .LBB115_90
; %bb.145:                              ;   in Loop: Header=BB115_91 Depth=1
	ds_read_b64 v[20:21], v135
	ds_read2_b64 v[0:3], v135 offset0:1 offset1:2
	ds_read2_b64 v[4:7], v135 offset0:3 offset1:4
	v_ashrrev_i32_e32 v75, 31, v74
	v_lshlrev_b64 v[22:23], 3, v[74:75]
	v_mov_b32_e32 v25, s17
	s_waitcnt lgkmcnt(1)
	v_add_f32_e32 v0, v0, v20
	v_add_f32_e32 v1, v1, v21
	;; [unrolled: 1-line block ×4, first 2 shown]
	ds_read2_b64 v[0:3], v135 offset0:5 offset1:6
	s_waitcnt lgkmcnt(1)
	v_add_f32_e32 v4, v20, v4
	v_add_f32_e32 v5, v21, v5
	;; [unrolled: 1-line block ×4, first 2 shown]
	ds_read2_b64 v[4:7], v135 offset0:7 offset1:8
	v_add_co_u32_e32 v24, vcc, s7, v22
	v_addc_co_u32_e32 v25, vcc, v25, v23, vcc
	s_waitcnt lgkmcnt(1)
	v_pk_add_f32 v[0:1], v[20:21], v[0:1]
	ds_read2_b64 v[20:23], v135 offset0:9 offset1:10
	v_pk_add_f32 v[0:1], v[0:1], v[2:3]
	s_waitcnt lgkmcnt(1)
	v_pk_add_f32 v[0:1], v[0:1], v[4:5]
	v_pk_add_f32 v[4:5], v[0:1], v[6:7]
	ds_read2_b64 v[0:3], v135 offset0:11 offset1:12
	s_waitcnt lgkmcnt(1)
	v_pk_add_f32 v[20:21], v[4:5], v[20:21]
	ds_read2_b64 v[4:7], v135 offset0:13 offset1:14
	v_pk_add_f32 v[20:21], v[20:21], v[22:23]
	ds_read_b64 v[22:23], v136
	s_waitcnt lgkmcnt(2)
	v_pk_add_f32 v[0:1], v[20:21], v[0:1]
	v_pk_add_f32 v[0:1], v[0:1], v[2:3]
	s_waitcnt lgkmcnt(1)
	v_pk_add_f32 v[0:1], v[0:1], v[4:5]
	v_pk_add_f32 v[0:1], v[0:1], v[6:7]
	s_waitcnt lgkmcnt(0)
	v_pk_add_f32 v[0:1], v[0:1], v[22:23]
	global_store_dwordx2 v[24:25], v[0:1], off
	s_branch .LBB115_90
.LBB115_146:
	s_movk_i32 s2, 0x218
	v_cmp_gt_i32_e32 vcc, s16, v30
	v_mad_u32_u24 v0, v71, s2, v73
	s_or_b64 s[2:3], s[20:21], vcc
	s_and_b64 s[0:1], s[0:1], s[2:3]
	ds_write_b64 v0, v[32:33]
	s_waitcnt lgkmcnt(0)
	s_barrier
	s_and_saveexec_b64 s[2:3], s[0:1]
	s_cbranch_execz .LBB115_148
; %bb.147:
	ds_read2_b64 v[0:3], v73 offset1:67
	ds_read2_b64 v[4:7], v73 offset0:134 offset1:201
	v_ashrrev_i32_e32 v29, 31, v28
	v_lshlrev_b64 v[8:9], 3, v[28:29]
	v_mov_b32_e32 v10, s17
	s_waitcnt lgkmcnt(1)
	v_pk_add_f32 v[0:1], v[2:3], v[0:1]
	v_add_co_u32_e32 v8, vcc, s7, v8
	s_waitcnt lgkmcnt(0)
	v_pk_add_f32 v[0:1], v[0:1], v[4:5]
	v_addc_co_u32_e32 v9, vcc, v10, v9, vcc
	v_pk_add_f32 v[0:1], v[0:1], v[6:7]
	global_store_dwordx2 v[8:9], v[0:1], off
.LBB115_148:
	s_endpgm
	.section	.rodata,"a",@progbits
	.p2align	6, 0x0
	.amdhsa_kernel _ZL26rocblas_hemvn_kernel_upperILb0ELi64ELi4ELi33ELi32ELi16EiPK19rocblas_complex_numIfES3_PS1_EviT6_lT7_lT5_lS6_lS7_lS5_lT8_i
		.amdhsa_group_segment_fixed_size 9600
		.amdhsa_private_segment_fixed_size 0
		.amdhsa_kernarg_size 376
		.amdhsa_user_sgpr_count 6
		.amdhsa_user_sgpr_private_segment_buffer 1
		.amdhsa_user_sgpr_dispatch_ptr 0
		.amdhsa_user_sgpr_queue_ptr 0
		.amdhsa_user_sgpr_kernarg_segment_ptr 1
		.amdhsa_user_sgpr_dispatch_id 0
		.amdhsa_user_sgpr_flat_scratch_init 0
		.amdhsa_user_sgpr_kernarg_preload_length 0
		.amdhsa_user_sgpr_kernarg_preload_offset 0
		.amdhsa_user_sgpr_private_segment_size 0
		.amdhsa_uses_dynamic_stack 0
		.amdhsa_system_sgpr_private_segment_wavefront_offset 0
		.amdhsa_system_sgpr_workgroup_id_x 1
		.amdhsa_system_sgpr_workgroup_id_y 0
		.amdhsa_system_sgpr_workgroup_id_z 1
		.amdhsa_system_sgpr_workgroup_info 0
		.amdhsa_system_vgpr_workitem_id 1
		.amdhsa_next_free_vgpr 160
		.amdhsa_next_free_sgpr 44
		.amdhsa_accum_offset 160
		.amdhsa_reserve_vcc 1
		.amdhsa_reserve_flat_scratch 0
		.amdhsa_float_round_mode_32 0
		.amdhsa_float_round_mode_16_64 0
		.amdhsa_float_denorm_mode_32 3
		.amdhsa_float_denorm_mode_16_64 3
		.amdhsa_dx10_clamp 1
		.amdhsa_ieee_mode 1
		.amdhsa_fp16_overflow 0
		.amdhsa_tg_split 0
		.amdhsa_exception_fp_ieee_invalid_op 0
		.amdhsa_exception_fp_denorm_src 0
		.amdhsa_exception_fp_ieee_div_zero 0
		.amdhsa_exception_fp_ieee_overflow 0
		.amdhsa_exception_fp_ieee_underflow 0
		.amdhsa_exception_fp_ieee_inexact 0
		.amdhsa_exception_int_div_zero 0
	.end_amdhsa_kernel
	.section	.text._ZL26rocblas_hemvn_kernel_upperILb0ELi64ELi4ELi33ELi32ELi16EiPK19rocblas_complex_numIfES3_PS1_EviT6_lT7_lT5_lS6_lS7_lS5_lT8_i,"axG",@progbits,_ZL26rocblas_hemvn_kernel_upperILb0ELi64ELi4ELi33ELi32ELi16EiPK19rocblas_complex_numIfES3_PS1_EviT6_lT7_lT5_lS6_lS7_lS5_lT8_i,comdat
.Lfunc_end115:
	.size	_ZL26rocblas_hemvn_kernel_upperILb0ELi64ELi4ELi33ELi32ELi16EiPK19rocblas_complex_numIfES3_PS1_EviT6_lT7_lT5_lS6_lS7_lS5_lT8_i, .Lfunc_end115-_ZL26rocblas_hemvn_kernel_upperILb0ELi64ELi4ELi33ELi32ELi16EiPK19rocblas_complex_numIfES3_PS1_EviT6_lT7_lT5_lS6_lS7_lS5_lT8_i
                                        ; -- End function
	.section	.AMDGPU.csdata,"",@progbits
; Kernel info:
; codeLenInByte = 8636
; NumSgprs: 48
; NumVgprs: 160
; NumAgprs: 0
; TotalNumVgprs: 160
; ScratchSize: 0
; MemoryBound: 1
; FloatMode: 240
; IeeeMode: 1
; LDSByteSize: 9600 bytes/workgroup (compile time only)
; SGPRBlocks: 5
; VGPRBlocks: 19
; NumSGPRsForWavesPerEU: 48
; NumVGPRsForWavesPerEU: 160
; AccumOffset: 160
; Occupancy: 3
; WaveLimiterHint : 1
; COMPUTE_PGM_RSRC2:SCRATCH_EN: 0
; COMPUTE_PGM_RSRC2:USER_SGPR: 6
; COMPUTE_PGM_RSRC2:TRAP_HANDLER: 0
; COMPUTE_PGM_RSRC2:TGID_X_EN: 1
; COMPUTE_PGM_RSRC2:TGID_Y_EN: 0
; COMPUTE_PGM_RSRC2:TGID_Z_EN: 1
; COMPUTE_PGM_RSRC2:TIDIG_COMP_CNT: 1
; COMPUTE_PGM_RSRC3_GFX90A:ACCUM_OFFSET: 39
; COMPUTE_PGM_RSRC3_GFX90A:TG_SPLIT: 0
	.section	.text._ZL26rocblas_hemvn_kernel_upperILb0ELi64ELi4ELi33ELi32ELi16El19rocblas_complex_numIfEPKS1_PS1_EviT6_lT7_lT5_lS6_lS7_lS5_lT8_i,"axG",@progbits,_ZL26rocblas_hemvn_kernel_upperILb0ELi64ELi4ELi33ELi32ELi16El19rocblas_complex_numIfEPKS1_PS1_EviT6_lT7_lT5_lS6_lS7_lS5_lT8_i,comdat
	.globl	_ZL26rocblas_hemvn_kernel_upperILb0ELi64ELi4ELi33ELi32ELi16El19rocblas_complex_numIfEPKS1_PS1_EviT6_lT7_lT5_lS6_lS7_lS5_lT8_i ; -- Begin function _ZL26rocblas_hemvn_kernel_upperILb0ELi64ELi4ELi33ELi32ELi16El19rocblas_complex_numIfEPKS1_PS1_EviT6_lT7_lT5_lS6_lS7_lS5_lT8_i
	.p2align	8
	.type	_ZL26rocblas_hemvn_kernel_upperILb0ELi64ELi4ELi33ELi32ELi16El19rocblas_complex_numIfEPKS1_PS1_EviT6_lT7_lT5_lS6_lS7_lS5_lT8_i,@function
_ZL26rocblas_hemvn_kernel_upperILb0ELi64ELi4ELi33ELi32ELi16El19rocblas_complex_numIfEPKS1_PS1_EviT6_lT7_lT5_lS6_lS7_lS5_lT8_i: ; @_ZL26rocblas_hemvn_kernel_upperILb0ELi64ELi4ELi33ELi32ELi16El19rocblas_complex_numIfEPKS1_PS1_EviT6_lT7_lT5_lS6_lS7_lS5_lT8_i
; %bb.0:
	s_load_dwordx2 s[2:3], s[4:5], 0x84
	s_add_u32 s0, s4, 0x78
	s_addc_u32 s1, s5, 0
	s_waitcnt lgkmcnt(0)
	s_lshr_b32 s8, s2, 16
	s_and_b32 s2, s2, 0xffff
	s_and_b32 s3, s3, 0xffff
	s_mul_i32 s2, s8, s2
	s_mul_i32 s2, s2, s3
	s_cmpk_lg_i32 s2, 0x100
	s_cbranch_scc1 .LBB116_148
; %bb.1:
	s_load_dwordx2 s[2:3], s[4:5], 0x4
	s_mov_b64 s[8:9], -1
	s_waitcnt lgkmcnt(0)
	s_or_b32 s2, s2, s3
	s_bitset0_b32 s2, 31
	s_cmp_lg_u32 s2, 0
	s_cselect_b64 s[2:3], -1, 0
	s_and_b64 vcc, exec, s[2:3]
	s_cbranch_vccnz .LBB116_3
; %bb.2:
	s_load_dwordx2 s[8:9], s[4:5], 0x58
	s_waitcnt lgkmcnt(0)
	v_cmp_neq_f32_e64 s[10:11], s8, 1.0
	v_cmp_neq_f32_e64 s[8:9], s9, 0
	s_or_b64 s[8:9], s[10:11], s[8:9]
.LBB116_3:
	s_andn2_b64 vcc, exec, s[8:9]
	s_cbranch_vccnz .LBB116_148
; %bb.4:
	s_andn2_b64 vcc, exec, s[2:3]
	s_cbranch_vccnz .LBB116_148
; %bb.5:
	s_load_dwordx16 s[16:31], s[4:5], 0x18
	s_load_dword s33, s[0:1], 0x0
	s_load_dword s37, s[4:5], 0x0
	v_and_b32_e32 v65, 0x3ff, v0
	v_bfe_u32 v120, v0, 10, 10
	s_waitcnt lgkmcnt(0)
	s_mul_i32 s1, s7, s31
	s_mul_hi_u32 s2, s7, s30
	s_mul_i32 s0, s7, s30
	s_add_i32 s1, s2, s1
	s_lshl_b64 s[0:1], s[0:1], 3
	s_add_u32 s2, s24, s0
	s_addc_u32 s3, s25, s1
	s_lshl_b64 s[0:1], s[26:27], 3
	s_add_u32 s2, s2, s0
	s_addc_u32 s3, s3, s1
	s_ashr_i32 s38, s37, 31
	s_lshr_b32 s1, s38, 26
	s_lshl_b32 s26, s6, 6
	s_add_i32 s1, s37, s1
	s_andn2_b32 s1, s1, 63
	v_add_u32_e32 v28, s26, v65
	s_add_i32 s0, s33, -1
	s_sub_i32 s36, s37, s1
	v_ashrrev_i32_e32 v29, 31, v28
	s_cmp_eq_u32 s6, s0
	v_mul_lo_u32 v2, v29, s28
	v_mul_lo_u32 v3, v28, s29
	v_mad_u64_u32 v[0:1], s[0:1], v28, s28, 0
	v_add3_u32 v1, v1, v3, v2
	v_lshlrev_b64 v[0:1], 3, v[0:1]
	v_mov_b32_e32 v2, s3
	v_add_co_u32_e32 v14, vcc, s2, v0
	s_cselect_b32 s24, s36, 0
	v_addc_co_u32_e32 v15, vcc, v2, v1, vcc
	v_cmp_eq_u32_e64 s[0:1], 0, v120
	s_and_saveexec_b64 s[2:3], s[0:1]
	s_cbranch_execz .LBB116_10
; %bb.6:
	s_cmp_lg_u32 s24, 0
	s_cselect_b64 s[8:9], -1, 0
	v_cmp_le_i32_e32 vcc, s24, v65
	v_mov_b32_e32 v0, 0x2380
	s_and_b64 s[8:9], s[8:9], vcc
	v_lshl_add_u32 v0, v65, 3, v0
	s_and_saveexec_b64 s[10:11], s[8:9]
	s_xor_b64 s[8:9], exec, s[10:11]
	s_cbranch_execz .LBB116_8
; %bb.7:
	v_mov_b32_e32 v2, 0
	v_mov_b32_e32 v3, v2
	ds_write_b64 v0, v[2:3]
                                        ; implicit-def: $vgpr0
.LBB116_8:
	s_andn2_saveexec_b64 s[8:9], s[8:9]
	s_cbranch_execz .LBB116_10
; %bb.9:
	global_load_dwordx2 v[2:3], v[14:15], off
	s_waitcnt vmcnt(0)
	ds_write_b64 v0, v[2:3]
.LBB116_10:
	s_or_b64 exec, exec, s[2:3]
	s_mul_i32 s2, s7, s23
	s_mul_hi_u32 s3, s7, s22
	s_add_i32 s3, s3, s2
	s_mul_i32 s2, s7, s22
	s_lshl_b64 s[2:3], s[2:3], 3
	s_add_u32 s8, s16, s2
	s_addc_u32 s9, s17, s3
	s_lshl_b64 s[2:3], s[18:19], 3
	s_add_u32 s8, s8, s2
	s_addc_u32 s9, s9, s3
	s_ashr_i32 s27, s26, 31
	v_lshl_add_u32 v22, v120, 6, v65
	s_lshl_b64 s[2:3], s[26:27], 3
	v_and_b32_e32 v0, 31, v65
	v_lshrrev_b32_e32 v10, 5, v22
	s_add_u32 s8, s8, s2
	v_mov_b32_e32 v1, 0
	s_addc_u32 s9, s9, s3
	v_mad_u64_u32 v[2:3], s[2:3], v10, s20, v[0:1]
	v_mov_b32_e32 v4, v3
	v_mad_u64_u32 v[4:5], s[2:3], v10, s21, v[4:5]
	s_mul_i32 s2, s26, s21
	s_mul_hi_u32 s3, s26, s20
	s_add_i32 s2, s3, s2
	s_mul_i32 s3, s27, s20
	s_add_i32 s3, s2, s3
	s_mul_i32 s2, s26, s20
	s_lshl_b64 s[2:3], s[2:3], 3
	s_add_u32 s2, s2, s8
	v_mov_b32_e32 v3, v4
	s_addc_u32 s3, s3, s9
	v_lshlrev_b64 v[12:13], 3, v[2:3]
	s_cmp_eq_u32 s24, 0
	v_mov_b32_e32 v3, s3
	v_add_co_u32_e32 v2, vcc, s2, v12
	s_cselect_b64 s[18:19], -1, 0
	s_cmp_lg_u32 s24, 0
	v_addc_co_u32_e32 v3, vcc, v3, v13, vcc
	s_cselect_b64 s[22:23], -1, 0
	s_and_b64 vcc, exec, s[22:23]
	v_cmp_gt_i32_e64 s[2:3], s24, v0
	v_lshlrev_b32_e32 v11, 3, v0
	s_mul_i32 s39, s21, 0xc0
	s_cbranch_vccz .LBB116_26
; %bb.11:
	v_sub_co_u32_e32 v4, vcc, v2, v11
	s_ashr_i32 s25, s24, 31
	v_subbrev_co_u32_e32 v5, vcc, 0, v3, vcc
	s_lshl_b64 s[8:9], s[24:25], 3
	v_mov_b32_e32 v6, s9
	v_add_co_u32_e32 v4, vcc, s8, v4
	v_addc_co_u32_e32 v5, vcc, v5, v6, vcc
	v_add_co_u32_e32 v4, vcc, -8, v4
	v_addc_co_u32_e32 v5, vcc, -1, v5, vcc
	v_cndmask_b32_e64 v5, v5, v3, s[2:3]
	v_cndmask_b32_e64 v4, v4, v2, s[2:3]
	v_cmp_gt_i32_e32 vcc, s24, v10
	v_mov_b32_e32 v7, 0
	s_and_saveexec_b64 s[10:11], vcc
	s_cbranch_execz .LBB116_13
; %bb.12:
	global_load_dwordx2 v[6:7], v[4:5], off
	s_waitcnt vmcnt(0)
	v_mov_b32_e32 v1, v6
.LBB116_13:
	s_or_b64 exec, exec, s[10:11]
	v_mul_u32_u24_e32 v6, 33, v10
	v_add_lshl_u32 v8, v6, v0, 3
	v_mov_b32_e32 v6, v1
	v_add_u32_e32 v1, 8, v10
	v_cmp_le_i32_e32 vcc, s24, v1
	ds_write_b64 v8, v[6:7]
	s_and_saveexec_b64 s[10:11], vcc
	s_xor_b64 s[10:11], exec, s[10:11]
	s_cbranch_execz .LBB116_15
; %bb.14:
	v_mul_u32_u24_e32 v1, 33, v1
	v_mov_b32_e32 v6, 0
	v_add_lshl_u32 v1, v1, v0, 3
	v_mov_b32_e32 v7, v6
	ds_write_b64 v1, v[6:7]
.LBB116_15:
	s_andn2_saveexec_b64 s[10:11], s[10:11]
	s_cbranch_execz .LBB116_17
; %bb.16:
	s_lshl_b64 s[12:13], s[20:21], 6
	v_mov_b32_e32 v1, s13
	v_add_co_u32_e32 v6, vcc, s12, v4
	v_addc_co_u32_e32 v7, vcc, v5, v1, vcc
	global_load_dwordx2 v[6:7], v[6:7], off
	s_waitcnt vmcnt(0)
	ds_write_b64 v8, v[6:7] offset:2112
.LBB116_17:
	s_or_b64 exec, exec, s[10:11]
	v_add_u32_e32 v1, 16, v10
	v_cmp_le_i32_e32 vcc, s24, v1
	s_and_saveexec_b64 s[10:11], vcc
	s_xor_b64 s[10:11], exec, s[10:11]
	s_cbranch_execz .LBB116_19
; %bb.18:
	v_mov_b32_e32 v6, 0
	v_mov_b32_e32 v7, v6
	ds_write_b64 v8, v[6:7] offset:4224
.LBB116_19:
	s_andn2_saveexec_b64 s[10:11], s[10:11]
	s_cbranch_execz .LBB116_21
; %bb.20:
	s_lshl_b64 s[12:13], s[20:21], 7
	v_mov_b32_e32 v1, s13
	v_add_co_u32_e32 v6, vcc, s12, v4
	v_addc_co_u32_e32 v7, vcc, v5, v1, vcc
	global_load_dwordx2 v[6:7], v[6:7], off
	s_waitcnt vmcnt(0)
	ds_write_b64 v8, v[6:7] offset:4224
.LBB116_21:
	s_or_b64 exec, exec, s[10:11]
	v_add_u32_e32 v1, 24, v10
	v_cmp_le_i32_e32 vcc, s24, v1
	s_and_saveexec_b64 s[10:11], vcc
	s_xor_b64 s[10:11], exec, s[10:11]
	s_cbranch_execz .LBB116_23
; %bb.22:
	v_mov_b32_e32 v6, 0
	v_mov_b32_e32 v7, v6
	ds_write_b64 v8, v[6:7] offset:6336
                                        ; implicit-def: $vgpr8
.LBB116_23:
	s_andn2_saveexec_b64 s[10:11], s[10:11]
	s_cbranch_execz .LBB116_25
; %bb.24:
	v_mov_b32_e32 v1, 0xc0
	v_mad_u64_u32 v[6:7], s[12:13], s20, v1, v[4:5]
	v_add_u32_e32 v7, s39, v7
	global_load_dwordx2 v[6:7], v[6:7], off
	s_waitcnt vmcnt(0)
	ds_write_b64 v8, v[6:7] offset:6336
.LBB116_25:
	s_or_b64 exec, exec, s[10:11]
	v_add_co_u32_e32 v1, vcc, v4, v11
	v_addc_co_u32_e32 v4, vcc, 0, v5, vcc
	v_mov_b32_e32 v5, s9
	v_subrev_co_u32_e32 v1, vcc, s8, v1
	v_subb_co_u32_e32 v4, vcc, v4, v5, vcc
	v_add_co_u32_e32 v1, vcc, 8, v1
	v_addc_co_u32_e32 v4, vcc, 0, v4, vcc
	v_cndmask_b32_e64 v5, v4, v3, s[2:3]
	v_cndmask_b32_e64 v4, v1, v2, s[2:3]
	v_mul_u32_u24_e32 v1, 33, v10
	s_branch .LBB116_28
.LBB116_26:
                                        ; implicit-def: $vgpr4_vgpr5
	v_mul_u32_u24_e32 v1, 33, v10
	s_cbranch_execz .LBB116_28
; %bb.27:
	s_lshl_b64 s[2:3], s[20:21], 6
	v_mov_b32_e32 v16, s3
	v_add_co_u32_e32 v4, vcc, s2, v2
	v_addc_co_u32_e32 v5, vcc, v3, v16, vcc
	global_load_dwordx2 v[6:7], v[2:3], off
	global_load_dwordx2 v[8:9], v[4:5], off
	v_add_co_u32_e32 v4, vcc, s2, v4
	v_addc_co_u32_e32 v5, vcc, v5, v16, vcc
	v_mov_b32_e32 v16, 0xc0
	v_mad_u64_u32 v[16:17], s[2:3], s20, v16, v[2:3]
	v_add_u32_e32 v17, s39, v17
	global_load_dwordx2 v[18:19], v[16:17], off
	global_load_dwordx2 v[20:21], v[4:5], off
	v_add_lshl_u32 v4, v1, v0, 3
	s_waitcnt vmcnt(3)
	ds_write_b64 v4, v[6:7]
	s_waitcnt vmcnt(2)
	ds_write_b64 v4, v[8:9] offset:2112
	s_waitcnt vmcnt(1)
	ds_write_b64 v4, v[18:19] offset:6336
	;; [unrolled: 2-line block ×3, first 2 shown]
	v_pk_mov_b32 v[4:5], v[2:3], v[2:3] op_sel:[0,1]
.LBB116_28:
	v_lshlrev_b32_e32 v2, 2, v10
	v_mul_u32_u24_e32 v18, 33, v0
	v_cmp_gt_u32_e64 s[16:17], v2, v0
	v_add_lshl_u32 v16, v2, v18, 3
	s_waitcnt lgkmcnt(0)
	s_barrier
	s_and_saveexec_b64 s[2:3], s[16:17]
	s_cbranch_execz .LBB116_30
; %bb.29:
	v_mul_u32_u24_e32 v3, 0x84, v10
	v_add_lshl_u32 v3, v3, v0, 3
	ds_read_b64 v[6:7], v3
	s_waitcnt lgkmcnt(0)
	ds_write_b64 v16, v[6:7]
.LBB116_30:
	s_or_b64 exec, exec, s[2:3]
	v_cmp_ge_u32_e64 s[8:9], v2, v0
	s_and_saveexec_b64 s[2:3], s[8:9]
	s_cbranch_execz .LBB116_32
; %bb.31:
	v_or_b32_e32 v3, 1, v2
	v_mul_u32_u24_e32 v3, 33, v3
	v_add_lshl_u32 v3, v3, v0, 3
	ds_read_b64 v[6:7], v3
	s_waitcnt lgkmcnt(0)
	ds_write_b64 v16, v[6:7] offset:8
.LBB116_32:
	s_or_b64 exec, exec, s[2:3]
	v_or_b32_e32 v3, 2, v2
	v_cmp_gt_u32_e64 s[10:11], v3, v0
	s_and_saveexec_b64 s[2:3], s[10:11]
	s_cbranch_execz .LBB116_34
; %bb.33:
	v_mul_u32_u24_e32 v3, 33, v3
	v_add_lshl_u32 v3, v3, v0, 3
	ds_read_b64 v[6:7], v3
	s_waitcnt lgkmcnt(0)
	ds_write_b64 v16, v[6:7] offset:16
.LBB116_34:
	s_or_b64 exec, exec, s[2:3]
	v_or_b32_e32 v3, 3, v2
	v_cmp_gt_u32_e64 s[12:13], v3, v0
	v_mad_u32_u24 v3, v3, 33, v0
	v_lshlrev_b32_e32 v19, 3, v3
	s_and_saveexec_b64 s[2:3], s[12:13]
	s_cbranch_execz .LBB116_36
; %bb.35:
	ds_read_b64 v[6:7], v19
	s_waitcnt lgkmcnt(0)
	ds_write_b64 v16, v[6:7] offset:24
.LBB116_36:
	s_or_b64 exec, exec, s[2:3]
	v_mul_u32_u24_e32 v3, 0x84, v10
	v_add_lshl_u32 v20, v3, v0, 3
	s_waitcnt lgkmcnt(0)
	s_barrier
	v_lshlrev_b32_e32 v17, 3, v2
	v_add_u32_e32 v21, 0xfffffdf0, v19
	ds_read_b64 v[2:3], v20
	ds_read_b128 v[6:9], v17 offset:9088
	ds_read2_b64 v[24:27], v21 offset1:33
	ds_read_b64 v[34:35], v19
	ds_read_b128 v[30:33], v17 offset:9104
	s_mov_b32 s14, 0
	s_mov_b32 s15, s14
	s_waitcnt lgkmcnt(3)
	v_pk_mul_f32 v[36:37], v[6:7], v[2:3] op_sel:[0,1]
	v_pk_fma_f32 v[38:39], v[6:7], v[2:3], v[36:37] op_sel:[0,0,1] op_sel_hi:[1,1,0] neg_lo:[0,0,1] neg_hi:[0,0,1]
	v_pk_fma_f32 v[2:3], v[6:7], v[2:3], v[36:37] op_sel:[0,0,1] op_sel_hi:[1,0,0]
	s_waitcnt lgkmcnt(2)
	v_pk_mul_f32 v[6:7], v[8:9], v[24:25] op_sel:[0,1]
	v_pk_fma_f32 v[36:37], v[8:9], v[24:25], v[6:7] op_sel:[0,0,1] op_sel_hi:[1,1,0] neg_lo:[0,0,1] neg_hi:[0,0,1]
	v_pk_fma_f32 v[6:7], v[8:9], v[24:25], v[6:7] op_sel:[0,0,1] op_sel_hi:[1,0,0]
	v_mov_b32_e32 v39, v3
	v_mov_b32_e32 v37, v7
	s_waitcnt lgkmcnt(0)
	v_pk_mul_f32 v[6:7], v[30:31], v[26:27] op_sel:[0,1]
	v_pk_add_f32 v[2:3], v[38:39], 0 op_sel_hi:[1,0]
	v_pk_fma_f32 v[8:9], v[30:31], v[26:27], v[6:7] op_sel:[0,0,1] op_sel_hi:[1,1,0] neg_lo:[0,0,1] neg_hi:[0,0,1]
	v_pk_fma_f32 v[6:7], v[30:31], v[26:27], v[6:7] op_sel:[0,0,1] op_sel_hi:[1,0,0]
	v_pk_add_f32 v[2:3], v[2:3], v[36:37]
	v_mov_b32_e32 v9, v7
	v_pk_mul_f32 v[6:7], v[32:33], v[34:35] op_sel:[0,1]
	v_pk_add_f32 v[2:3], v[2:3], v[8:9]
	v_pk_fma_f32 v[8:9], v[32:33], v[34:35], v[6:7] op_sel:[0,0,1] op_sel_hi:[1,1,0] neg_lo:[0,0,1] neg_hi:[0,0,1]
	v_pk_fma_f32 v[6:7], v[32:33], v[34:35], v[6:7] op_sel:[0,0,1] op_sel_hi:[1,0,0]
	v_mov_b32_e32 v9, v7
	v_add_lshl_u32 v23, v10, v18, 3
	v_pk_add_f32 v[2:3], v[2:3], v[8:9]
	v_cmp_gt_u32_e64 s[2:3], 32, v22
	v_pk_mov_b32 v[30:31], s[14:15], s[14:15] op_sel:[0,1]
	v_lshlrev_b32_e32 v24, 3, v18
	s_barrier
	ds_write_b64 v23, v[2:3]
	s_waitcnt lgkmcnt(0)
	s_barrier
	s_and_saveexec_b64 s[14:15], s[2:3]
	s_cbranch_execz .LBB116_38
; %bb.37:
	ds_read2_b64 v[6:9], v24 offset1:7
	ds_read2_b64 v[30:33], v24 offset0:1 offset1:2
	ds_read2_b64 v[34:37], v24 offset0:3 offset1:4
	s_waitcnt lgkmcnt(1)
	v_add_f32_e32 v2, v30, v6
	v_add_f32_e32 v3, v31, v7
	;; [unrolled: 1-line block ×4, first 2 shown]
	ds_read2_b64 v[30:33], v24 offset0:5 offset1:6
	s_waitcnt lgkmcnt(1)
	v_add_f32_e32 v2, v2, v34
	v_add_f32_e32 v3, v3, v35
	;; [unrolled: 1-line block ×4, first 2 shown]
	s_waitcnt lgkmcnt(0)
	v_add_f32_e32 v2, v2, v30
	v_add_f32_e32 v3, v3, v31
	;; [unrolled: 1-line block ×4, first 2 shown]
	v_pk_add_f32 v[30:31], v[2:3], v[8:9]
.LBB116_38:
	s_or_b64 exec, exec, s[14:15]
	s_lshl_b64 s[14:15], s[20:21], 8
	v_mov_b32_e32 v2, s15
	v_add_co_u32_e32 v6, vcc, s14, v4
	v_addc_co_u32_e32 v7, vcc, v5, v2, vcc
	v_add_co_u32_e32 v4, vcc, 0x100, v6
	v_addc_co_u32_e32 v5, vcc, 0, v7, vcc
	s_and_b64 vcc, exec, s[22:23]
	s_barrier
	s_cbranch_vccz .LBB116_54
; %bb.39:
	v_sub_co_u32_e32 v3, vcc, v4, v11
	s_ashr_i32 s25, s24, 31
	v_subbrev_co_u32_e32 v8, vcc, 0, v5, vcc
	s_lshl_b64 s[30:31], s[24:25], 3
	v_mov_b32_e32 v9, s31
	v_add_co_u32_e32 v3, vcc, s30, v3
	v_addc_co_u32_e32 v8, vcc, v8, v9, vcc
	v_or_b32_e32 v2, 32, v0
	v_add_co_u32_e32 v9, vcc, 0xfffffef8, v3
	v_addc_co_u32_e32 v3, vcc, -1, v8, vcc
	v_cmp_gt_i32_e64 s[14:15], s24, v2
	s_sub_i32 s25, s24, 32
	v_mov_b32_e32 v8, 0
	v_cndmask_b32_e64 v3, v3, v5, s[14:15]
	v_cndmask_b32_e64 v2, v9, v4, s[14:15]
	v_cmp_gt_i32_e32 vcc, s25, v10
	v_mov_b32_e32 v9, v8
	s_and_saveexec_b64 s[34:35], vcc
	s_cbranch_execz .LBB116_41
; %bb.40:
	global_load_dwordx2 v[8:9], v[2:3], off
.LBB116_41:
	s_or_b64 exec, exec, s[34:35]
	v_add_lshl_u32 v25, v1, v0, 3
	s_waitcnt vmcnt(0)
	ds_write_b64 v25, v[8:9]
	v_add_u32_e32 v8, 8, v10
	v_cmp_le_i32_e32 vcc, s25, v8
	s_and_saveexec_b64 s[34:35], vcc
	s_xor_b64 s[34:35], exec, s[34:35]
	s_cbranch_execz .LBB116_43
; %bb.42:
	v_mul_u32_u24_e32 v8, 33, v8
	v_add_lshl_u32 v26, v8, v0, 3
	v_mov_b32_e32 v8, 0
	v_mov_b32_e32 v9, v8
	ds_write_b64 v26, v[8:9]
.LBB116_43:
	s_andn2_saveexec_b64 s[34:35], s[34:35]
	s_cbranch_execz .LBB116_45
; %bb.44:
	s_lshl_b64 s[40:41], s[20:21], 6
	v_mov_b32_e32 v9, s41
	v_add_co_u32_e32 v8, vcc, s40, v2
	v_addc_co_u32_e32 v9, vcc, v3, v9, vcc
	global_load_dwordx2 v[8:9], v[8:9], off
	s_waitcnt vmcnt(0)
	ds_write_b64 v25, v[8:9] offset:2112
.LBB116_45:
	s_or_b64 exec, exec, s[34:35]
	v_add_u32_e32 v8, 16, v10
	v_cmp_le_i32_e32 vcc, s25, v8
	s_and_saveexec_b64 s[34:35], vcc
	s_xor_b64 s[34:35], exec, s[34:35]
	s_cbranch_execz .LBB116_47
; %bb.46:
	v_mov_b32_e32 v8, 0
	v_mov_b32_e32 v9, v8
	ds_write_b64 v25, v[8:9] offset:4224
.LBB116_47:
	s_andn2_saveexec_b64 s[34:35], s[34:35]
	s_cbranch_execz .LBB116_49
; %bb.48:
	s_lshl_b64 s[40:41], s[20:21], 7
	v_mov_b32_e32 v9, s41
	v_add_co_u32_e32 v8, vcc, s40, v2
	v_addc_co_u32_e32 v9, vcc, v3, v9, vcc
	global_load_dwordx2 v[8:9], v[8:9], off
	s_waitcnt vmcnt(0)
	ds_write_b64 v25, v[8:9] offset:4224
.LBB116_49:
	s_or_b64 exec, exec, s[34:35]
	v_add_u32_e32 v8, 24, v10
	v_cmp_le_i32_e32 vcc, s25, v8
	s_and_saveexec_b64 s[34:35], vcc
	s_xor_b64 s[34:35], exec, s[34:35]
	s_cbranch_execz .LBB116_51
; %bb.50:
	v_mov_b32_e32 v8, 0
	v_mov_b32_e32 v9, v8
	ds_write_b64 v25, v[8:9] offset:6336
                                        ; implicit-def: $vgpr25
.LBB116_51:
	s_andn2_saveexec_b64 s[34:35], s[34:35]
	s_cbranch_execz .LBB116_53
; %bb.52:
	v_mov_b32_e32 v8, 0xc0
	v_mad_u64_u32 v[8:9], s[40:41], s20, v8, v[2:3]
	v_add_u32_e32 v9, s39, v9
	global_load_dwordx2 v[8:9], v[8:9], off
	s_waitcnt vmcnt(0)
	ds_write_b64 v25, v[8:9] offset:6336
.LBB116_53:
	s_or_b64 exec, exec, s[34:35]
	v_add_co_u32_e32 v2, vcc, v2, v11
	v_addc_co_u32_e32 v3, vcc, 0, v3, vcc
	v_mov_b32_e32 v8, s31
	v_subrev_co_u32_e32 v2, vcc, s30, v2
	v_subb_co_u32_e32 v3, vcc, v3, v8, vcc
	v_add_co_u32_e32 v2, vcc, 0x108, v2
	v_addc_co_u32_e32 v3, vcc, 0, v3, vcc
	v_cndmask_b32_e64 v3, v3, v5, s[14:15]
	v_cndmask_b32_e64 v2, v2, v4, s[14:15]
	s_branch .LBB116_56
.LBB116_54:
                                        ; implicit-def: $vgpr2_vgpr3
	s_cbranch_execz .LBB116_56
; %bb.55:
	s_lshl_b64 s[14:15], s[20:21], 6
	v_mov_b32_e32 v9, s15
	v_add_co_u32_e32 v2, vcc, s14, v6
	v_addc_co_u32_e32 v3, vcc, v7, v9, vcc
	v_mov_b32_e32 v25, 0xc0
	v_add_co_u32_e32 v8, vcc, s14, v2
	v_mad_u64_u32 v[26:27], s[14:15], s20, v25, v[6:7]
	v_addc_co_u32_e32 v9, vcc, v3, v9, vcc
	v_add_u32_e32 v27, s39, v27
	global_load_dwordx2 v[32:33], v[6:7], off offset:256
	global_load_dwordx2 v[34:35], v[2:3], off offset:256
	;; [unrolled: 1-line block ×4, first 2 shown]
	v_add_lshl_u32 v2, v1, v0, 3
	s_waitcnt vmcnt(3)
	ds_write_b64 v2, v[32:33]
	s_waitcnt vmcnt(2)
	ds_write_b64 v2, v[34:35] offset:2112
	s_waitcnt vmcnt(1)
	ds_write_b64 v2, v[36:37] offset:4224
	;; [unrolled: 2-line block ×3, first 2 shown]
	v_pk_mov_b32 v[2:3], v[4:5], v[4:5] op_sel:[0,1]
.LBB116_56:
	s_waitcnt lgkmcnt(0)
	s_barrier
	s_and_saveexec_b64 s[14:15], s[16:17]
	s_cbranch_execnz .LBB116_79
; %bb.57:
	s_or_b64 exec, exec, s[14:15]
	s_and_saveexec_b64 s[14:15], s[8:9]
	s_cbranch_execnz .LBB116_80
.LBB116_58:
	s_or_b64 exec, exec, s[14:15]
	s_and_saveexec_b64 s[8:9], s[10:11]
	s_cbranch_execnz .LBB116_81
.LBB116_59:
	s_or_b64 exec, exec, s[8:9]
	v_add_u32_e32 v25, 0x2380, v17
	s_and_saveexec_b64 s[8:9], s[12:13]
	s_cbranch_execz .LBB116_61
.LBB116_60:
	ds_read_b64 v[4:5], v19
	s_waitcnt lgkmcnt(0)
	ds_write_b64 v16, v[4:5] offset:24
.LBB116_61:
	s_or_b64 exec, exec, s[8:9]
	s_waitcnt lgkmcnt(0)
	s_barrier
	ds_read_b64 v[8:9], v20
	ds_read_b128 v[4:7], v25 offset:256
	ds_read2_b64 v[32:35], v21 offset1:33
	ds_read_b64 v[16:17], v19
	ds_read_b128 v[36:39], v25 offset:272
	v_cmp_eq_u32_e64 s[8:9], 1, v10
	s_waitcnt lgkmcnt(3)
	v_pk_mul_f32 v[26:27], v[4:5], v[8:9] op_sel:[0,1]
	v_pk_fma_f32 v[40:41], v[4:5], v[8:9], v[26:27] op_sel:[0,0,1] op_sel_hi:[1,1,0] neg_lo:[0,0,1] neg_hi:[0,0,1]
	v_pk_fma_f32 v[4:5], v[4:5], v[8:9], v[26:27] op_sel:[0,0,1] op_sel_hi:[1,0,0]
	s_waitcnt lgkmcnt(2)
	v_pk_mul_f32 v[8:9], v[6:7], v[32:33] op_sel:[0,1]
	v_pk_fma_f32 v[26:27], v[6:7], v[32:33], v[8:9] op_sel:[0,0,1] op_sel_hi:[1,1,0] neg_lo:[0,0,1] neg_hi:[0,0,1]
	v_pk_fma_f32 v[6:7], v[6:7], v[32:33], v[8:9] op_sel:[0,0,1] op_sel_hi:[1,0,0]
	v_mov_b32_e32 v41, v5
	v_mov_b32_e32 v27, v7
	s_waitcnt lgkmcnt(0)
	v_pk_mul_f32 v[6:7], v[36:37], v[34:35] op_sel:[0,1]
	v_pk_add_f32 v[4:5], v[40:41], 0 op_sel_hi:[1,0]
	v_pk_fma_f32 v[8:9], v[36:37], v[34:35], v[6:7] op_sel:[0,0,1] op_sel_hi:[1,1,0] neg_lo:[0,0,1] neg_hi:[0,0,1]
	v_pk_fma_f32 v[6:7], v[36:37], v[34:35], v[6:7] op_sel:[0,0,1] op_sel_hi:[1,0,0]
	v_pk_add_f32 v[4:5], v[4:5], v[26:27]
	v_mov_b32_e32 v9, v7
	v_pk_mul_f32 v[6:7], v[38:39], v[16:17] op_sel:[0,1]
	v_pk_add_f32 v[4:5], v[4:5], v[8:9]
	v_pk_fma_f32 v[8:9], v[38:39], v[16:17], v[6:7] op_sel:[0,0,1] op_sel_hi:[1,1,0] neg_lo:[0,0,1] neg_hi:[0,0,1]
	v_pk_fma_f32 v[6:7], v[38:39], v[16:17], v[6:7] op_sel:[0,0,1] op_sel_hi:[1,0,0]
	v_mov_b32_e32 v9, v7
	v_pk_add_f32 v[4:5], v[4:5], v[8:9]
	s_barrier
	ds_write_b64 v23, v[4:5]
	s_waitcnt lgkmcnt(0)
	s_barrier
	s_and_saveexec_b64 s[10:11], s[8:9]
	s_cbranch_execz .LBB116_63
; %bb.62:
	ds_read2_b64 v[4:7], v24 offset1:7
	ds_read2_b64 v[30:33], v24 offset0:1 offset1:2
	ds_read2_b64 v[34:37], v24 offset0:3 offset1:4
	s_waitcnt lgkmcnt(1)
	v_add_f32_e32 v4, v30, v4
	v_add_f32_e32 v5, v31, v5
	v_add_f32_e32 v4, v4, v32
	v_add_f32_e32 v5, v5, v33
	ds_read2_b64 v[30:33], v24 offset0:5 offset1:6
	s_waitcnt lgkmcnt(1)
	v_add_f32_e32 v4, v4, v34
	v_add_f32_e32 v5, v5, v35
	;; [unrolled: 1-line block ×4, first 2 shown]
	s_waitcnt lgkmcnt(0)
	v_add_f32_e32 v4, v4, v30
	v_add_f32_e32 v5, v5, v31
	v_pk_add_f32 v[4:5], v[4:5], v[32:33]
	v_pk_add_f32 v[30:31], v[4:5], v[6:7]
.LBB116_63:
	s_or_b64 exec, exec, s[10:11]
	v_add_co_u32_e32 v4, vcc, 0xffffff00, v2
	v_addc_co_u32_e32 v5, vcc, -1, v3, vcc
	s_and_b64 vcc, exec, s[22:23]
	s_barrier
	s_cbranch_vccz .LBB116_82
; %bb.64:
	v_sub_co_u32_e32 v6, vcc, v2, v11
	s_ashr_i32 s25, s24, 31
	v_subbrev_co_u32_e32 v7, vcc, 0, v3, vcc
	s_lshl_b64 s[12:13], s[24:25], 3
	v_mov_b32_e32 v8, s13
	v_add_co_u32_e32 v6, vcc, s12, v6
	v_addc_co_u32_e32 v7, vcc, v7, v8, vcc
	v_add_co_u32_e32 v6, vcc, 0xfffffef8, v6
	v_addc_co_u32_e32 v7, vcc, -1, v7, vcc
	v_cmp_gt_i32_e32 vcc, s24, v0
	s_sub_i32 s16, s24, 32
	v_mov_b32_e32 v8, 0
	v_cndmask_b32_e32 v7, v7, v5, vcc
	v_cndmask_b32_e32 v6, v6, v4, vcc
	v_cmp_gt_i32_e64 s[10:11], s16, v10
	v_mov_b32_e32 v9, v8
	s_and_saveexec_b64 s[14:15], s[10:11]
	s_cbranch_execz .LBB116_66
; %bb.65:
	global_load_dwordx2 v[8:9], v[6:7], off
.LBB116_66:
	s_or_b64 exec, exec, s[14:15]
	v_add_lshl_u32 v16, v1, v0, 3
	s_waitcnt vmcnt(0)
	ds_write_b64 v16, v[8:9]
	v_add_u32_e32 v8, 8, v10
	v_cmp_le_i32_e64 s[10:11], s16, v8
	s_and_saveexec_b64 s[14:15], s[10:11]
	s_xor_b64 s[10:11], exec, s[14:15]
	s_cbranch_execz .LBB116_68
; %bb.67:
	v_mul_u32_u24_e32 v9, 33, v8
	v_mov_b32_e32 v26, 0
	v_add_lshl_u32 v9, v9, v0, 3
	v_mov_b32_e32 v27, v26
	ds_write_b64 v9, v[26:27]
.LBB116_68:
	s_andn2_saveexec_b64 s[14:15], s[10:11]
	s_cbranch_execz .LBB116_70
; %bb.69:
	s_lshl_b64 s[10:11], s[20:21], 6
	v_mov_b32_e32 v9, s11
	v_add_co_u32_e64 v26, s[10:11], s10, v6
	v_addc_co_u32_e64 v27, s[10:11], v7, v9, s[10:11]
	global_load_dwordx2 v[26:27], v[26:27], off
	s_waitcnt vmcnt(0)
	ds_write_b64 v16, v[26:27] offset:2112
.LBB116_70:
	s_or_b64 exec, exec, s[14:15]
	v_add_u32_e32 v9, 16, v10
	v_cmp_le_i32_e64 s[10:11], s16, v9
	s_and_saveexec_b64 s[14:15], s[10:11]
	s_xor_b64 s[10:11], exec, s[14:15]
	s_cbranch_execz .LBB116_72
; %bb.71:
	v_mov_b32_e32 v26, 0
	v_mov_b32_e32 v27, v26
	ds_write_b64 v16, v[26:27] offset:4224
.LBB116_72:
	s_andn2_saveexec_b64 s[14:15], s[10:11]
	s_cbranch_execz .LBB116_74
; %bb.73:
	s_lshl_b64 s[10:11], s[20:21], 7
	v_mov_b32_e32 v17, s11
	v_add_co_u32_e64 v26, s[10:11], s10, v6
	v_addc_co_u32_e64 v27, s[10:11], v7, v17, s[10:11]
	global_load_dwordx2 v[26:27], v[26:27], off
	s_waitcnt vmcnt(0)
	ds_write_b64 v16, v[26:27] offset:4224
.LBB116_74:
	s_or_b64 exec, exec, s[14:15]
	v_add_u32_e32 v26, 24, v10
	v_cmp_le_i32_e64 s[10:11], s16, v26
	s_and_saveexec_b64 s[14:15], s[10:11]
	s_xor_b64 s[10:11], exec, s[14:15]
	s_cbranch_execz .LBB116_76
; %bb.75:
	v_mov_b32_e32 v32, 0
	v_mov_b32_e32 v33, v32
	ds_write_b64 v16, v[32:33] offset:6336
                                        ; implicit-def: $vgpr16
.LBB116_76:
	s_andn2_saveexec_b64 s[10:11], s[10:11]
	s_cbranch_execz .LBB116_78
; %bb.77:
	v_mov_b32_e32 v17, 0xc0
	v_mad_u64_u32 v[32:33], s[14:15], s20, v17, v[6:7]
	v_add_u32_e32 v33, s39, v33
	global_load_dwordx2 v[32:33], v[32:33], off
	s_waitcnt vmcnt(0)
	ds_write_b64 v16, v[32:33] offset:6336
.LBB116_78:
	s_or_b64 exec, exec, s[10:11]
	v_add_co_u32_e64 v6, s[10:11], v6, v11
	v_addc_co_u32_e64 v7, s[10:11], 0, v7, s[10:11]
	v_mov_b32_e32 v11, s13
	v_subrev_co_u32_e64 v6, s[10:11], s12, v6
	v_subb_co_u32_e64 v7, s[10:11], v7, v11, s[10:11]
	v_add_co_u32_e64 v6, s[10:11], 8, v6
	v_addc_co_u32_e64 v7, s[10:11], 0, v7, s[10:11]
	v_cndmask_b32_e32 v17, v7, v5, vcc
	v_cndmask_b32_e32 v16, v6, v4, vcc
	s_branch .LBB116_84
.LBB116_79:
	ds_read_b64 v[4:5], v20
	s_waitcnt lgkmcnt(0)
	ds_write_b64 v16, v[4:5]
	s_or_b64 exec, exec, s[14:15]
	s_and_saveexec_b64 s[14:15], s[8:9]
	s_cbranch_execz .LBB116_58
.LBB116_80:
	ds_read_b64 v[4:5], v21
	s_waitcnt lgkmcnt(0)
	ds_write_b64 v16, v[4:5] offset:8
	s_or_b64 exec, exec, s[14:15]
	s_and_saveexec_b64 s[8:9], s[10:11]
	s_cbranch_execz .LBB116_59
.LBB116_81:
	ds_read_b64 v[4:5], v21 offset:264
	s_waitcnt lgkmcnt(0)
	ds_write_b64 v16, v[4:5] offset:16
	s_or_b64 exec, exec, s[8:9]
	v_add_u32_e32 v25, 0x2380, v17
	s_and_saveexec_b64 s[8:9], s[12:13]
	s_cbranch_execnz .LBB116_60
	s_branch .LBB116_61
.LBB116_82:
                                        ; implicit-def: $vgpr16_vgpr17
                                        ; implicit-def: $vgpr8
                                        ; implicit-def: $vgpr9
                                        ; implicit-def: $vgpr26
	s_cbranch_execz .LBB116_84
; %bb.83:
	s_lshl_b64 s[10:11], s[20:21], 6
	v_mov_b32_e32 v9, s11
	v_add_co_u32_e32 v6, vcc, s10, v2
	v_addc_co_u32_e32 v7, vcc, v3, v9, vcc
	v_add_co_u32_e32 v8, vcc, s10, v6
	v_addc_co_u32_e32 v9, vcc, v7, v9, vcc
	global_load_dwordx2 v[16:17], v[6:7], off offset:-256
	global_load_dwordx2 v[32:33], v[8:9], off offset:-256
	v_mov_b32_e32 v8, 0xc0
	global_load_dwordx2 v[6:7], v[2:3], off offset:-256
	v_mad_u64_u32 v[2:3], s[10:11], s20, v8, v[2:3]
	v_add_u32_e32 v3, s39, v3
	global_load_dwordx2 v[2:3], v[2:3], off offset:-256
	v_add_lshl_u32 v0, v1, v0, 3
	v_add_u32_e32 v8, 8, v10
	v_add_u32_e32 v9, 16, v10
	v_add_u32_e32 v26, 24, v10
	s_waitcnt vmcnt(1)
	ds_write_b64 v0, v[6:7]
	ds_write_b64 v0, v[16:17] offset:2112
	ds_write_b64 v0, v[32:33] offset:4224
	s_waitcnt vmcnt(0)
	ds_write_b64 v0, v[2:3] offset:6336
	v_pk_mov_b32 v[16:17], v[4:5], v[4:5] op_sel:[0,1]
.LBB116_84:
	v_lshlrev_b32_e32 v38, 3, v10
	v_add_lshl_u32 v36, v8, v18, 3
	v_lshlrev_b32_e32 v34, 3, v8
	v_add_lshl_u32 v32, v9, v18, 3
	;; [unrolled: 2-line block ×3, first 2 shown]
	v_lshlrev_b32_e32 v40, 3, v26
	s_waitcnt lgkmcnt(0)
	s_barrier
	ds_read2_b64 v[4:7], v21 offset1:33
	ds_read_b64 v[20:21], v20
	ds_read_b128 v[8:11], v25 offset:256
	ds_read_b64 v[26:27], v23
	ds_read_b128 v[0:3], v25 offset:272
	ds_read_b64 v[32:33], v32
	ds_read_b64 v[34:35], v34 offset:9088
	ds_read_b64 v[36:37], v36
	ds_read_b64 v[38:39], v38 offset:9088
	;; [unrolled: 2-line block ×4, first 2 shown]
	s_waitcnt lgkmcnt(4)
	v_pk_mul_f32 v[46:47], v[38:39], v[26:27] op_sel:[0,1]
	v_pk_fma_f32 v[48:49], v[38:39], v[26:27], v[46:47] op_sel:[0,0,1] op_sel_hi:[1,1,0] neg_lo:[0,0,1] neg_hi:[0,0,1]
	v_pk_fma_f32 v[26:27], v[38:39], v[26:27], v[46:47] op_sel:[0,0,1] op_sel_hi:[1,0,0]
	v_pk_mul_f32 v[38:39], v[34:35], v[36:37] op_sel:[0,1]
	v_pk_fma_f32 v[46:47], v[34:35], v[36:37], v[38:39] op_sel:[0,0,1] op_sel_hi:[1,1,0] neg_lo:[0,0,1] neg_hi:[0,0,1]
	v_pk_fma_f32 v[34:35], v[34:35], v[36:37], v[38:39] op_sel:[0,0,1] op_sel_hi:[1,0,0]
	v_mov_b32_e32 v47, v35
	s_waitcnt lgkmcnt(0)
	v_pk_mul_f32 v[34:35], v[44:45], v[32:33] op_sel:[0,1]
	v_mov_b32_e32 v49, v27
	v_pk_fma_f32 v[36:37], v[44:45], v[32:33], v[34:35] op_sel:[0,0,1] op_sel_hi:[1,1,0] neg_lo:[0,0,1] neg_hi:[0,0,1]
	v_pk_fma_f32 v[32:33], v[44:45], v[32:33], v[34:35] op_sel:[0,0,1] op_sel_hi:[1,0,0]
	v_pk_add_f32 v[26:27], v[48:49], 0 op_sel_hi:[1,0]
	v_mov_b32_e32 v37, v33
	v_pk_mul_f32 v[32:33], v[40:41], v[42:43] op_sel:[0,1]
	v_pk_add_f32 v[26:27], v[26:27], v[46:47]
	v_pk_fma_f32 v[34:35], v[40:41], v[42:43], v[32:33] op_sel:[0,0,1] op_sel_hi:[1,1,0] neg_lo:[0,0,1] neg_hi:[0,0,1]
	v_pk_fma_f32 v[32:33], v[40:41], v[42:43], v[32:33] op_sel:[0,0,1] op_sel_hi:[1,0,0]
	v_pk_add_f32 v[26:27], v[26:27], v[36:37]
	v_mov_b32_e32 v35, v33
	v_pk_add_f32 v[26:27], v[26:27], v[34:35]
	s_barrier
	ds_write_b64 v23, v[26:27]
	s_waitcnt lgkmcnt(0)
	s_barrier
	s_and_saveexec_b64 s[10:11], s[8:9]
	s_cbranch_execz .LBB116_86
; %bb.85:
	ds_read2_b64 v[32:35], v24 offset1:1
	ds_read2_b64 v[36:39], v24 offset0:2 offset1:3
	ds_read2_b64 v[40:43], v24 offset0:6 offset1:7
	s_waitcnt lgkmcnt(2)
	v_pk_add_f32 v[26:27], v[30:31], v[32:33]
	ds_read2_b64 v[30:33], v24 offset0:4 offset1:5
	v_pk_add_f32 v[26:27], v[26:27], v[34:35]
	s_waitcnt lgkmcnt(2)
	v_pk_add_f32 v[26:27], v[26:27], v[36:37]
	v_pk_add_f32 v[26:27], v[26:27], v[38:39]
	s_waitcnt lgkmcnt(0)
	v_pk_add_f32 v[26:27], v[26:27], v[30:31]
	v_pk_add_f32 v[26:27], v[26:27], v[32:33]
	;; [unrolled: 1-line block ×4, first 2 shown]
.LBB116_86:
	s_or_b64 exec, exec, s[10:11]
	v_pk_mul_f32 v[26:27], v[8:9], v[20:21] op_sel:[0,1]
	v_pk_fma_f32 v[32:33], v[8:9], v[20:21], v[26:27] op_sel:[0,0,1] op_sel_hi:[1,1,0] neg_lo:[0,0,1] neg_hi:[0,0,1]
	v_pk_fma_f32 v[8:9], v[8:9], v[20:21], v[26:27] op_sel:[0,0,1] op_sel_hi:[1,0,0]
	v_pk_mul_f32 v[20:21], v[10:11], v[4:5] op_sel:[0,1]
	v_mov_b32_e32 v33, v9
	v_pk_fma_f32 v[26:27], v[10:11], v[4:5], v[20:21] op_sel:[0,0,1] op_sel_hi:[1,1,0] neg_lo:[0,0,1] neg_hi:[0,0,1]
	v_pk_fma_f32 v[4:5], v[10:11], v[4:5], v[20:21] op_sel:[0,0,1] op_sel_hi:[1,0,0]
	v_pk_add_f32 v[8:9], v[32:33], 0 op_sel_hi:[1,0]
	v_mov_b32_e32 v27, v5
	v_pk_add_f32 v[4:5], v[8:9], v[26:27]
	v_pk_mul_f32 v[8:9], v[0:1], v[6:7] op_sel:[0,1]
	v_pk_fma_f32 v[10:11], v[0:1], v[6:7], v[8:9] op_sel:[0,0,1] op_sel_hi:[1,1,0] neg_lo:[0,0,1] neg_hi:[0,0,1]
	v_pk_fma_f32 v[0:1], v[0:1], v[6:7], v[8:9] op_sel:[0,0,1] op_sel_hi:[1,0,0]
	v_mov_b32_e32 v11, v1
	v_pk_add_f32 v[0:1], v[4:5], v[10:11]
	v_pk_mul_f32 v[4:5], v[2:3], v[18:19] op_sel:[0,1]
	v_pk_fma_f32 v[6:7], v[2:3], v[18:19], v[4:5] op_sel:[0,0,1] op_sel_hi:[1,1,0] neg_lo:[0,0,1] neg_hi:[0,0,1]
	v_pk_fma_f32 v[2:3], v[2:3], v[18:19], v[4:5] op_sel:[0,0,1] op_sel_hi:[1,0,0]
	v_mov_b32_e32 v7, v3
	v_pk_add_f32 v[0:1], v[0:1], v[6:7]
	s_barrier
	ds_write_b64 v23, v[0:1]
	s_waitcnt lgkmcnt(0)
	s_barrier
	s_and_saveexec_b64 s[8:9], s[2:3]
	s_cbranch_execz .LBB116_88
; %bb.87:
	ds_read2_b64 v[0:3], v24 offset1:1
	ds_read2_b64 v[4:7], v24 offset0:2 offset1:3
	ds_read2_b64 v[8:11], v24 offset0:4 offset1:5
	s_waitcnt lgkmcnt(2)
	v_pk_add_f32 v[0:1], v[30:31], v[0:1]
	v_pk_add_f32 v[18:19], v[0:1], v[2:3]
	ds_read2_b64 v[0:3], v24 offset0:6 offset1:7
	s_waitcnt lgkmcnt(2)
	v_pk_add_f32 v[4:5], v[18:19], v[4:5]
	v_pk_add_f32 v[4:5], v[4:5], v[6:7]
	s_waitcnt lgkmcnt(1)
	v_pk_add_f32 v[4:5], v[4:5], v[8:9]
	v_pk_add_f32 v[4:5], v[4:5], v[10:11]
	s_waitcnt lgkmcnt(0)
	v_pk_add_f32 v[0:1], v[4:5], v[0:1]
	v_pk_add_f32 v[30:31], v[0:1], v[2:3]
.LBB116_88:
	s_or_b64 exec, exec, s[8:9]
	s_load_dwordx2 s[2:3], s[4:5], 0x68
	s_mul_hi_u32 s4, s37, s7
	s_mul_i32 s38, s38, s7
	s_add_i32 s4, s4, s38
	s_mul_i32 s7, s37, s7
	s_mul_i32 s4, s4, s33
	s_mul_hi_u32 s5, s7, s33
	s_add_i32 s5, s5, s4
	s_mul_i32 s4, s7, s33
	s_lshl_b64 s[4:5], s[4:5], 3
	s_waitcnt lgkmcnt(0)
	s_add_u32 s4, s2, s4
	s_addc_u32 s5, s3, s5
	s_mul_hi_i32 s3, s37, s6
	s_mul_i32 s2, s37, s6
	s_lshl_b64 s[2:3], s[2:3], 3
	s_add_u32 s7, s4, s2
	s_addc_u32 s22, s5, s3
	s_add_i32 s2, s6, 1
	s_cmp_ge_u32 s2, s33
	v_lshlrev_b32_e32 v32, 3, v65
	s_barrier
	s_cbranch_scc1 .LBB116_146
; %bb.89:
	s_mul_i32 s2, s26, s29
	s_mul_hi_u32 s3, s26, s28
	s_add_i32 s2, s3, s2
	s_mul_i32 s3, s27, s28
	s_add_i32 s3, s2, s3
	s_mul_i32 s2, s26, s28
	s_lshl_b64 s[2:3], s[2:3], 3
	v_mov_b32_e32 v0, s3
	v_subrev_co_u32_e32 v121, vcc, s2, v14
	v_and_b32_e32 v1, 48, v65
	v_subb_co_u32_e32 v122, vcc, v15, v0, vcc
	v_and_b32_e32 v0, 15, v65
	v_lshlrev_b32_e32 v2, 3, v1
	s_movk_i32 s4, 0x218
	v_lshrrev_b32_e32 v4, 4, v22
	v_mad_u32_u24 v123, v0, s4, v2
	v_or_b32_e32 v2, 0x78, v32
	v_lshlrev_b32_e32 v5, 5, v120
	v_mad_u32_u24 v124, v0, s4, v2
	v_lshlrev_b32_e32 v2, 5, v4
	v_add_u32_e32 v3, 0x100, v5
	v_mad_u32_u24 v125, v0, s4, v2
	v_or_b32_e32 v126, v1, v0
	v_mad_u64_u32 v[0:1], s[4:5], s20, v3, 0
	v_mov_b32_e32 v2, v1
	v_mad_u64_u32 v[2:3], s[4:5], s21, v3, v[2:3]
	v_mov_b32_e32 v1, v2
	v_sub_co_u32_e32 v0, vcc, v0, v12
	v_subb_co_u32_e32 v1, vcc, v1, v13, vcc
	v_add_co_u32_e32 v34, vcc, v16, v0
	v_add_u32_e32 v3, 0x110, v5
	v_addc_co_u32_e32 v33, vcc, v17, v1, vcc
	v_mad_u64_u32 v[0:1], s[4:5], s20, v3, 0
	v_mov_b32_e32 v2, v1
	v_mad_u64_u32 v[2:3], s[4:5], s21, v3, v[2:3]
	v_mov_b32_e32 v1, v2
	v_sub_co_u32_e32 v0, vcc, v0, v12
	v_subb_co_u32_e32 v1, vcc, v1, v13, vcc
	v_add_co_u32_e32 v36, vcc, v16, v0
	v_add_u32_e32 v3, 0x108, v5
	v_addc_co_u32_e32 v35, vcc, v17, v1, vcc
	;; [unrolled: 9-line block ×12, first 2 shown]
	v_mad_u64_u32 v[0:1], s[4:5], s20, v3, 0
	v_mov_b32_e32 v2, v1
	v_mad_u64_u32 v[2:3], s[4:5], s21, v3, v[2:3]
	v_mov_b32_e32 v1, v2
	v_sub_co_u32_e32 v6, vcc, v0, v12
	v_add_u32_e32 v3, 0x288, v5
	v_subb_co_u32_e32 v7, vcc, v1, v13, vcc
	v_mad_u64_u32 v[0:1], s[4:5], s20, v3, 0
	v_mov_b32_e32 v2, v1
	v_mad_u64_u32 v[2:3], s[4:5], s21, v3, v[2:3]
	v_mov_b32_e32 v1, v2
	v_sub_co_u32_e32 v8, vcc, v0, v12
	v_add_u32_e32 v3, 0x290, v5
	v_subb_co_u32_e32 v9, vcc, v1, v13, vcc
	;; [unrolled: 7-line block ×3, first 2 shown]
	v_mad_u64_u32 v[0:1], s[4:5], s20, v3, 0
	v_mov_b32_e32 v2, v1
	v_add_co_u32_e32 v58, vcc, v16, v6
	v_mad_u64_u32 v[2:3], s[4:5], s21, v3, v[2:3]
	v_addc_co_u32_e32 v57, vcc, v17, v7, vcc
	v_mov_b32_e32 v1, v2
	v_sub_co_u32_e32 v0, vcc, v0, v12
	v_subb_co_u32_e32 v1, vcc, v1, v13, vcc
	v_add_co_u32_e32 v60, vcc, v16, v8
	v_addc_co_u32_e32 v59, vcc, v17, v9, vcc
	v_add_co_u32_e32 v62, vcc, v16, v10
	v_addc_co_u32_e32 v61, vcc, v17, v11, vcc
	v_add_co_u32_e32 v64, vcc, v16, v0
	s_movk_i32 s4, 0x860
	v_mul_i32_i24_e32 v0, 0xffffffe8, v4
	v_lshlrev_b32_e32 v129, 2, v120
	v_cmp_gt_u32_e64 s[2:3], 64, v22
	v_addc_co_u32_e32 v63, vcc, v17, v1, vcc
	s_add_i32 s23, s33, -2
	v_add_u32_e32 v127, 0x2180, v5
	s_add_i32 s25, s26, 64
	s_lshl_b64 s[10:11], s[20:21], 9
	v_add_u32_e32 v128, v125, v0
	v_add_u32_e32 v130, 0x2180, v32
	;; [unrolled: 1-line block ×3, first 2 shown]
	v_or_b32_e32 v132, 1, v129
	v_or_b32_e32 v133, 2, v129
	;; [unrolled: 1-line block ×3, first 2 shown]
	v_mad_u32_u24 v135, v120, s4, v32
	v_add_u32_e32 v136, 16, v129
	v_add_u32_e32 v137, 17, v129
	;; [unrolled: 1-line block ×12, first 2 shown]
	v_mov_b32_e32 v66, 0
	s_branch .LBB116_91
.LBB116_90:                             ;   in Loop: Header=BB116_91 Depth=1
	s_or_b64 exec, exec, s[4:5]
	v_mul_f32_e32 v0, v77, v69
	v_fma_f32 v0, v76, v68, -v0
	v_mul_f32_e32 v2, v79, v71
	v_add_f32_e32 v0, v30, v0
	v_fma_f32 v2, v78, v70, -v2
	v_add_f32_e32 v0, v0, v2
	v_mul_f32_e32 v2, v81, v73
	v_fma_f32 v2, v80, v72, -v2
	v_mul_f32_e32 v1, v77, v68
	v_add_f32_e32 v0, v0, v2
	v_mul_f32_e32 v2, v83, v75
	v_mul_f32_e32 v3, v79, v70
	v_fma_f32 v2, v82, v74, -v2
	v_fmac_f32_e32 v1, v76, v69
	v_mul_f32_e32 v4, v81, v72
	v_add_f32_e32 v0, v0, v2
	v_add_f32_e32 v1, v31, v1
	v_fmac_f32_e32 v3, v78, v71
	v_mul_f32_e32 v2, v93, v85
	v_mul_f32_e32 v5, v83, v74
	v_add_f32_e32 v1, v1, v3
	v_fmac_f32_e32 v4, v80, v73
	v_fma_f32 v2, v92, v84, -v2
	v_add_f32_e32 v1, v1, v4
	v_fmac_f32_e32 v5, v82, v75
	v_mul_f32_e32 v6, v93, v84
	v_add_f32_e32 v0, v0, v2
	v_mul_f32_e32 v2, v95, v87
	v_add_f32_e32 v1, v1, v5
	v_fma_f32 v2, v94, v86, -v2
	v_mul_f32_e32 v7, v95, v86
	v_fmac_f32_e32 v6, v92, v85
	v_add_f32_e32 v0, v0, v2
	v_mul_f32_e32 v2, v97, v89
	v_mul_f32_e32 v3, v97, v88
	v_add_f32_e32 v1, v1, v6
	v_fmac_f32_e32 v7, v94, v87
	v_fma_f32 v2, v96, v88, -v2
	v_add_f32_e32 v1, v1, v7
	v_fmac_f32_e32 v3, v96, v89
	v_mul_f32_e32 v4, v99, v91
	v_mul_f32_e32 v5, v99, v90
	v_pk_add_f32 v[0:1], v[0:1], v[2:3]
	v_mov_b32_e32 v2, v101
	v_fma_f32 v4, v98, v90, -v4
	v_fmac_f32_e32 v5, v98, v91
	v_pk_mul_f32 v[2:3], v[108:109], v[2:3] op_sel_hi:[1,0]
	v_pk_add_f32 v[0:1], v[0:1], v[4:5]
	v_pk_fma_f32 v[4:5], v[108:109], v[100:101], v[2:3] op_sel:[0,0,1] op_sel_hi:[1,1,0] neg_lo:[0,0,1] neg_hi:[0,0,1]
	v_pk_fma_f32 v[2:3], v[108:109], v[100:101], v[2:3] op_sel:[0,0,1] op_sel_hi:[1,0,0]
	v_mov_b32_e32 v2, v103
	v_mov_b32_e32 v5, v3
	v_pk_mul_f32 v[2:3], v[8:9], v[2:3] op_sel_hi:[1,0]
	v_pk_add_f32 v[0:1], v[0:1], v[4:5]
	v_pk_fma_f32 v[4:5], v[8:9], v[102:103], v[2:3] op_sel:[0,0,1] op_sel_hi:[1,1,0] neg_lo:[0,0,1] neg_hi:[0,0,1]
	v_pk_fma_f32 v[2:3], v[8:9], v[102:103], v[2:3] op_sel:[0,0,1] op_sel_hi:[1,0,0]
	v_mov_b32_e32 v2, v105
	v_mov_b32_e32 v5, v3
	;; [unrolled: 6-line block ×5, first 2 shown]
	v_pk_mul_f32 v[2:3], v[18:19], v[2:3] op_sel_hi:[1,0]
	v_pk_fma_f32 v[6:7], v[18:19], v[114:115], v[2:3] op_sel:[0,0,1] op_sel_hi:[1,1,0] neg_lo:[0,0,1] neg_hi:[0,0,1]
	v_pk_fma_f32 v[2:3], v[18:19], v[114:115], v[2:3] op_sel:[0,0,1] op_sel_hi:[1,0,0]
	v_mov_b32_e32 v2, v117
	v_mov_b32_e32 v7, v3
	v_pk_mul_f32 v[2:3], v[12:13], v[2:3] op_sel_hi:[1,0]
	v_pk_fma_f32 v[8:9], v[12:13], v[116:117], v[2:3] op_sel:[0,0,1] op_sel_hi:[1,1,0] neg_lo:[0,0,1] neg_hi:[0,0,1]
	v_pk_fma_f32 v[2:3], v[12:13], v[116:117], v[2:3] op_sel:[0,0,1] op_sel_hi:[1,0,0]
	v_mov_b32_e32 v2, v119
	v_mov_b32_e32 v9, v3
	v_pk_mul_f32 v[2:3], v[14:15], v[2:3] op_sel_hi:[1,0]
	v_pk_add_f32 v[0:1], v[0:1], v[4:5]
	v_pk_fma_f32 v[10:11], v[14:15], v[118:119], v[2:3] op_sel:[0,0,1] op_sel_hi:[1,1,0] neg_lo:[0,0,1] neg_hi:[0,0,1]
	v_pk_fma_f32 v[2:3], v[14:15], v[118:119], v[2:3] op_sel:[0,0,1] op_sel_hi:[1,0,0]
	v_pk_add_f32 v[0:1], v[0:1], v[6:7]
	v_mov_b32_e32 v11, v3
	v_pk_add_f32 v[0:1], v[0:1], v[8:9]
	v_pk_add_f32 v[30:31], v[0:1], v[10:11]
	v_mov_b32_e32 v0, s11
	v_add_co_u32_e32 v34, vcc, s10, v34
	v_addc_co_u32_e32 v33, vcc, v33, v0, vcc
	v_add_co_u32_e32 v36, vcc, s10, v36
	v_addc_co_u32_e32 v35, vcc, v35, v0, vcc
	;; [unrolled: 2-line block ×15, first 2 shown]
	s_add_i32 s4, s6, 1
	s_add_i32 s25, s25, 64
	;; [unrolled: 1-line block ×3, first 2 shown]
	v_add_co_u32_e32 v64, vcc, s10, v64
	v_addc_co_u32_e32 v63, vcc, v63, v0, vcc
	s_cmp_ge_u32 s5, s33
	s_mov_b32 s6, s4
	s_barrier
	s_cbranch_scc1 .LBB116_146
.LBB116_91:                             ; =>This Inner Loop Header: Depth=1
	s_cmp_eq_u32 s23, s6
	s_cselect_b32 s20, s36, 0
	s_and_saveexec_b64 s[4:5], s[0:1]
	s_cbranch_execz .LBB116_96
; %bb.92:                               ;   in Loop: Header=BB116_91 Depth=1
	s_cmp_lg_u32 s20, 0
	s_cselect_b64 s[8:9], -1, 0
	v_cmp_le_i32_e32 vcc, s20, v65
	s_and_b64 s[8:9], s[8:9], vcc
	s_and_saveexec_b64 s[12:13], s[8:9]
	s_xor_b64 s[8:9], exec, s[12:13]
	s_cbranch_execz .LBB116_94
; %bb.93:                               ;   in Loop: Header=BB116_91 Depth=1
	v_mov_b32_e32 v67, v66
	ds_write_b64 v130, v[66:67]
.LBB116_94:                             ;   in Loop: Header=BB116_91 Depth=1
	s_andn2_saveexec_b64 s[8:9], s[8:9]
	s_cbranch_execz .LBB116_96
; %bb.95:                               ;   in Loop: Header=BB116_91 Depth=1
	s_ashr_i32 s8, s25, 31
	s_mul_i32 s9, s25, s29
	s_mul_hi_u32 s12, s25, s28
	s_add_i32 s9, s12, s9
	s_mul_i32 s8, s8, s28
	s_add_i32 s9, s9, s8
	s_mul_i32 s8, s25, s28
	s_lshl_b64 s[8:9], s[8:9], 3
	v_mov_b32_e32 v1, s9
	v_add_co_u32_e32 v0, vcc, s8, v121
	v_addc_co_u32_e32 v1, vcc, v122, v1, vcc
	global_load_dwordx2 v[0:1], v[0:1], off
	s_waitcnt vmcnt(0)
	ds_write_b64 v130, v[0:1]
.LBB116_96:                             ;   in Loop: Header=BB116_91 Depth=1
	s_or_b64 exec, exec, s[4:5]
	s_cmp_eq_u32 s20, 0
	v_add_co_u32_e32 v0, vcc, v34, v32
	s_cselect_b64 s[12:13], -1, 0
	s_cmp_lg_u32 s20, 0
	v_addc_co_u32_e32 v1, vcc, 0, v33, vcc
	s_cselect_b64 s[8:9], -1, 0
	s_and_b64 vcc, exec, s[8:9]
	s_waitcnt lgkmcnt(0)
	s_barrier
	s_cbranch_vccz .LBB116_104
; %bb.97:                               ;   in Loop: Header=BB116_91 Depth=1
	v_pk_mov_b32 v[70:71], 0, 0
	v_cmp_gt_i32_e32 vcc, s20, v129
	v_pk_mov_b32 v[68:69], v[70:71], v[70:71] op_sel:[0,1]
	s_and_saveexec_b64 s[4:5], vcc
	s_cbranch_execz .LBB116_99
; %bb.98:                               ;   in Loop: Header=BB116_91 Depth=1
	global_load_dwordx2 v[68:69], v[0:1], off
.LBB116_99:                             ;   in Loop: Header=BB116_91 Depth=1
	s_or_b64 exec, exec, s[4:5]
	v_cmp_gt_i32_e32 vcc, s20, v132
	s_and_saveexec_b64 s[4:5], vcc
	s_cbranch_execz .LBB116_101
; %bb.100:                              ;   in Loop: Header=BB116_91 Depth=1
	v_add_co_u32_e32 v2, vcc, v38, v32
	v_addc_co_u32_e32 v3, vcc, 0, v37, vcc
	global_load_dwordx2 v[70:71], v[2:3], off
.LBB116_101:                            ;   in Loop: Header=BB116_91 Depth=1
	s_or_b64 exec, exec, s[4:5]
	v_cmp_gt_i32_e32 vcc, s20, v133
	v_pk_mov_b32 v[72:73], 0, 0
	s_and_saveexec_b64 s[4:5], vcc
	s_cbranch_execz .LBB116_103
; %bb.102:                              ;   in Loop: Header=BB116_91 Depth=1
	v_add_co_u32_e32 v2, vcc, v36, v32
	v_addc_co_u32_e32 v3, vcc, 0, v35, vcc
	global_load_dwordx2 v[72:73], v[2:3], off
.LBB116_103:                            ;   in Loop: Header=BB116_91 Depth=1
	s_or_b64 exec, exec, s[4:5]
	v_cmp_gt_i32_e64 s[4:5], s20, v134
	s_mov_b64 s[14:15], 0
	s_branch .LBB116_106
.LBB116_104:                            ;   in Loop: Header=BB116_91 Depth=1
	s_mov_b64 s[4:5], 0
                                        ; implicit-def: $sgpr14_sgpr15
                                        ; implicit-def: $vgpr72_vgpr73
                                        ; implicit-def: $vgpr70_vgpr71
                                        ; implicit-def: $vgpr68_vgpr69
	s_cbranch_execz .LBB116_106
; %bb.105:                              ;   in Loop: Header=BB116_91 Depth=1
	global_load_dwordx2 v[68:69], v[0:1], off
	v_add_co_u32_e32 v0, vcc, v38, v32
	v_addc_co_u32_e32 v1, vcc, 0, v37, vcc
	global_load_dwordx2 v[70:71], v[0:1], off
	v_add_co_u32_e32 v0, vcc, v36, v32
	v_addc_co_u32_e32 v1, vcc, 0, v35, vcc
	global_load_dwordx2 v[72:73], v[0:1], off
	s_or_b64 s[4:5], s[4:5], exec
                                        ; implicit-def: $sgpr14_sgpr15
.LBB116_106:                            ;   in Loop: Header=BB116_91 Depth=1
	v_pk_mov_b32 v[74:75], s[14:15], s[14:15] op_sel:[0,1]
	s_and_saveexec_b64 s[14:15], s[4:5]
	s_cbranch_execz .LBB116_108
; %bb.107:                              ;   in Loop: Header=BB116_91 Depth=1
	v_add_co_u32_e32 v0, vcc, v40, v32
	v_addc_co_u32_e32 v1, vcc, 0, v39, vcc
	global_load_dwordx2 v[74:75], v[0:1], off
.LBB116_108:                            ;   in Loop: Header=BB116_91 Depth=1
	s_or_b64 exec, exec, s[14:15]
	ds_read_b64 v[0:1], v131
	ds_read_b64 v[76:77], v127
	v_cndmask_b32_e64 v8, 0, 1, s[8:9]
	v_cmp_ne_u32_e64 s[4:5], 1, v8
	s_andn2_b64 vcc, exec, s[8:9]
	s_waitcnt vmcnt(0) lgkmcnt(1)
	v_mul_f32_e32 v2, v1, v69
	v_mul_f32_e32 v3, v1, v68
	v_fma_f32 v2, v0, v68, -v2
	v_fmac_f32_e32 v3, v0, v69
	v_mul_f32_e32 v4, v1, v71
	ds_write_b64 v135, v[2:3]
	v_mul_f32_e32 v3, v1, v70
	v_fma_f32 v2, v0, v70, -v4
	v_fmac_f32_e32 v3, v0, v71
	ds_read_b64 v[78:79], v127 offset:8
	ds_write_b64 v135, v[2:3] offset:536
	v_mul_f32_e32 v2, v1, v73
	v_mul_f32_e32 v3, v1, v72
	v_fma_f32 v2, v0, v72, -v2
	v_fmac_f32_e32 v3, v0, v73
	ds_read_b64 v[80:81], v127 offset:16
	ds_write_b64 v135, v[2:3] offset:1072
	v_mul_f32_e32 v2, v1, v75
	v_mul_f32_e32 v3, v0, v75
	v_fma_f32 v2, v0, v74, -v2
	v_fmac_f32_e32 v3, v1, v74
	ds_read_b64 v[82:83], v127 offset:24
	ds_write_b64 v135, v[2:3] offset:1608
	s_waitcnt lgkmcnt(0)
	s_barrier
	ds_read2_b64 v[4:7], v125 offset1:1
	ds_read2_b64 v[0:3], v125 offset0:2 offset1:3
	v_add_co_u32_e64 v8, s[8:9], v42, v32
	v_addc_co_u32_e64 v9, s[8:9], 0, v41, s[8:9]
	s_waitcnt lgkmcnt(0)
	s_barrier
	s_cbranch_vccnz .LBB116_116
; %bb.109:                              ;   in Loop: Header=BB116_91 Depth=1
	v_pk_mov_b32 v[86:87], 0, 0
	v_cmp_gt_i32_e32 vcc, s20, v136
	v_pk_mov_b32 v[84:85], v[86:87], v[86:87] op_sel:[0,1]
	s_and_saveexec_b64 s[8:9], vcc
	s_cbranch_execz .LBB116_111
; %bb.110:                              ;   in Loop: Header=BB116_91 Depth=1
	global_load_dwordx2 v[84:85], v[8:9], off
.LBB116_111:                            ;   in Loop: Header=BB116_91 Depth=1
	s_or_b64 exec, exec, s[8:9]
	v_cmp_gt_i32_e32 vcc, s20, v137
	s_and_saveexec_b64 s[8:9], vcc
	s_cbranch_execz .LBB116_113
; %bb.112:                              ;   in Loop: Header=BB116_91 Depth=1
	v_add_co_u32_e32 v10, vcc, v44, v32
	v_addc_co_u32_e32 v11, vcc, 0, v43, vcc
	global_load_dwordx2 v[86:87], v[10:11], off
.LBB116_113:                            ;   in Loop: Header=BB116_91 Depth=1
	s_or_b64 exec, exec, s[8:9]
	v_cmp_gt_i32_e32 vcc, s20, v138
	v_pk_mov_b32 v[88:89], 0, 0
	s_and_saveexec_b64 s[8:9], vcc
	s_cbranch_execz .LBB116_115
; %bb.114:                              ;   in Loop: Header=BB116_91 Depth=1
	v_add_co_u32_e32 v10, vcc, v46, v32
	v_addc_co_u32_e32 v11, vcc, 0, v45, vcc
	global_load_dwordx2 v[88:89], v[10:11], off
.LBB116_115:                            ;   in Loop: Header=BB116_91 Depth=1
	s_or_b64 exec, exec, s[8:9]
	v_cmp_gt_i32_e64 s[8:9], s20, v139
	s_mov_b64 s[14:15], 0
	s_branch .LBB116_118
.LBB116_116:                            ;   in Loop: Header=BB116_91 Depth=1
	s_mov_b64 s[8:9], 0
                                        ; implicit-def: $sgpr14_sgpr15
                                        ; implicit-def: $vgpr88_vgpr89
                                        ; implicit-def: $vgpr86_vgpr87
                                        ; implicit-def: $vgpr84_vgpr85
	s_cbranch_execz .LBB116_118
; %bb.117:                              ;   in Loop: Header=BB116_91 Depth=1
	global_load_dwordx2 v[84:85], v[8:9], off
	v_add_co_u32_e32 v8, vcc, v44, v32
	v_addc_co_u32_e32 v9, vcc, 0, v43, vcc
	global_load_dwordx2 v[86:87], v[8:9], off
	v_add_co_u32_e32 v8, vcc, v46, v32
	v_addc_co_u32_e32 v9, vcc, 0, v45, vcc
	global_load_dwordx2 v[88:89], v[8:9], off
	s_or_b64 s[8:9], s[8:9], exec
                                        ; implicit-def: $sgpr14_sgpr15
.LBB116_118:                            ;   in Loop: Header=BB116_91 Depth=1
	v_pk_mov_b32 v[90:91], s[14:15], s[14:15] op_sel:[0,1]
	s_and_saveexec_b64 s[14:15], s[8:9]
	s_cbranch_execz .LBB116_120
; %bb.119:                              ;   in Loop: Header=BB116_91 Depth=1
	v_add_co_u32_e32 v8, vcc, v48, v32
	v_addc_co_u32_e32 v9, vcc, 0, v47, vcc
	global_load_dwordx2 v[90:91], v[8:9], off
.LBB116_120:                            ;   in Loop: Header=BB116_91 Depth=1
	s_or_b64 exec, exec, s[14:15]
	ds_read_b64 v[8:9], v131
	ds_read_b64 v[92:93], v127 offset:128
	s_and_b64 vcc, exec, s[4:5]
	s_waitcnt vmcnt(0) lgkmcnt(1)
	v_mul_f32_e32 v10, v9, v85
	v_mul_f32_e32 v11, v9, v84
	v_fma_f32 v10, v8, v84, -v10
	v_fmac_f32_e32 v11, v8, v85
	v_mul_f32_e32 v12, v9, v87
	ds_write_b64 v135, v[10:11]
	v_mul_f32_e32 v11, v9, v86
	v_fma_f32 v10, v8, v86, -v12
	v_fmac_f32_e32 v11, v8, v87
	ds_read_b64 v[94:95], v127 offset:136
	ds_write_b64 v135, v[10:11] offset:536
	v_mul_f32_e32 v10, v9, v89
	v_mul_f32_e32 v11, v9, v88
	v_fma_f32 v10, v8, v88, -v10
	v_fmac_f32_e32 v11, v8, v89
	ds_read_b64 v[96:97], v127 offset:144
	ds_write_b64 v135, v[10:11] offset:1072
	v_mul_f32_e32 v10, v9, v91
	v_mul_f32_e32 v11, v8, v91
	v_fma_f32 v10, v8, v90, -v10
	v_fmac_f32_e32 v11, v9, v90
	ds_read_b64 v[98:99], v127 offset:152
	ds_write_b64 v135, v[10:11] offset:1608
	s_waitcnt lgkmcnt(0)
	s_barrier
	ds_read2_b64 v[16:19], v125 offset1:1
	ds_read2_b64 v[12:15], v125 offset0:2 offset1:3
	v_add_co_u32_e64 v8, s[8:9], v50, v32
	v_addc_co_u32_e64 v9, s[8:9], 0, v49, s[8:9]
	s_waitcnt lgkmcnt(0)
	s_barrier
	s_cbranch_vccnz .LBB116_128
; %bb.121:                              ;   in Loop: Header=BB116_91 Depth=1
	v_pk_mov_b32 v[102:103], 0, 0
	v_cmp_gt_i32_e32 vcc, s20, v140
	v_pk_mov_b32 v[100:101], v[102:103], v[102:103] op_sel:[0,1]
	s_and_saveexec_b64 s[8:9], vcc
	s_cbranch_execz .LBB116_123
; %bb.122:                              ;   in Loop: Header=BB116_91 Depth=1
	global_load_dwordx2 v[100:101], v[8:9], off
.LBB116_123:                            ;   in Loop: Header=BB116_91 Depth=1
	s_or_b64 exec, exec, s[8:9]
	v_cmp_gt_i32_e32 vcc, s20, v141
	s_and_saveexec_b64 s[8:9], vcc
	s_cbranch_execz .LBB116_125
; %bb.124:                              ;   in Loop: Header=BB116_91 Depth=1
	v_add_co_u32_e32 v10, vcc, v52, v32
	v_addc_co_u32_e32 v11, vcc, 0, v51, vcc
	global_load_dwordx2 v[102:103], v[10:11], off
.LBB116_125:                            ;   in Loop: Header=BB116_91 Depth=1
	s_or_b64 exec, exec, s[8:9]
	v_cmp_gt_i32_e32 vcc, s20, v142
	v_pk_mov_b32 v[104:105], 0, 0
	s_and_saveexec_b64 s[8:9], vcc
	s_cbranch_execz .LBB116_127
; %bb.126:                              ;   in Loop: Header=BB116_91 Depth=1
	v_add_co_u32_e32 v10, vcc, v54, v32
	v_addc_co_u32_e32 v11, vcc, 0, v53, vcc
	global_load_dwordx2 v[104:105], v[10:11], off
.LBB116_127:                            ;   in Loop: Header=BB116_91 Depth=1
	s_or_b64 exec, exec, s[8:9]
	v_cmp_gt_i32_e64 s[8:9], s20, v143
	s_mov_b64 s[14:15], 0
	s_branch .LBB116_130
.LBB116_128:                            ;   in Loop: Header=BB116_91 Depth=1
	s_mov_b64 s[8:9], 0
                                        ; implicit-def: $sgpr14_sgpr15
                                        ; implicit-def: $vgpr104_vgpr105
                                        ; implicit-def: $vgpr102_vgpr103
                                        ; implicit-def: $vgpr100_vgpr101
	s_cbranch_execz .LBB116_130
; %bb.129:                              ;   in Loop: Header=BB116_91 Depth=1
	global_load_dwordx2 v[100:101], v[8:9], off
	v_add_co_u32_e32 v8, vcc, v52, v32
	v_addc_co_u32_e32 v9, vcc, 0, v51, vcc
	global_load_dwordx2 v[102:103], v[8:9], off
	v_add_co_u32_e32 v8, vcc, v54, v32
	v_addc_co_u32_e32 v9, vcc, 0, v53, vcc
	global_load_dwordx2 v[104:105], v[8:9], off
	s_or_b64 s[8:9], s[8:9], exec
                                        ; implicit-def: $sgpr14_sgpr15
.LBB116_130:                            ;   in Loop: Header=BB116_91 Depth=1
	v_pk_mov_b32 v[106:107], s[14:15], s[14:15] op_sel:[0,1]
	s_and_saveexec_b64 s[14:15], s[8:9]
	s_cbranch_execz .LBB116_132
; %bb.131:                              ;   in Loop: Header=BB116_91 Depth=1
	v_add_co_u32_e32 v8, vcc, v56, v32
	v_addc_co_u32_e32 v9, vcc, 0, v55, vcc
	global_load_dwordx2 v[106:107], v[8:9], off
.LBB116_132:                            ;   in Loop: Header=BB116_91 Depth=1
	s_or_b64 exec, exec, s[14:15]
	ds_read_b64 v[8:9], v131
	ds_read_b64 v[108:109], v127 offset:256
	s_and_b64 vcc, exec, s[4:5]
	v_add_co_u32_e64 v118, s[4:5], v58, v32
	s_waitcnt vmcnt(0) lgkmcnt(1)
	v_mul_f32_e32 v10, v9, v101
	v_mul_f32_e32 v11, v9, v100
	;; [unrolled: 1-line block ×4, first 2 shown]
	v_fma_f32 v10, v8, v100, -v10
	v_fmac_f32_e32 v11, v8, v101
	v_fma_f32 v20, v8, v102, -v20
	v_fmac_f32_e32 v21, v8, v103
	ds_write2_b64 v135, v[10:11], v[20:21] offset1:67
	v_mul_f32_e32 v10, v9, v105
	v_mul_f32_e32 v11, v9, v104
	;; [unrolled: 1-line block ×4, first 2 shown]
	v_fma_f32 v10, v8, v104, -v10
	v_fmac_f32_e32 v11, v8, v105
	v_fma_f32 v20, v8, v106, -v20
	v_fmac_f32_e32 v21, v9, v106
	ds_write2_b64 v135, v[10:11], v[20:21] offset0:134 offset1:201
	ds_read2_b64 v[8:11], v127 offset0:33 offset1:34
	ds_read_b64 v[110:111], v127 offset:280
	s_waitcnt lgkmcnt(0)
	s_barrier
	ds_read2_b64 v[24:27], v125 offset1:1
	ds_read2_b64 v[20:23], v125 offset0:2 offset1:3
	v_addc_co_u32_e64 v119, s[4:5], 0, v57, s[4:5]
	s_waitcnt lgkmcnt(0)
	s_barrier
	s_cbranch_vccnz .LBB116_140
; %bb.133:                              ;   in Loop: Header=BB116_91 Depth=1
	v_pk_mov_b32 v[114:115], 0, 0
	v_cmp_gt_i32_e32 vcc, s20, v144
	v_pk_mov_b32 v[112:113], v[114:115], v[114:115] op_sel:[0,1]
	s_and_saveexec_b64 s[4:5], vcc
	s_cbranch_execz .LBB116_135
; %bb.134:                              ;   in Loop: Header=BB116_91 Depth=1
	global_load_dwordx2 v[112:113], v[118:119], off
.LBB116_135:                            ;   in Loop: Header=BB116_91 Depth=1
	s_or_b64 exec, exec, s[4:5]
	v_cmp_gt_i32_e32 vcc, s20, v145
	s_and_saveexec_b64 s[4:5], vcc
	s_cbranch_execz .LBB116_137
; %bb.136:                              ;   in Loop: Header=BB116_91 Depth=1
	v_add_co_u32_e32 v114, vcc, v60, v32
	v_addc_co_u32_e32 v115, vcc, 0, v59, vcc
	global_load_dwordx2 v[114:115], v[114:115], off
.LBB116_137:                            ;   in Loop: Header=BB116_91 Depth=1
	s_or_b64 exec, exec, s[4:5]
	v_cmp_gt_i32_e32 vcc, s20, v146
	v_pk_mov_b32 v[116:117], 0, 0
	s_and_saveexec_b64 s[4:5], vcc
	s_cbranch_execz .LBB116_139
; %bb.138:                              ;   in Loop: Header=BB116_91 Depth=1
	v_add_co_u32_e32 v116, vcc, v62, v32
	v_addc_co_u32_e32 v117, vcc, 0, v61, vcc
	global_load_dwordx2 v[116:117], v[116:117], off
.LBB116_139:                            ;   in Loop: Header=BB116_91 Depth=1
	s_or_b64 exec, exec, s[4:5]
	v_cmp_gt_i32_e64 s[4:5], s20, v147
	s_mov_b64 s[8:9], 0
	s_branch .LBB116_142
.LBB116_140:                            ;   in Loop: Header=BB116_91 Depth=1
	s_mov_b64 s[4:5], 0
                                        ; implicit-def: $sgpr8_sgpr9
                                        ; implicit-def: $vgpr116_vgpr117
                                        ; implicit-def: $vgpr114_vgpr115
                                        ; implicit-def: $vgpr112_vgpr113
	s_cbranch_execz .LBB116_142
; %bb.141:                              ;   in Loop: Header=BB116_91 Depth=1
	s_waitcnt vmcnt(0)
	v_add_co_u32_e32 v114, vcc, v60, v32
	v_addc_co_u32_e32 v115, vcc, 0, v59, vcc
	v_add_co_u32_e32 v116, vcc, v62, v32
	v_addc_co_u32_e32 v117, vcc, 0, v61, vcc
	global_load_dwordx2 v[112:113], v[118:119], off
	s_or_b64 s[4:5], s[4:5], exec
	global_load_dwordx2 v[114:115], v[114:115], off
                                        ; implicit-def: $sgpr8_sgpr9
	s_nop 0
	global_load_dwordx2 v[116:117], v[116:117], off
.LBB116_142:                            ;   in Loop: Header=BB116_91 Depth=1
	v_pk_mov_b32 v[118:119], s[8:9], s[8:9] op_sel:[0,1]
	s_and_saveexec_b64 s[8:9], s[4:5]
	s_cbranch_execz .LBB116_144
; %bb.143:                              ;   in Loop: Header=BB116_91 Depth=1
	v_add_co_u32_e32 v118, vcc, v64, v32
	v_addc_co_u32_e32 v119, vcc, 0, v63, vcc
	global_load_dwordx2 v[118:119], v[118:119], off
.LBB116_144:                            ;   in Loop: Header=BB116_91 Depth=1
	s_or_b64 exec, exec, s[8:9]
	v_pk_add_f32 v[24:25], v[24:25], 0 op_sel_hi:[1,0]
	v_pk_add_f32 v[24:25], v[24:25], v[26:27]
	v_pk_add_f32 v[20:21], v[24:25], v[20:21]
	;; [unrolled: 1-line block ×3, first 2 shown]
	ds_read_b64 v[20:21], v131
	v_pk_add_f32 v[16:17], v[16:17], 0 op_sel_hi:[1,0]
	v_pk_add_f32 v[16:17], v[16:17], v[18:19]
	v_pk_add_f32 v[12:13], v[16:17], v[12:13]
	;; [unrolled: 1-line block ×3, first 2 shown]
	s_waitcnt vmcnt(0) lgkmcnt(0)
	v_mul_f32_e32 v12, v21, v113
	v_mul_f32_e32 v13, v21, v112
	;; [unrolled: 1-line block ×4, first 2 shown]
	v_fma_f32 v12, v20, v112, -v12
	v_fmac_f32_e32 v13, v20, v113
	v_fma_f32 v14, v20, v114, -v14
	v_fmac_f32_e32 v15, v20, v115
	ds_write2_b64 v135, v[12:13], v[14:15] offset1:67
	v_mul_f32_e32 v12, v21, v117
	v_mul_f32_e32 v13, v21, v116
	;; [unrolled: 1-line block ×4, first 2 shown]
	v_fma_f32 v12, v20, v116, -v12
	v_fmac_f32_e32 v13, v20, v117
	v_fma_f32 v14, v20, v118, -v14
	v_fmac_f32_e32 v15, v21, v118
	ds_write2_b64 v135, v[12:13], v[14:15] offset0:134 offset1:201
	ds_read_b128 v[16:19], v127 offset:384
	ds_read_b128 v[12:15], v127 offset:400
	s_waitcnt lgkmcnt(0)
	s_barrier
	ds_read2_b64 v[20:23], v125 offset1:1
	v_pk_add_f32 v[4:5], v[4:5], 0 op_sel_hi:[1,0]
	v_pk_add_f32 v[148:149], v[4:5], v[6:7]
	ds_read2_b64 v[4:7], v125 offset0:2 offset1:3
	v_pk_add_f32 v[0:1], v[148:149], v[0:1]
	v_pk_add_f32 v[0:1], v[0:1], v[2:3]
	s_waitcnt lgkmcnt(1)
	v_pk_add_f32 v[2:3], v[20:21], 0 op_sel_hi:[1,0]
	v_cmp_gt_i32_e32 vcc, s20, v65
	v_pk_add_f32 v[2:3], v[2:3], v[22:23]
	s_or_b64 s[4:5], s[12:13], vcc
	s_waitcnt lgkmcnt(0)
	v_pk_add_f32 v[2:3], v[2:3], v[4:5]
	s_and_b64 s[8:9], s[2:3], s[4:5]
	v_pk_add_f32 v[2:3], v[2:3], v[6:7]
	s_barrier
	ds_write2_b64 v128, v[0:1], v[26:27] offset1:16
	ds_write2_b64 v128, v[24:25], v[2:3] offset0:32 offset1:48
	s_waitcnt lgkmcnt(0)
	s_barrier
	s_and_saveexec_b64 s[4:5], s[8:9]
	s_cbranch_execz .LBB116_90
; %bb.145:                              ;   in Loop: Header=BB116_91 Depth=1
	ds_read_b64 v[20:21], v123
	ds_read2_b64 v[0:3], v123 offset0:1 offset1:2
	ds_read2_b64 v[4:7], v123 offset0:3 offset1:4
	v_mov_b32_e32 v25, s22
	s_waitcnt lgkmcnt(1)
	v_add_f32_e32 v0, v0, v20
	v_add_f32_e32 v1, v1, v21
	;; [unrolled: 1-line block ×4, first 2 shown]
	ds_read2_b64 v[0:3], v123 offset0:5 offset1:6
	s_waitcnt lgkmcnt(1)
	v_add_f32_e32 v4, v20, v4
	v_add_f32_e32 v5, v21, v5
	;; [unrolled: 1-line block ×3, first 2 shown]
	v_add_u32_e32 v4, s25, v126
	v_add_f32_e32 v21, v5, v7
	v_ashrrev_i32_e32 v5, 31, v4
	v_lshlrev_b64 v[22:23], 3, v[4:5]
	ds_read2_b64 v[4:7], v123 offset0:7 offset1:8
	v_add_co_u32_e32 v24, vcc, s7, v22
	v_addc_co_u32_e32 v25, vcc, v25, v23, vcc
	s_waitcnt lgkmcnt(1)
	v_pk_add_f32 v[0:1], v[20:21], v[0:1]
	ds_read2_b64 v[20:23], v123 offset0:9 offset1:10
	v_pk_add_f32 v[0:1], v[0:1], v[2:3]
	s_waitcnt lgkmcnt(1)
	v_pk_add_f32 v[0:1], v[0:1], v[4:5]
	v_pk_add_f32 v[4:5], v[0:1], v[6:7]
	ds_read2_b64 v[0:3], v123 offset0:11 offset1:12
	s_waitcnt lgkmcnt(1)
	v_pk_add_f32 v[20:21], v[4:5], v[20:21]
	ds_read2_b64 v[4:7], v123 offset0:13 offset1:14
	v_pk_add_f32 v[20:21], v[20:21], v[22:23]
	ds_read_b64 v[22:23], v124
	s_waitcnt lgkmcnt(2)
	v_pk_add_f32 v[0:1], v[20:21], v[0:1]
	v_pk_add_f32 v[0:1], v[0:1], v[2:3]
	s_waitcnt lgkmcnt(1)
	v_pk_add_f32 v[0:1], v[0:1], v[4:5]
	v_pk_add_f32 v[0:1], v[0:1], v[6:7]
	s_waitcnt lgkmcnt(0)
	v_pk_add_f32 v[0:1], v[0:1], v[22:23]
	global_store_dwordx2 v[24:25], v[0:1], off
	s_branch .LBB116_90
.LBB116_146:
	s_movk_i32 s2, 0x218
	v_cmp_gt_i32_e32 vcc, s24, v65
	v_mad_u32_u24 v0, v120, s2, v32
	s_or_b64 s[2:3], s[18:19], vcc
	s_and_b64 s[0:1], s[0:1], s[2:3]
	ds_write_b64 v0, v[30:31]
	s_waitcnt lgkmcnt(0)
	s_barrier
	s_and_saveexec_b64 s[2:3], s[0:1]
	s_cbranch_execz .LBB116_148
; %bb.147:
	ds_read2_b64 v[0:3], v32 offset1:67
	ds_read2_b64 v[4:7], v32 offset0:134 offset1:201
	v_lshlrev_b64 v[8:9], 3, v[28:29]
	v_mov_b32_e32 v10, s22
	v_add_co_u32_e32 v8, vcc, s7, v8
	s_waitcnt lgkmcnt(1)
	v_pk_add_f32 v[0:1], v[2:3], v[0:1]
	s_waitcnt lgkmcnt(0)
	v_pk_add_f32 v[0:1], v[0:1], v[4:5]
	v_addc_co_u32_e32 v9, vcc, v10, v9, vcc
	v_pk_add_f32 v[0:1], v[0:1], v[6:7]
	global_store_dwordx2 v[8:9], v[0:1], off
.LBB116_148:
	s_endpgm
	.section	.rodata,"a",@progbits
	.p2align	6, 0x0
	.amdhsa_kernel _ZL26rocblas_hemvn_kernel_upperILb0ELi64ELi4ELi33ELi32ELi16El19rocblas_complex_numIfEPKS1_PS1_EviT6_lT7_lT5_lS6_lS7_lS5_lT8_i
		.amdhsa_group_segment_fixed_size 9600
		.amdhsa_private_segment_fixed_size 0
		.amdhsa_kernarg_size 376
		.amdhsa_user_sgpr_count 6
		.amdhsa_user_sgpr_private_segment_buffer 1
		.amdhsa_user_sgpr_dispatch_ptr 0
		.amdhsa_user_sgpr_queue_ptr 0
		.amdhsa_user_sgpr_kernarg_segment_ptr 1
		.amdhsa_user_sgpr_dispatch_id 0
		.amdhsa_user_sgpr_flat_scratch_init 0
		.amdhsa_user_sgpr_kernarg_preload_length 0
		.amdhsa_user_sgpr_kernarg_preload_offset 0
		.amdhsa_user_sgpr_private_segment_size 0
		.amdhsa_uses_dynamic_stack 0
		.amdhsa_system_sgpr_private_segment_wavefront_offset 0
		.amdhsa_system_sgpr_workgroup_id_x 1
		.amdhsa_system_sgpr_workgroup_id_y 0
		.amdhsa_system_sgpr_workgroup_id_z 1
		.amdhsa_system_sgpr_workgroup_info 0
		.amdhsa_system_vgpr_workitem_id 1
		.amdhsa_next_free_vgpr 150
		.amdhsa_next_free_sgpr 42
		.amdhsa_accum_offset 152
		.amdhsa_reserve_vcc 1
		.amdhsa_reserve_flat_scratch 0
		.amdhsa_float_round_mode_32 0
		.amdhsa_float_round_mode_16_64 0
		.amdhsa_float_denorm_mode_32 3
		.amdhsa_float_denorm_mode_16_64 3
		.amdhsa_dx10_clamp 1
		.amdhsa_ieee_mode 1
		.amdhsa_fp16_overflow 0
		.amdhsa_tg_split 0
		.amdhsa_exception_fp_ieee_invalid_op 0
		.amdhsa_exception_fp_denorm_src 0
		.amdhsa_exception_fp_ieee_div_zero 0
		.amdhsa_exception_fp_ieee_overflow 0
		.amdhsa_exception_fp_ieee_underflow 0
		.amdhsa_exception_fp_ieee_inexact 0
		.amdhsa_exception_int_div_zero 0
	.end_amdhsa_kernel
	.section	.text._ZL26rocblas_hemvn_kernel_upperILb0ELi64ELi4ELi33ELi32ELi16El19rocblas_complex_numIfEPKS1_PS1_EviT6_lT7_lT5_lS6_lS7_lS5_lT8_i,"axG",@progbits,_ZL26rocblas_hemvn_kernel_upperILb0ELi64ELi4ELi33ELi32ELi16El19rocblas_complex_numIfEPKS1_PS1_EviT6_lT7_lT5_lS6_lS7_lS5_lT8_i,comdat
.Lfunc_end116:
	.size	_ZL26rocblas_hemvn_kernel_upperILb0ELi64ELi4ELi33ELi32ELi16El19rocblas_complex_numIfEPKS1_PS1_EviT6_lT7_lT5_lS6_lS7_lS5_lT8_i, .Lfunc_end116-_ZL26rocblas_hemvn_kernel_upperILb0ELi64ELi4ELi33ELi32ELi16El19rocblas_complex_numIfEPKS1_PS1_EviT6_lT7_lT5_lS6_lS7_lS5_lT8_i
                                        ; -- End function
	.section	.AMDGPU.csdata,"",@progbits
; Kernel info:
; codeLenInByte = 8616
; NumSgprs: 46
; NumVgprs: 150
; NumAgprs: 0
; TotalNumVgprs: 150
; ScratchSize: 0
; MemoryBound: 1
; FloatMode: 240
; IeeeMode: 1
; LDSByteSize: 9600 bytes/workgroup (compile time only)
; SGPRBlocks: 5
; VGPRBlocks: 18
; NumSGPRsForWavesPerEU: 46
; NumVGPRsForWavesPerEU: 150
; AccumOffset: 152
; Occupancy: 3
; WaveLimiterHint : 0
; COMPUTE_PGM_RSRC2:SCRATCH_EN: 0
; COMPUTE_PGM_RSRC2:USER_SGPR: 6
; COMPUTE_PGM_RSRC2:TRAP_HANDLER: 0
; COMPUTE_PGM_RSRC2:TGID_X_EN: 1
; COMPUTE_PGM_RSRC2:TGID_Y_EN: 0
; COMPUTE_PGM_RSRC2:TGID_Z_EN: 1
; COMPUTE_PGM_RSRC2:TIDIG_COMP_CNT: 1
; COMPUTE_PGM_RSRC3_GFX90A:ACCUM_OFFSET: 37
; COMPUTE_PGM_RSRC3_GFX90A:TG_SPLIT: 0
	.section	.text._ZL26rocblas_hemvn_kernel_upperILb0ELi64ELi4ELi33ELi32ELi16Ei19rocblas_complex_numIfEPKS1_PS1_EviT6_lT7_lT5_lS6_lS7_lS5_lT8_i,"axG",@progbits,_ZL26rocblas_hemvn_kernel_upperILb0ELi64ELi4ELi33ELi32ELi16Ei19rocblas_complex_numIfEPKS1_PS1_EviT6_lT7_lT5_lS6_lS7_lS5_lT8_i,comdat
	.globl	_ZL26rocblas_hemvn_kernel_upperILb0ELi64ELi4ELi33ELi32ELi16Ei19rocblas_complex_numIfEPKS1_PS1_EviT6_lT7_lT5_lS6_lS7_lS5_lT8_i ; -- Begin function _ZL26rocblas_hemvn_kernel_upperILb0ELi64ELi4ELi33ELi32ELi16Ei19rocblas_complex_numIfEPKS1_PS1_EviT6_lT7_lT5_lS6_lS7_lS5_lT8_i
	.p2align	8
	.type	_ZL26rocblas_hemvn_kernel_upperILb0ELi64ELi4ELi33ELi32ELi16Ei19rocblas_complex_numIfEPKS1_PS1_EviT6_lT7_lT5_lS6_lS7_lS5_lT8_i,@function
_ZL26rocblas_hemvn_kernel_upperILb0ELi64ELi4ELi33ELi32ELi16Ei19rocblas_complex_numIfEPKS1_PS1_EviT6_lT7_lT5_lS6_lS7_lS5_lT8_i: ; @_ZL26rocblas_hemvn_kernel_upperILb0ELi64ELi4ELi33ELi32ELi16Ei19rocblas_complex_numIfEPKS1_PS1_EviT6_lT7_lT5_lS6_lS7_lS5_lT8_i
; %bb.0:
	s_load_dwordx2 s[2:3], s[4:5], 0x84
	s_add_u32 s0, s4, 0x78
	s_addc_u32 s1, s5, 0
	s_waitcnt lgkmcnt(0)
	s_lshr_b32 s8, s2, 16
	s_and_b32 s2, s2, 0xffff
	s_and_b32 s3, s3, 0xffff
	s_mul_i32 s2, s8, s2
	s_mul_i32 s2, s2, s3
	s_cmpk_lg_i32 s2, 0x100
	s_cbranch_scc1 .LBB117_148
; %bb.1:
	s_load_dwordx2 s[2:3], s[4:5], 0x4
	s_mov_b64 s[8:9], -1
	s_waitcnt lgkmcnt(0)
	s_or_b32 s2, s2, s3
	s_bitset0_b32 s2, 31
	s_cmp_lg_u32 s2, 0
	s_cselect_b64 s[2:3], -1, 0
	s_and_b64 vcc, exec, s[2:3]
	s_cbranch_vccnz .LBB117_3
; %bb.2:
	s_load_dwordx2 s[8:9], s[4:5], 0x58
	s_waitcnt lgkmcnt(0)
	v_cmp_neq_f32_e64 s[10:11], s8, 1.0
	v_cmp_neq_f32_e64 s[8:9], s9, 0
	s_or_b64 s[8:9], s[10:11], s[8:9]
.LBB117_3:
	s_andn2_b64 vcc, exec, s[8:9]
	s_cbranch_vccnz .LBB117_148
; %bb.4:
	s_andn2_b64 vcc, exec, s[2:3]
	s_cbranch_vccnz .LBB117_148
; %bb.5:
	s_load_dwordx2 s[2:3], s[4:5], 0x50
	s_load_dwordx2 s[12:13], s[4:5], 0x40
	s_load_dword s39, s[4:5], 0x48
	s_load_dword s33, s[0:1], 0x0
	;; [unrolled: 1-line block ×3, first 2 shown]
	s_load_dwordx4 s[8:11], s[4:5], 0x30
	s_waitcnt lgkmcnt(0)
	s_mul_i32 s0, s7, s3
	s_mul_hi_u32 s1, s7, s2
	s_add_i32 s1, s1, s0
	s_mul_i32 s0, s7, s2
	s_lshl_b64 s[0:1], s[0:1], 3
	s_add_u32 s2, s10, s0
	s_addc_u32 s3, s11, s1
	s_lshl_b64 s[0:1], s[12:13], 3
	s_add_u32 s0, s2, s0
	s_addc_u32 s1, s3, s1
	v_and_b32_e32 v30, 0x3ff, v0
	s_lshl_b32 s22, s6, 6
	s_ashr_i32 s41, s40, 31
	s_lshr_b32 s3, s41, 26
	v_add_u32_e32 v28, s22, v30
	v_bfe_u32 v71, v0, 10, 10
	s_add_i32 s3, s40, s3
	v_mul_lo_u32 v0, v28, s39
	s_andn2_b32 s3, s3, 63
	v_ashrrev_i32_e32 v1, 31, v0
	s_add_i32 s2, s33, -1
	s_sub_i32 s38, s40, s3
	v_lshlrev_b64 v[0:1], 3, v[0:1]
	s_cmp_eq_u32 s6, s2
	v_mov_b32_e32 v2, s1
	v_add_co_u32_e32 v12, vcc, s0, v0
	s_cselect_b32 s18, s38, 0
	v_addc_co_u32_e32 v13, vcc, v2, v1, vcc
	v_cmp_eq_u32_e64 s[0:1], 0, v71
	s_and_saveexec_b64 s[2:3], s[0:1]
	s_cbranch_execz .LBB117_10
; %bb.6:
	s_cmp_lg_u32 s18, 0
	s_cselect_b64 s[10:11], -1, 0
	v_cmp_le_i32_e32 vcc, s18, v30
	v_mov_b32_e32 v0, 0x2380
	s_and_b64 s[10:11], s[10:11], vcc
	v_lshl_add_u32 v0, v30, 3, v0
	s_and_saveexec_b64 s[12:13], s[10:11]
	s_xor_b64 s[10:11], exec, s[12:13]
	s_cbranch_execz .LBB117_8
; %bb.7:
	v_mov_b32_e32 v2, 0
	v_mov_b32_e32 v3, v2
	ds_write_b64 v0, v[2:3]
                                        ; implicit-def: $vgpr0
.LBB117_8:
	s_andn2_saveexec_b64 s[10:11], s[10:11]
	s_cbranch_execz .LBB117_10
; %bb.9:
	global_load_dwordx2 v[2:3], v[12:13], off
	s_waitcnt vmcnt(0)
	ds_write_b64 v0, v[2:3]
.LBB117_10:
	s_or_b64 exec, exec, s[2:3]
	s_load_dwordx4 s[12:15], s[4:5], 0x18
	s_load_dword s24, s[4:5], 0x28
	s_mul_i32 s2, s7, s9
	s_mul_hi_u32 s3, s7, s8
	s_add_i32 s3, s3, s2
	s_mul_i32 s2, s7, s8
	s_lshl_b64 s[2:3], s[2:3], 3
	s_waitcnt lgkmcnt(0)
	s_add_u32 s8, s12, s2
	s_addc_u32 s9, s13, s3
	s_lshl_b64 s[2:3], s[14:15], 3
	s_add_u32 s8, s8, s2
	s_addc_u32 s9, s9, s3
	s_ashr_i32 s23, s22, 31
	v_lshl_add_u32 v22, v71, 6, v30
	s_lshl_b64 s[2:3], s[22:23], 3
	v_and_b32_e32 v0, 31, v30
	v_lshrrev_b32_e32 v1, 5, v22
	s_add_u32 s8, s8, s2
	s_addc_u32 s9, s9, s3
	v_mad_u64_u32 v[2:3], s[2:3], v1, s24, v[0:1]
	s_mul_i32 s2, s22, s24
	s_ashr_i32 s3, s2, 31
	s_lshl_b64 s[2:3], s[2:3], 3
	s_add_u32 s2, s2, s8
	v_ashrrev_i32_e32 v3, 31, v2
	s_addc_u32 s3, s3, s9
	v_lshlrev_b64 v[14:15], 3, v[2:3]
	s_cmp_eq_u32 s18, 0
	v_mov_b32_e32 v3, s3
	v_add_co_u32_e32 v2, vcc, s2, v14
	s_cselect_b64 s[20:21], -1, 0
	s_cmp_lg_u32 s18, 0
	v_addc_co_u32_e32 v3, vcc, v3, v15, vcc
	s_cselect_b64 s[30:31], -1, 0
	s_and_b64 vcc, exec, s[30:31]
	v_cmp_gt_i32_e64 s[2:3], s18, v0
	v_lshlrev_b32_e32 v10, 3, v0
	s_cbranch_vccz .LBB117_26
; %bb.11:
	v_sub_co_u32_e32 v4, vcc, v2, v10
	s_ashr_i32 s19, s18, 31
	v_subbrev_co_u32_e32 v5, vcc, 0, v3, vcc
	s_lshl_b64 s[8:9], s[18:19], 3
	v_mov_b32_e32 v6, s9
	v_add_co_u32_e32 v4, vcc, s8, v4
	v_addc_co_u32_e32 v5, vcc, v5, v6, vcc
	v_add_co_u32_e32 v4, vcc, -8, v4
	v_addc_co_u32_e32 v5, vcc, -1, v5, vcc
	v_mov_b32_e32 v6, 0
	v_cndmask_b32_e64 v5, v5, v3, s[2:3]
	v_cndmask_b32_e64 v4, v4, v2, s[2:3]
	v_cmp_gt_i32_e32 vcc, s18, v1
	v_mov_b32_e32 v7, v6
	s_and_saveexec_b64 s[10:11], vcc
	s_cbranch_execz .LBB117_13
; %bb.12:
	global_load_dwordx2 v[6:7], v[4:5], off
.LBB117_13:
	s_or_b64 exec, exec, s[10:11]
	v_mul_u32_u24_e32 v8, 33, v1
	v_add_lshl_u32 v8, v8, v0, 3
	s_waitcnt vmcnt(0)
	ds_write_b64 v8, v[6:7]
	v_add_u32_e32 v6, 8, v1
	v_cmp_le_i32_e32 vcc, s18, v6
	s_and_saveexec_b64 s[10:11], vcc
	s_xor_b64 s[10:11], exec, s[10:11]
	s_cbranch_execz .LBB117_15
; %bb.14:
	v_mul_u32_u24_e32 v6, 33, v6
	v_add_lshl_u32 v9, v6, v0, 3
	v_mov_b32_e32 v6, 0
	v_mov_b32_e32 v7, v6
	ds_write_b64 v9, v[6:7]
.LBB117_15:
	s_andn2_saveexec_b64 s[10:11], s[10:11]
	s_cbranch_execz .LBB117_17
; %bb.16:
	s_lshl_b32 s12, s24, 3
	s_ashr_i32 s13, s12, 31
	s_lshl_b64 s[12:13], s[12:13], 3
	v_mov_b32_e32 v7, s13
	v_add_co_u32_e32 v6, vcc, s12, v4
	v_addc_co_u32_e32 v7, vcc, v5, v7, vcc
	global_load_dwordx2 v[6:7], v[6:7], off
	s_waitcnt vmcnt(0)
	ds_write_b64 v8, v[6:7] offset:2112
.LBB117_17:
	s_or_b64 exec, exec, s[10:11]
	v_add_u32_e32 v6, 16, v1
	v_cmp_le_i32_e32 vcc, s18, v6
	s_and_saveexec_b64 s[10:11], vcc
	s_xor_b64 s[10:11], exec, s[10:11]
	s_cbranch_execz .LBB117_19
; %bb.18:
	v_mov_b32_e32 v6, 0
	v_mov_b32_e32 v7, v6
	ds_write_b64 v8, v[6:7] offset:4224
.LBB117_19:
	s_andn2_saveexec_b64 s[10:11], s[10:11]
	s_cbranch_execz .LBB117_21
; %bb.20:
	s_lshl_b32 s12, s24, 4
	s_ashr_i32 s13, s12, 31
	s_lshl_b64 s[12:13], s[12:13], 3
	v_mov_b32_e32 v7, s13
	v_add_co_u32_e32 v6, vcc, s12, v4
	v_addc_co_u32_e32 v7, vcc, v5, v7, vcc
	global_load_dwordx2 v[6:7], v[6:7], off
	s_waitcnt vmcnt(0)
	ds_write_b64 v8, v[6:7] offset:4224
.LBB117_21:
	s_or_b64 exec, exec, s[10:11]
	v_add_u32_e32 v6, 24, v1
	v_cmp_le_i32_e32 vcc, s18, v6
	s_and_saveexec_b64 s[10:11], vcc
	s_xor_b64 s[10:11], exec, s[10:11]
	s_cbranch_execz .LBB117_23
; %bb.22:
	v_mov_b32_e32 v6, 0
	v_mov_b32_e32 v7, v6
	ds_write_b64 v8, v[6:7] offset:6336
                                        ; implicit-def: $vgpr8
.LBB117_23:
	s_andn2_saveexec_b64 s[10:11], s[10:11]
	s_cbranch_execz .LBB117_25
; %bb.24:
	s_mul_i32 s12, s24, 24
	s_ashr_i32 s13, s12, 31
	s_lshl_b64 s[12:13], s[12:13], 3
	v_mov_b32_e32 v7, s13
	v_add_co_u32_e32 v6, vcc, s12, v4
	v_addc_co_u32_e32 v7, vcc, v5, v7, vcc
	global_load_dwordx2 v[6:7], v[6:7], off
	s_waitcnt vmcnt(0)
	ds_write_b64 v8, v[6:7] offset:6336
.LBB117_25:
	s_or_b64 exec, exec, s[10:11]
	v_add_co_u32_e32 v4, vcc, v4, v10
	v_addc_co_u32_e32 v5, vcc, 0, v5, vcc
	v_mov_b32_e32 v6, s9
	v_subrev_co_u32_e32 v4, vcc, s8, v4
	v_subb_co_u32_e32 v5, vcc, v5, v6, vcc
	v_add_co_u32_e32 v4, vcc, 8, v4
	v_addc_co_u32_e32 v5, vcc, 0, v5, vcc
	v_cndmask_b32_e64 v5, v5, v3, s[2:3]
	v_cndmask_b32_e64 v4, v4, v2, s[2:3]
	v_mul_u32_u24_e32 v11, 33, v1
	s_branch .LBB117_28
.LBB117_26:
                                        ; implicit-def: $vgpr4_vgpr5
	v_mul_u32_u24_e32 v11, 33, v1
	s_cbranch_execz .LBB117_28
; %bb.27:
	s_lshl_b32 s2, s24, 3
	s_ashr_i32 s3, s2, 31
	s_lshl_b64 s[2:3], s[2:3], 3
	v_mov_b32_e32 v5, s3
	v_add_co_u32_e32 v4, vcc, s2, v2
	s_ashr_i32 s25, s24, 31
	v_addc_co_u32_e32 v5, vcc, v3, v5, vcc
	s_lshl_b64 s[2:3], s[24:25], 6
	global_load_dwordx2 v[6:7], v[2:3], off
	global_load_dwordx2 v[8:9], v[4:5], off
	v_mov_b32_e32 v18, s3
	v_add_co_u32_e32 v4, vcc, s2, v4
	v_addc_co_u32_e32 v5, vcc, v5, v18, vcc
	global_load_dwordx2 v[16:17], v[4:5], off
	v_add_co_u32_e32 v4, vcc, s2, v4
	v_addc_co_u32_e32 v5, vcc, v5, v18, vcc
	global_load_dwordx2 v[4:5], v[4:5], off
	v_add_lshl_u32 v18, v11, v0, 3
	s_waitcnt vmcnt(3)
	ds_write_b64 v18, v[6:7]
	s_waitcnt vmcnt(2)
	ds_write_b64 v18, v[8:9] offset:2112
	s_waitcnt vmcnt(1)
	ds_write_b64 v18, v[16:17] offset:4224
	;; [unrolled: 2-line block ×3, first 2 shown]
	v_pk_mov_b32 v[4:5], v[2:3], v[2:3] op_sel:[0,1]
.LBB117_28:
	v_lshlrev_b32_e32 v2, 2, v1
	v_mul_u32_u24_e32 v18, 33, v0
	v_cmp_gt_u32_e64 s[16:17], v2, v0
	v_add_lshl_u32 v16, v2, v18, 3
	s_waitcnt lgkmcnt(0)
	s_barrier
	s_and_saveexec_b64 s[2:3], s[16:17]
	s_cbranch_execz .LBB117_30
; %bb.29:
	v_mul_u32_u24_e32 v3, 0x84, v1
	v_add_lshl_u32 v3, v3, v0, 3
	ds_read_b64 v[6:7], v3
	s_waitcnt lgkmcnt(0)
	ds_write_b64 v16, v[6:7]
.LBB117_30:
	s_or_b64 exec, exec, s[2:3]
	v_cmp_ge_u32_e64 s[8:9], v2, v0
	s_and_saveexec_b64 s[2:3], s[8:9]
	s_cbranch_execz .LBB117_32
; %bb.31:
	v_or_b32_e32 v3, 1, v2
	v_mul_u32_u24_e32 v3, 33, v3
	v_add_lshl_u32 v3, v3, v0, 3
	ds_read_b64 v[6:7], v3
	s_waitcnt lgkmcnt(0)
	ds_write_b64 v16, v[6:7] offset:8
.LBB117_32:
	s_or_b64 exec, exec, s[2:3]
	v_or_b32_e32 v3, 2, v2
	v_cmp_gt_u32_e64 s[10:11], v3, v0
	s_and_saveexec_b64 s[2:3], s[10:11]
	s_cbranch_execz .LBB117_34
; %bb.33:
	v_mul_u32_u24_e32 v3, 33, v3
	v_add_lshl_u32 v3, v3, v0, 3
	ds_read_b64 v[6:7], v3
	s_waitcnt lgkmcnt(0)
	ds_write_b64 v16, v[6:7] offset:16
.LBB117_34:
	s_or_b64 exec, exec, s[2:3]
	v_or_b32_e32 v3, 3, v2
	v_cmp_gt_u32_e64 s[12:13], v3, v0
	v_mad_u32_u24 v3, v3, 33, v0
	v_lshlrev_b32_e32 v19, 3, v3
	s_and_saveexec_b64 s[2:3], s[12:13]
	s_cbranch_execz .LBB117_36
; %bb.35:
	ds_read_b64 v[6:7], v19
	s_waitcnt lgkmcnt(0)
	ds_write_b64 v16, v[6:7] offset:24
.LBB117_36:
	s_or_b64 exec, exec, s[2:3]
	v_mul_u32_u24_e32 v3, 0x84, v1
	v_add_lshl_u32 v20, v3, v0, 3
	s_waitcnt lgkmcnt(0)
	s_barrier
	v_lshlrev_b32_e32 v17, 3, v2
	v_add_u32_e32 v21, 0xfffffdf0, v19
	ds_read_b64 v[2:3], v20
	ds_read_b128 v[6:9], v17 offset:9088
	ds_read2_b64 v[24:27], v21 offset1:33
	ds_read_b64 v[36:37], v19
	ds_read_b128 v[32:35], v17 offset:9104
	s_mov_b32 s14, 0
	s_mov_b32 s15, s14
	s_waitcnt lgkmcnt(3)
	v_pk_mul_f32 v[38:39], v[6:7], v[2:3] op_sel:[0,1]
	v_pk_fma_f32 v[40:41], v[6:7], v[2:3], v[38:39] op_sel:[0,0,1] op_sel_hi:[1,1,0] neg_lo:[0,0,1] neg_hi:[0,0,1]
	v_pk_fma_f32 v[2:3], v[6:7], v[2:3], v[38:39] op_sel:[0,0,1] op_sel_hi:[1,0,0]
	s_waitcnt lgkmcnt(2)
	v_pk_mul_f32 v[6:7], v[8:9], v[24:25] op_sel:[0,1]
	v_pk_fma_f32 v[38:39], v[8:9], v[24:25], v[6:7] op_sel:[0,0,1] op_sel_hi:[1,1,0] neg_lo:[0,0,1] neg_hi:[0,0,1]
	v_pk_fma_f32 v[6:7], v[8:9], v[24:25], v[6:7] op_sel:[0,0,1] op_sel_hi:[1,0,0]
	v_mov_b32_e32 v41, v3
	v_mov_b32_e32 v39, v7
	s_waitcnt lgkmcnt(0)
	v_pk_mul_f32 v[6:7], v[32:33], v[26:27] op_sel:[0,1]
	v_pk_add_f32 v[2:3], v[40:41], 0 op_sel_hi:[1,0]
	v_pk_fma_f32 v[8:9], v[32:33], v[26:27], v[6:7] op_sel:[0,0,1] op_sel_hi:[1,1,0] neg_lo:[0,0,1] neg_hi:[0,0,1]
	v_pk_fma_f32 v[6:7], v[32:33], v[26:27], v[6:7] op_sel:[0,0,1] op_sel_hi:[1,0,0]
	v_pk_add_f32 v[2:3], v[2:3], v[38:39]
	v_mov_b32_e32 v9, v7
	v_pk_mul_f32 v[6:7], v[34:35], v[36:37] op_sel:[0,1]
	v_pk_add_f32 v[2:3], v[2:3], v[8:9]
	v_pk_fma_f32 v[8:9], v[34:35], v[36:37], v[6:7] op_sel:[0,0,1] op_sel_hi:[1,1,0] neg_lo:[0,0,1] neg_hi:[0,0,1]
	v_pk_fma_f32 v[6:7], v[34:35], v[36:37], v[6:7] op_sel:[0,0,1] op_sel_hi:[1,0,0]
	v_mov_b32_e32 v9, v7
	v_add_lshl_u32 v23, v1, v18, 3
	v_pk_add_f32 v[2:3], v[2:3], v[8:9]
	v_cmp_gt_u32_e64 s[2:3], 32, v22
	v_pk_mov_b32 v[32:33], s[14:15], s[14:15] op_sel:[0,1]
	v_lshlrev_b32_e32 v24, 3, v18
	s_barrier
	ds_write_b64 v23, v[2:3]
	s_waitcnt lgkmcnt(0)
	s_barrier
	s_and_saveexec_b64 s[14:15], s[2:3]
	s_cbranch_execz .LBB117_38
; %bb.37:
	ds_read2_b64 v[6:9], v24 offset1:7
	ds_read2_b64 v[32:35], v24 offset0:1 offset1:2
	ds_read2_b64 v[36:39], v24 offset0:3 offset1:4
	s_waitcnt lgkmcnt(1)
	v_add_f32_e32 v2, v32, v6
	v_add_f32_e32 v3, v33, v7
	;; [unrolled: 1-line block ×4, first 2 shown]
	ds_read2_b64 v[32:35], v24 offset0:5 offset1:6
	s_waitcnt lgkmcnt(1)
	v_add_f32_e32 v2, v2, v36
	v_add_f32_e32 v3, v3, v37
	;; [unrolled: 1-line block ×4, first 2 shown]
	s_waitcnt lgkmcnt(0)
	v_add_f32_e32 v2, v2, v32
	v_add_f32_e32 v3, v3, v33
	;; [unrolled: 1-line block ×4, first 2 shown]
	v_pk_add_f32 v[32:33], v[2:3], v[8:9]
.LBB117_38:
	s_or_b64 exec, exec, s[14:15]
	s_lshl_b32 s26, s24, 5
	s_ashr_i32 s27, s26, 31
	s_lshl_b64 s[28:29], s[26:27], 3
	v_mov_b32_e32 v2, s29
	v_add_co_u32_e32 v6, vcc, s28, v4
	v_addc_co_u32_e32 v7, vcc, v5, v2, vcc
	v_add_co_u32_e32 v4, vcc, 0x100, v6
	v_addc_co_u32_e32 v5, vcc, 0, v7, vcc
	s_and_b64 vcc, exec, s[30:31]
	s_barrier
	s_cbranch_vccz .LBB117_54
; %bb.39:
	v_sub_co_u32_e32 v3, vcc, v4, v10
	s_ashr_i32 s19, s18, 31
	v_subbrev_co_u32_e32 v8, vcc, 0, v5, vcc
	s_lshl_b64 s[34:35], s[18:19], 3
	v_mov_b32_e32 v9, s35
	v_add_co_u32_e32 v3, vcc, s34, v3
	v_addc_co_u32_e32 v8, vcc, v8, v9, vcc
	v_or_b32_e32 v2, 32, v0
	v_add_co_u32_e32 v9, vcc, 0xfffffef8, v3
	v_addc_co_u32_e32 v3, vcc, -1, v8, vcc
	v_cmp_gt_i32_e64 s[14:15], s18, v2
	s_sub_i32 s19, s18, 32
	v_mov_b32_e32 v8, 0
	v_cndmask_b32_e64 v3, v3, v5, s[14:15]
	v_cndmask_b32_e64 v2, v9, v4, s[14:15]
	v_cmp_gt_i32_e32 vcc, s19, v1
	v_mov_b32_e32 v9, v8
	s_and_saveexec_b64 s[36:37], vcc
	s_cbranch_execz .LBB117_41
; %bb.40:
	global_load_dwordx2 v[8:9], v[2:3], off
.LBB117_41:
	s_or_b64 exec, exec, s[36:37]
	v_add_lshl_u32 v25, v11, v0, 3
	s_waitcnt vmcnt(0)
	ds_write_b64 v25, v[8:9]
	v_add_u32_e32 v8, 8, v1
	v_cmp_le_i32_e32 vcc, s19, v8
	s_and_saveexec_b64 s[36:37], vcc
	s_xor_b64 s[36:37], exec, s[36:37]
	s_cbranch_execz .LBB117_43
; %bb.42:
	v_mul_u32_u24_e32 v8, 33, v8
	v_add_lshl_u32 v26, v8, v0, 3
	v_mov_b32_e32 v8, 0
	v_mov_b32_e32 v9, v8
	ds_write_b64 v26, v[8:9]
.LBB117_43:
	s_andn2_saveexec_b64 s[36:37], s[36:37]
	s_cbranch_execz .LBB117_45
; %bb.44:
	s_lshl_b32 s42, s24, 3
	s_ashr_i32 s43, s42, 31
	s_lshl_b64 s[42:43], s[42:43], 3
	v_mov_b32_e32 v9, s43
	v_add_co_u32_e32 v8, vcc, s42, v2
	v_addc_co_u32_e32 v9, vcc, v3, v9, vcc
	global_load_dwordx2 v[8:9], v[8:9], off
	s_waitcnt vmcnt(0)
	ds_write_b64 v25, v[8:9] offset:2112
.LBB117_45:
	s_or_b64 exec, exec, s[36:37]
	v_add_u32_e32 v8, 16, v1
	v_cmp_le_i32_e32 vcc, s19, v8
	s_and_saveexec_b64 s[36:37], vcc
	s_xor_b64 s[36:37], exec, s[36:37]
	s_cbranch_execz .LBB117_47
; %bb.46:
	v_mul_u32_u24_e32 v8, 33, v8
	v_add_lshl_u32 v26, v8, v0, 3
	v_mov_b32_e32 v8, 0
	v_mov_b32_e32 v9, v8
	ds_write_b64 v26, v[8:9]
.LBB117_47:
	s_andn2_saveexec_b64 s[36:37], s[36:37]
	s_cbranch_execz .LBB117_49
; %bb.48:
	s_lshl_b32 s42, s24, 4
	s_ashr_i32 s43, s42, 31
	s_lshl_b64 s[42:43], s[42:43], 3
	v_mov_b32_e32 v9, s43
	v_add_co_u32_e32 v8, vcc, s42, v2
	v_addc_co_u32_e32 v9, vcc, v3, v9, vcc
	global_load_dwordx2 v[8:9], v[8:9], off
	s_waitcnt vmcnt(0)
	ds_write_b64 v25, v[8:9] offset:4224
.LBB117_49:
	s_or_b64 exec, exec, s[36:37]
	v_add_u32_e32 v8, 24, v1
	v_cmp_le_i32_e32 vcc, s19, v8
	s_and_saveexec_b64 s[36:37], vcc
	s_xor_b64 s[36:37], exec, s[36:37]
	s_cbranch_execz .LBB117_51
; %bb.50:
	v_mov_b32_e32 v8, 0
	v_mov_b32_e32 v9, v8
	ds_write_b64 v25, v[8:9] offset:6336
                                        ; implicit-def: $vgpr25
.LBB117_51:
	s_andn2_saveexec_b64 s[36:37], s[36:37]
	s_cbranch_execz .LBB117_53
; %bb.52:
	s_mul_i32 s42, s24, 24
	s_ashr_i32 s43, s42, 31
	s_lshl_b64 s[42:43], s[42:43], 3
	v_mov_b32_e32 v9, s43
	v_add_co_u32_e32 v8, vcc, s42, v2
	v_addc_co_u32_e32 v9, vcc, v3, v9, vcc
	global_load_dwordx2 v[8:9], v[8:9], off
	s_waitcnt vmcnt(0)
	ds_write_b64 v25, v[8:9] offset:6336
.LBB117_53:
	s_or_b64 exec, exec, s[36:37]
	v_add_co_u32_e32 v2, vcc, v2, v10
	v_addc_co_u32_e32 v3, vcc, 0, v3, vcc
	v_mov_b32_e32 v8, s35
	v_subrev_co_u32_e32 v2, vcc, s34, v2
	v_subb_co_u32_e32 v3, vcc, v3, v8, vcc
	v_add_co_u32_e32 v2, vcc, 0x108, v2
	v_addc_co_u32_e32 v3, vcc, 0, v3, vcc
	v_cndmask_b32_e64 v3, v3, v5, s[14:15]
	v_cndmask_b32_e64 v2, v2, v4, s[14:15]
	s_branch .LBB117_56
.LBB117_54:
                                        ; implicit-def: $vgpr2_vgpr3
	s_cbranch_execz .LBB117_56
; %bb.55:
	s_lshl_b32 s14, s24, 3
	s_ashr_i32 s15, s14, 31
	s_lshl_b64 s[14:15], s[14:15], 3
	v_mov_b32_e32 v3, s15
	v_add_co_u32_e32 v2, vcc, s14, v6
	s_ashr_i32 s25, s24, 31
	v_addc_co_u32_e32 v3, vcc, v7, v3, vcc
	s_lshl_b64 s[14:15], s[24:25], 6
	v_mov_b32_e32 v25, s15
	v_add_co_u32_e32 v8, vcc, s14, v2
	v_addc_co_u32_e32 v9, vcc, v3, v25, vcc
	v_add_co_u32_e32 v26, vcc, s14, v8
	v_addc_co_u32_e32 v27, vcc, v9, v25, vcc
	global_load_dwordx2 v[34:35], v[6:7], off offset:256
	global_load_dwordx2 v[36:37], v[2:3], off offset:256
	global_load_dwordx2 v[38:39], v[8:9], off offset:256
	global_load_dwordx2 v[40:41], v[26:27], off offset:256
	v_add_lshl_u32 v2, v11, v0, 3
	s_waitcnt vmcnt(3)
	ds_write_b64 v2, v[34:35]
	s_waitcnt vmcnt(2)
	ds_write_b64 v2, v[36:37] offset:2112
	s_waitcnt vmcnt(1)
	ds_write_b64 v2, v[38:39] offset:4224
	;; [unrolled: 2-line block ×3, first 2 shown]
	v_pk_mov_b32 v[2:3], v[4:5], v[4:5] op_sel:[0,1]
.LBB117_56:
	s_waitcnt lgkmcnt(0)
	s_barrier
	s_and_saveexec_b64 s[14:15], s[16:17]
	s_cbranch_execnz .LBB117_79
; %bb.57:
	s_or_b64 exec, exec, s[14:15]
	s_and_saveexec_b64 s[14:15], s[8:9]
	s_cbranch_execnz .LBB117_80
.LBB117_58:
	s_or_b64 exec, exec, s[14:15]
	s_and_saveexec_b64 s[8:9], s[10:11]
	s_cbranch_execnz .LBB117_81
.LBB117_59:
	s_or_b64 exec, exec, s[8:9]
	v_add_u32_e32 v25, 0x2380, v17
	s_and_saveexec_b64 s[8:9], s[12:13]
	s_cbranch_execz .LBB117_61
.LBB117_60:
	ds_read_b64 v[4:5], v19
	s_waitcnt lgkmcnt(0)
	ds_write_b64 v16, v[4:5] offset:24
.LBB117_61:
	s_or_b64 exec, exec, s[8:9]
	s_waitcnt lgkmcnt(0)
	s_barrier
	ds_read_b64 v[8:9], v20
	ds_read_b128 v[4:7], v25 offset:256
	ds_read2_b64 v[34:37], v21 offset1:33
	ds_read_b64 v[16:17], v19
	ds_read_b128 v[38:41], v25 offset:272
	v_cmp_eq_u32_e64 s[8:9], 1, v1
	s_waitcnt lgkmcnt(3)
	v_pk_mul_f32 v[26:27], v[4:5], v[8:9] op_sel:[0,1]
	v_pk_fma_f32 v[42:43], v[4:5], v[8:9], v[26:27] op_sel:[0,0,1] op_sel_hi:[1,1,0] neg_lo:[0,0,1] neg_hi:[0,0,1]
	v_pk_fma_f32 v[4:5], v[4:5], v[8:9], v[26:27] op_sel:[0,0,1] op_sel_hi:[1,0,0]
	s_waitcnt lgkmcnt(2)
	v_pk_mul_f32 v[8:9], v[6:7], v[34:35] op_sel:[0,1]
	v_pk_fma_f32 v[26:27], v[6:7], v[34:35], v[8:9] op_sel:[0,0,1] op_sel_hi:[1,1,0] neg_lo:[0,0,1] neg_hi:[0,0,1]
	v_pk_fma_f32 v[6:7], v[6:7], v[34:35], v[8:9] op_sel:[0,0,1] op_sel_hi:[1,0,0]
	v_mov_b32_e32 v43, v5
	v_mov_b32_e32 v27, v7
	s_waitcnt lgkmcnt(0)
	v_pk_mul_f32 v[6:7], v[38:39], v[36:37] op_sel:[0,1]
	v_pk_add_f32 v[4:5], v[42:43], 0 op_sel_hi:[1,0]
	v_pk_fma_f32 v[8:9], v[38:39], v[36:37], v[6:7] op_sel:[0,0,1] op_sel_hi:[1,1,0] neg_lo:[0,0,1] neg_hi:[0,0,1]
	v_pk_fma_f32 v[6:7], v[38:39], v[36:37], v[6:7] op_sel:[0,0,1] op_sel_hi:[1,0,0]
	v_pk_add_f32 v[4:5], v[4:5], v[26:27]
	v_mov_b32_e32 v9, v7
	v_pk_mul_f32 v[6:7], v[40:41], v[16:17] op_sel:[0,1]
	v_pk_add_f32 v[4:5], v[4:5], v[8:9]
	v_pk_fma_f32 v[8:9], v[40:41], v[16:17], v[6:7] op_sel:[0,0,1] op_sel_hi:[1,1,0] neg_lo:[0,0,1] neg_hi:[0,0,1]
	v_pk_fma_f32 v[6:7], v[40:41], v[16:17], v[6:7] op_sel:[0,0,1] op_sel_hi:[1,0,0]
	v_mov_b32_e32 v9, v7
	v_pk_add_f32 v[4:5], v[4:5], v[8:9]
	s_barrier
	ds_write_b64 v23, v[4:5]
	s_waitcnt lgkmcnt(0)
	s_barrier
	s_and_saveexec_b64 s[10:11], s[8:9]
	s_cbranch_execz .LBB117_63
; %bb.62:
	ds_read2_b64 v[4:7], v24 offset1:7
	ds_read2_b64 v[32:35], v24 offset0:1 offset1:2
	ds_read2_b64 v[36:39], v24 offset0:3 offset1:4
	s_waitcnt lgkmcnt(1)
	v_add_f32_e32 v4, v32, v4
	v_add_f32_e32 v5, v33, v5
	;; [unrolled: 1-line block ×4, first 2 shown]
	ds_read2_b64 v[32:35], v24 offset0:5 offset1:6
	s_waitcnt lgkmcnt(1)
	v_add_f32_e32 v4, v4, v36
	v_add_f32_e32 v5, v5, v37
	;; [unrolled: 1-line block ×4, first 2 shown]
	s_waitcnt lgkmcnt(0)
	v_add_f32_e32 v4, v4, v32
	v_add_f32_e32 v5, v5, v33
	v_pk_add_f32 v[4:5], v[4:5], v[34:35]
	v_pk_add_f32 v[32:33], v[4:5], v[6:7]
.LBB117_63:
	s_or_b64 exec, exec, s[10:11]
	v_add_co_u32_e32 v4, vcc, 0xffffff00, v2
	v_addc_co_u32_e32 v5, vcc, -1, v3, vcc
	s_and_b64 vcc, exec, s[30:31]
	s_barrier
	s_cbranch_vccz .LBB117_82
; %bb.64:
	v_sub_co_u32_e32 v6, vcc, v2, v10
	s_ashr_i32 s19, s18, 31
	v_subbrev_co_u32_e32 v7, vcc, 0, v3, vcc
	s_lshl_b64 s[12:13], s[18:19], 3
	v_mov_b32_e32 v8, s13
	v_add_co_u32_e32 v6, vcc, s12, v6
	v_addc_co_u32_e32 v7, vcc, v7, v8, vcc
	v_add_co_u32_e32 v6, vcc, 0xfffffef8, v6
	v_addc_co_u32_e32 v7, vcc, -1, v7, vcc
	v_cmp_gt_i32_e32 vcc, s18, v0
	s_sub_i32 s16, s18, 32
	v_mov_b32_e32 v8, 0
	v_cndmask_b32_e32 v7, v7, v5, vcc
	v_cndmask_b32_e32 v6, v6, v4, vcc
	v_cmp_gt_i32_e64 s[10:11], s16, v1
	v_mov_b32_e32 v9, v8
	s_and_saveexec_b64 s[14:15], s[10:11]
	s_cbranch_execz .LBB117_66
; %bb.65:
	global_load_dwordx2 v[8:9], v[6:7], off
.LBB117_66:
	s_or_b64 exec, exec, s[14:15]
	v_add_lshl_u32 v16, v11, v0, 3
	s_waitcnt vmcnt(0)
	ds_write_b64 v16, v[8:9]
	v_add_u32_e32 v8, 8, v1
	v_cmp_le_i32_e64 s[10:11], s16, v8
	s_and_saveexec_b64 s[14:15], s[10:11]
	s_xor_b64 s[10:11], exec, s[14:15]
	s_cbranch_execz .LBB117_68
; %bb.67:
	v_mul_u32_u24_e32 v9, 33, v8
	v_mov_b32_e32 v26, 0
	v_add_lshl_u32 v9, v9, v0, 3
	v_mov_b32_e32 v27, v26
	ds_write_b64 v9, v[26:27]
.LBB117_68:
	s_andn2_saveexec_b64 s[14:15], s[10:11]
	s_cbranch_execz .LBB117_70
; %bb.69:
	s_lshl_b32 s10, s24, 3
	s_ashr_i32 s11, s10, 31
	s_lshl_b64 s[10:11], s[10:11], 3
	v_mov_b32_e32 v9, s11
	v_add_co_u32_e64 v26, s[10:11], s10, v6
	v_addc_co_u32_e64 v27, s[10:11], v7, v9, s[10:11]
	global_load_dwordx2 v[26:27], v[26:27], off
	s_waitcnt vmcnt(0)
	ds_write_b64 v16, v[26:27] offset:2112
.LBB117_70:
	s_or_b64 exec, exec, s[14:15]
	v_add_u32_e32 v9, 16, v1
	v_cmp_le_i32_e64 s[10:11], s16, v9
	s_and_saveexec_b64 s[14:15], s[10:11]
	s_xor_b64 s[10:11], exec, s[14:15]
	s_cbranch_execz .LBB117_72
; %bb.71:
	v_mov_b32_e32 v26, 0
	v_mov_b32_e32 v27, v26
	ds_write_b64 v16, v[26:27] offset:4224
.LBB117_72:
	s_andn2_saveexec_b64 s[14:15], s[10:11]
	s_cbranch_execz .LBB117_74
; %bb.73:
	s_lshl_b32 s10, s24, 4
	s_ashr_i32 s11, s10, 31
	s_lshl_b64 s[10:11], s[10:11], 3
	v_mov_b32_e32 v17, s11
	v_add_co_u32_e64 v26, s[10:11], s10, v6
	v_addc_co_u32_e64 v27, s[10:11], v7, v17, s[10:11]
	global_load_dwordx2 v[26:27], v[26:27], off
	s_waitcnt vmcnt(0)
	ds_write_b64 v16, v[26:27] offset:4224
.LBB117_74:
	s_or_b64 exec, exec, s[14:15]
	v_add_u32_e32 v26, 24, v1
	v_cmp_le_i32_e64 s[10:11], s16, v26
	s_and_saveexec_b64 s[14:15], s[10:11]
	s_xor_b64 s[10:11], exec, s[14:15]
	s_cbranch_execz .LBB117_76
; %bb.75:
	v_mov_b32_e32 v34, 0
	v_mov_b32_e32 v35, v34
	ds_write_b64 v16, v[34:35] offset:6336
                                        ; implicit-def: $vgpr16
.LBB117_76:
	s_andn2_saveexec_b64 s[14:15], s[10:11]
	s_cbranch_execz .LBB117_78
; %bb.77:
	s_mul_i32 s10, s24, 24
	s_ashr_i32 s11, s10, 31
	s_lshl_b64 s[10:11], s[10:11], 3
	v_mov_b32_e32 v17, s11
	v_add_co_u32_e64 v34, s[10:11], s10, v6
	v_addc_co_u32_e64 v35, s[10:11], v7, v17, s[10:11]
	global_load_dwordx2 v[34:35], v[34:35], off
	s_waitcnt vmcnt(0)
	ds_write_b64 v16, v[34:35] offset:6336
.LBB117_78:
	s_or_b64 exec, exec, s[14:15]
	v_add_co_u32_e64 v6, s[10:11], v6, v10
	v_addc_co_u32_e64 v7, s[10:11], 0, v7, s[10:11]
	v_mov_b32_e32 v10, s13
	v_subrev_co_u32_e64 v6, s[10:11], s12, v6
	v_subb_co_u32_e64 v7, s[10:11], v7, v10, s[10:11]
	v_add_co_u32_e64 v6, s[10:11], 8, v6
	v_addc_co_u32_e64 v7, s[10:11], 0, v7, s[10:11]
	v_cndmask_b32_e32 v17, v7, v5, vcc
	v_cndmask_b32_e32 v16, v6, v4, vcc
	s_branch .LBB117_84
.LBB117_79:
	ds_read_b64 v[4:5], v20
	s_waitcnt lgkmcnt(0)
	ds_write_b64 v16, v[4:5]
	s_or_b64 exec, exec, s[14:15]
	s_and_saveexec_b64 s[14:15], s[8:9]
	s_cbranch_execz .LBB117_58
.LBB117_80:
	ds_read_b64 v[4:5], v21
	s_waitcnt lgkmcnt(0)
	ds_write_b64 v16, v[4:5] offset:8
	s_or_b64 exec, exec, s[14:15]
	s_and_saveexec_b64 s[8:9], s[10:11]
	s_cbranch_execz .LBB117_59
.LBB117_81:
	ds_read_b64 v[4:5], v21 offset:264
	s_waitcnt lgkmcnt(0)
	ds_write_b64 v16, v[4:5] offset:16
	s_or_b64 exec, exec, s[8:9]
	v_add_u32_e32 v25, 0x2380, v17
	s_and_saveexec_b64 s[8:9], s[12:13]
	s_cbranch_execnz .LBB117_60
	s_branch .LBB117_61
.LBB117_82:
                                        ; implicit-def: $vgpr16_vgpr17
                                        ; implicit-def: $vgpr8
                                        ; implicit-def: $vgpr9
                                        ; implicit-def: $vgpr26
	s_cbranch_execz .LBB117_84
; %bb.83:
	s_lshl_b32 s10, s24, 3
	s_ashr_i32 s11, s10, 31
	s_lshl_b64 s[10:11], s[10:11], 3
	global_load_dwordx2 v[6:7], v[2:3], off offset:-256
	v_mov_b32_e32 v8, s11
	v_add_co_u32_e32 v2, vcc, s10, v2
	s_ashr_i32 s25, s24, 31
	v_addc_co_u32_e32 v3, vcc, v3, v8, vcc
	s_lshl_b64 s[10:11], s[24:25], 6
	v_mov_b32_e32 v10, s11
	v_add_co_u32_e32 v8, vcc, s10, v2
	v_addc_co_u32_e32 v9, vcc, v3, v10, vcc
	global_load_dwordx2 v[16:17], v[2:3], off offset:-256
	global_load_dwordx2 v[34:35], v[8:9], off offset:-256
	v_add_co_u32_e32 v2, vcc, s10, v8
	v_addc_co_u32_e32 v3, vcc, v9, v10, vcc
	global_load_dwordx2 v[2:3], v[2:3], off offset:-256
	v_add_lshl_u32 v0, v11, v0, 3
	v_add_u32_e32 v8, 8, v1
	v_add_u32_e32 v9, 16, v1
	;; [unrolled: 1-line block ×3, first 2 shown]
	s_waitcnt vmcnt(3)
	ds_write_b64 v0, v[6:7]
	s_waitcnt vmcnt(2)
	ds_write_b64 v0, v[16:17] offset:2112
	s_waitcnt vmcnt(1)
	ds_write_b64 v0, v[34:35] offset:4224
	;; [unrolled: 2-line block ×3, first 2 shown]
	v_pk_mov_b32 v[16:17], v[4:5], v[4:5] op_sel:[0,1]
.LBB117_84:
	v_lshlrev_b32_e32 v36, 3, v8
	v_add_lshl_u32 v34, v9, v18, 3
	v_lshlrev_b32_e32 v46, 3, v9
	v_add_lshl_u32 v44, v26, v18, 3
	v_lshlrev_b32_e32 v42, 3, v26
	s_waitcnt lgkmcnt(0)
	s_barrier
	v_lshlrev_b32_e32 v29, 3, v1
	v_add_lshl_u32 v31, v8, v18, 3
	ds_read2_b64 v[4:7], v21 offset1:33
	ds_read_b64 v[20:21], v20
	ds_read_b128 v[8:11], v25 offset:256
	ds_read_b64 v[26:27], v23
	ds_read_b128 v[0:3], v25 offset:272
	ds_read_b64 v[34:35], v34
	ds_read_b64 v[36:37], v36 offset:9088
	ds_read_b64 v[38:39], v31
	ds_read_b64 v[40:41], v29 offset:9088
	;; [unrolled: 2-line block ×4, first 2 shown]
	s_waitcnt lgkmcnt(4)
	v_pk_mul_f32 v[48:49], v[40:41], v[26:27] op_sel:[0,1]
	v_pk_fma_f32 v[50:51], v[40:41], v[26:27], v[48:49] op_sel:[0,0,1] op_sel_hi:[1,1,0] neg_lo:[0,0,1] neg_hi:[0,0,1]
	v_pk_fma_f32 v[26:27], v[40:41], v[26:27], v[48:49] op_sel:[0,0,1] op_sel_hi:[1,0,0]
	v_pk_mul_f32 v[40:41], v[36:37], v[38:39] op_sel:[0,1]
	v_pk_fma_f32 v[48:49], v[36:37], v[38:39], v[40:41] op_sel:[0,0,1] op_sel_hi:[1,1,0] neg_lo:[0,0,1] neg_hi:[0,0,1]
	v_pk_fma_f32 v[36:37], v[36:37], v[38:39], v[40:41] op_sel:[0,0,1] op_sel_hi:[1,0,0]
	v_mov_b32_e32 v49, v37
	s_waitcnt lgkmcnt(0)
	v_pk_mul_f32 v[36:37], v[46:47], v[34:35] op_sel:[0,1]
	v_mov_b32_e32 v51, v27
	v_pk_fma_f32 v[38:39], v[46:47], v[34:35], v[36:37] op_sel:[0,0,1] op_sel_hi:[1,1,0] neg_lo:[0,0,1] neg_hi:[0,0,1]
	v_pk_fma_f32 v[34:35], v[46:47], v[34:35], v[36:37] op_sel:[0,0,1] op_sel_hi:[1,0,0]
	v_pk_add_f32 v[26:27], v[50:51], 0 op_sel_hi:[1,0]
	v_mov_b32_e32 v39, v35
	v_pk_mul_f32 v[34:35], v[42:43], v[44:45] op_sel:[0,1]
	v_pk_add_f32 v[26:27], v[26:27], v[48:49]
	v_pk_fma_f32 v[36:37], v[42:43], v[44:45], v[34:35] op_sel:[0,0,1] op_sel_hi:[1,1,0] neg_lo:[0,0,1] neg_hi:[0,0,1]
	v_pk_fma_f32 v[34:35], v[42:43], v[44:45], v[34:35] op_sel:[0,0,1] op_sel_hi:[1,0,0]
	v_pk_add_f32 v[26:27], v[26:27], v[38:39]
	v_mov_b32_e32 v37, v35
	v_pk_add_f32 v[26:27], v[26:27], v[36:37]
	s_barrier
	ds_write_b64 v23, v[26:27]
	s_waitcnt lgkmcnt(0)
	s_barrier
	s_and_saveexec_b64 s[10:11], s[8:9]
	s_cbranch_execz .LBB117_86
; %bb.85:
	ds_read2_b64 v[34:37], v24 offset1:1
	ds_read2_b64 v[38:41], v24 offset0:2 offset1:3
	ds_read2_b64 v[42:45], v24 offset0:6 offset1:7
	s_waitcnt lgkmcnt(2)
	v_pk_add_f32 v[26:27], v[32:33], v[34:35]
	ds_read2_b64 v[32:35], v24 offset0:4 offset1:5
	v_pk_add_f32 v[26:27], v[26:27], v[36:37]
	s_waitcnt lgkmcnt(2)
	v_pk_add_f32 v[26:27], v[26:27], v[38:39]
	v_pk_add_f32 v[26:27], v[26:27], v[40:41]
	s_waitcnt lgkmcnt(0)
	v_pk_add_f32 v[26:27], v[26:27], v[32:33]
	v_pk_add_f32 v[26:27], v[26:27], v[34:35]
	;; [unrolled: 1-line block ×4, first 2 shown]
.LBB117_86:
	s_or_b64 exec, exec, s[10:11]
	v_pk_mul_f32 v[26:27], v[8:9], v[20:21] op_sel:[0,1]
	v_pk_fma_f32 v[34:35], v[8:9], v[20:21], v[26:27] op_sel:[0,0,1] op_sel_hi:[1,1,0] neg_lo:[0,0,1] neg_hi:[0,0,1]
	v_pk_fma_f32 v[8:9], v[8:9], v[20:21], v[26:27] op_sel:[0,0,1] op_sel_hi:[1,0,0]
	v_pk_mul_f32 v[20:21], v[10:11], v[4:5] op_sel:[0,1]
	v_mov_b32_e32 v35, v9
	v_pk_fma_f32 v[26:27], v[10:11], v[4:5], v[20:21] op_sel:[0,0,1] op_sel_hi:[1,1,0] neg_lo:[0,0,1] neg_hi:[0,0,1]
	v_pk_fma_f32 v[4:5], v[10:11], v[4:5], v[20:21] op_sel:[0,0,1] op_sel_hi:[1,0,0]
	v_pk_add_f32 v[8:9], v[34:35], 0 op_sel_hi:[1,0]
	v_mov_b32_e32 v27, v5
	v_pk_add_f32 v[4:5], v[8:9], v[26:27]
	v_pk_mul_f32 v[8:9], v[0:1], v[6:7] op_sel:[0,1]
	v_pk_fma_f32 v[10:11], v[0:1], v[6:7], v[8:9] op_sel:[0,0,1] op_sel_hi:[1,1,0] neg_lo:[0,0,1] neg_hi:[0,0,1]
	v_pk_fma_f32 v[0:1], v[0:1], v[6:7], v[8:9] op_sel:[0,0,1] op_sel_hi:[1,0,0]
	v_mov_b32_e32 v11, v1
	v_pk_add_f32 v[0:1], v[4:5], v[10:11]
	v_pk_mul_f32 v[4:5], v[2:3], v[18:19] op_sel:[0,1]
	v_pk_fma_f32 v[6:7], v[2:3], v[18:19], v[4:5] op_sel:[0,0,1] op_sel_hi:[1,1,0] neg_lo:[0,0,1] neg_hi:[0,0,1]
	v_pk_fma_f32 v[2:3], v[2:3], v[18:19], v[4:5] op_sel:[0,0,1] op_sel_hi:[1,0,0]
	v_mov_b32_e32 v7, v3
	v_pk_add_f32 v[0:1], v[0:1], v[6:7]
	s_barrier
	ds_write_b64 v23, v[0:1]
	s_waitcnt lgkmcnt(0)
	s_barrier
	s_and_saveexec_b64 s[8:9], s[2:3]
	s_cbranch_execz .LBB117_88
; %bb.87:
	ds_read2_b64 v[0:3], v24 offset1:1
	ds_read2_b64 v[4:7], v24 offset0:2 offset1:3
	ds_read2_b64 v[8:11], v24 offset0:4 offset1:5
	s_waitcnt lgkmcnt(2)
	v_pk_add_f32 v[0:1], v[32:33], v[0:1]
	v_pk_add_f32 v[18:19], v[0:1], v[2:3]
	ds_read2_b64 v[0:3], v24 offset0:6 offset1:7
	s_waitcnt lgkmcnt(2)
	v_pk_add_f32 v[4:5], v[18:19], v[4:5]
	v_pk_add_f32 v[4:5], v[4:5], v[6:7]
	s_waitcnt lgkmcnt(1)
	v_pk_add_f32 v[4:5], v[4:5], v[8:9]
	v_pk_add_f32 v[4:5], v[4:5], v[10:11]
	;; [unrolled: 3-line block ×3, first 2 shown]
.LBB117_88:
	s_or_b64 exec, exec, s[8:9]
	s_load_dwordx2 s[2:3], s[4:5], 0x68
	s_mul_hi_u32 s4, s40, s7
	s_mul_i32 s41, s41, s7
	s_add_i32 s4, s4, s41
	s_mul_i32 s7, s40, s7
	s_mul_i32 s4, s4, s33
	s_mul_hi_u32 s5, s7, s33
	s_add_i32 s5, s5, s4
	s_mul_i32 s4, s7, s33
	s_lshl_b64 s[4:5], s[4:5], 3
	s_waitcnt lgkmcnt(0)
	s_add_u32 s4, s2, s4
	s_addc_u32 s5, s3, s5
	s_mul_hi_i32 s3, s40, s6
	s_mul_i32 s2, s40, s6
	s_lshl_b64 s[2:3], s[2:3], 3
	s_add_u32 s7, s4, s2
	s_addc_u32 s19, s5, s3
	s_add_i32 s8, s6, 1
	s_cmp_ge_u32 s8, s33
	v_lshlrev_b32_e32 v73, 3, v30
	s_barrier
	s_cbranch_scc1 .LBB117_146
; %bb.89:
	s_mul_i32 s2, s22, s39
	s_ashr_i32 s3, s2, 31
	s_lshl_b64 s[2:3], s[2:3], 3
	v_lshlrev_b32_e32 v130, 2, v71
	v_mov_b32_e32 v0, s3
	v_subrev_co_u32_e32 v131, vcc, s2, v12
	v_subb_co_u32_e32 v132, vcc, v13, v0, vcc
	v_mad_u64_u32 v[0:1], s[2:3], v130, s24, v[30:31]
	v_ashrrev_i32_e32 v1, 31, v0
	v_sub_co_u32_e32 v133, vcc, 0, v14
	s_lshl_b32 s2, s24, 4
	v_subb_co_u32_e32 v134, vcc, 0, v15, vcc
	v_lshlrev_b64 v[2:3], 3, v[0:1]
	s_lshl_b32 s31, s39, 6
	s_ashr_i32 s3, s2, 31
	s_ashr_i32 s25, s24, 31
	s_lshl_b32 s14, s24, 1
	s_mul_i32 s34, s24, 3
	s_mul_i32 s39, s39, s8
	v_mov_b32_e32 v4, s29
	v_add_co_u32_e32 v5, vcc, s28, v2
	s_add_i32 s30, s33, -2
	s_ashr_i32 s15, s14, 31
	s_ashr_i32 s35, s34, 31
	s_lshl_b64 s[4:5], s[24:25], 3
	s_lshl_b32 s10, s39, 6
	v_addc_co_u32_e32 v4, vcc, v4, v3, vcc
	s_lshl_b64 s[12:13], s[2:3], 5
	s_lshl_b64 s[8:9], s[24:25], 4
	v_add_co_u32_e32 v34, vcc, v16, v5
	s_add_u32 s11, s8, s28
	v_addc_co_u32_e32 v29, vcc, v17, v4, vcc
	s_addc_u32 s23, s9, s29
	v_mov_b32_e32 v4, s23
	v_add_co_u32_e32 v5, vcc, s11, v2
	v_addc_co_u32_e32 v4, vcc, v4, v3, vcc
	v_add_co_u32_e32 v36, vcc, v16, v5
	s_add_u32 s25, s4, s28
	v_addc_co_u32_e32 v31, vcc, v17, v4, vcc
	s_addc_u32 s36, s5, s29
	v_mov_b32_e32 v4, s36
	v_add_co_u32_e32 v5, vcc, s25, v2
	v_addc_co_u32_e32 v4, vcc, v4, v3, vcc
	s_lshl_b64 s[16:17], s[14:15], 3
	v_add_co_u32_e32 v38, vcc, v16, v5
	s_add_u32 s14, s28, s16
	v_addc_co_u32_e32 v35, vcc, v17, v4, vcc
	s_addc_u32 s15, s29, s17
	v_mov_b32_e32 v4, s15
	v_add_co_u32_e32 v5, vcc, s14, v2
	v_addc_co_u32_e32 v4, vcc, v4, v3, vcc
	s_lshl_b64 s[14:15], s[34:35], 3
	;; [unrolled: 8-line block ×3, first 2 shown]
	v_add_co_u32_e32 v42, vcc, v16, v5
	s_add_u32 s37, s28, s34
	v_addc_co_u32_e32 v39, vcc, v17, v4, vcc
	s_addc_u32 s39, s29, s35
	v_mov_b32_e32 v4, s39
	v_add_co_u32_e32 v5, vcc, s37, v2
	v_addc_co_u32_e32 v4, vcc, v4, v3, vcc
	v_add_co_u32_e32 v44, vcc, v16, v5
	s_add_u32 s25, s25, s34
	v_addc_co_u32_e32 v41, vcc, v17, v4, vcc
	s_addc_u32 s36, s36, s35
	v_mov_b32_e32 v4, s36
	v_add_co_u32_e32 v5, vcc, s25, v2
	v_addc_co_u32_e32 v4, vcc, v4, v3, vcc
	;; [unrolled: 7-line block ×5, first 2 shown]
	s_lshl_b64 s[34:35], s[2:3], 4
	v_add_co_u32_e32 v52, vcc, v16, v5
	s_add_u32 s3, s34, s28
	v_addc_co_u32_e32 v49, vcc, v17, v4, vcc
	s_addc_u32 s25, s35, s29
	v_mov_b32_e32 v4, s25
	v_add_co_u32_e32 v5, vcc, s3, v2
	v_addc_co_u32_e32 v4, vcc, v4, v3, vcc
	v_add_co_u32_e32 v54, vcc, v16, v5
	s_add_u32 s28, s3, s4
	v_addc_co_u32_e32 v51, vcc, v17, v4, vcc
	s_addc_u32 s29, s25, s5
	v_mov_b32_e32 v4, s29
	v_add_co_u32_e32 v5, vcc, s28, v2
	s_add_u32 s28, s3, s16
	v_addc_co_u32_e32 v4, vcc, v4, v3, vcc
	s_addc_u32 s29, s25, s17
	v_mov_b32_e32 v6, s29
	;; [unrolled: 5-line block ×4, first 2 shown]
	v_add_co_u32_e32 v11, vcc, s3, v2
	v_addc_co_u32_e32 v10, vcc, v10, v3, vcc
	v_mov_b32_e32 v2, s27
	v_add_co_u32_e32 v0, vcc, s26, v0
	v_addc_co_u32_e32 v1, vcc, v2, v1, vcc
	v_lshlrev_b64 v[0:1], 3, v[0:1]
	s_mul_hi_i32 s23, s2, 24
	v_mad_i64_i32 v[2:3], s[2:3], s2, 24, v[0:1]
	v_mov_b32_e32 v12, s5
	v_add_co_u32_e32 v13, vcc, s4, v2
	s_mul_i32 s11, s24, 0x180
	v_addc_co_u32_e32 v12, vcc, v3, v12, vcc
	v_mov_b32_e32 v14, s17
	v_add_co_u32_e32 v15, vcc, s16, v2
	s_add_u32 s2, s11, s8
	v_addc_co_u32_e32 v14, vcc, v3, v14, vcc
	s_addc_u32 s3, s23, s9
	v_mov_b32_e32 v18, s3
	v_add_co_u32_e32 v0, vcc, s2, v0
	v_addc_co_u32_e32 v1, vcc, v18, v1, vcc
	v_mov_b32_e32 v18, s15
	v_add_co_u32_e32 v19, vcc, s14, v2
	v_addc_co_u32_e32 v18, vcc, v3, v18, vcc
	v_add_co_u32_e32 v56, vcc, v16, v2
	v_addc_co_u32_e32 v53, vcc, v17, v3, vcc
	;; [unrolled: 2-line block ×8, first 2 shown]
	v_add_co_u32_e32 v70, vcc, v16, v0
	v_and_b32_e32 v2, 48, v30
	v_addc_co_u32_e32 v67, vcc, v17, v1, vcc
	s_movk_i32 s4, 0x218
	v_and_b32_e32 v1, 15, v30
	v_lshlrev_b32_e32 v3, 3, v2
	v_lshrrev_b32_e32 v0, 4, v22
	v_mad_u32_u24 v135, v1, s4, v3
	v_or_b32_e32 v3, 0x78, v73
	v_mad_u32_u24 v136, v1, s4, v3
	v_lshlrev_b32_e32 v3, 5, v0
	v_add_co_u32_e32 v72, vcc, v16, v19
	v_mad_u32_u24 v137, v1, s4, v3
	v_mov_b32_e32 v3, 0x2180
	s_movk_i32 s4, 0x860
	v_mul_i32_i24_e32 v0, 0xffffffe8, v0
	v_add_u32_e32 v2, s22, v2
	v_addc_co_u32_e32 v69, vcc, v17, v18, vcc
	v_cmp_gt_u32_e64 s[2:3], 64, v22
	v_lshl_add_u32 v138, v71, 5, v3
	v_add3_u32 v74, v2, v1, 64
	v_add_u32_e32 v139, v137, v0
	v_add_u32_e32 v140, 0x2180, v73
	;; [unrolled: 1-line block ×3, first 2 shown]
	v_or_b32_e32 v142, 1, v130
	v_or_b32_e32 v143, 2, v130
	v_or_b32_e32 v144, 3, v130
	v_mad_u32_u24 v145, v71, s4, v73
	v_add_u32_e32 v146, 16, v130
	v_add_u32_e32 v147, 17, v130
	;; [unrolled: 1-line block ×12, first 2 shown]
	v_mov_b32_e32 v76, 0
	s_branch .LBB117_91
.LBB117_90:                             ;   in Loop: Header=BB117_91 Depth=1
	s_or_b64 exec, exec, s[4:5]
	v_mul_f32_e32 v0, v87, v79
	v_fma_f32 v0, v86, v78, -v0
	v_mul_f32_e32 v2, v89, v81
	v_add_f32_e32 v0, v32, v0
	v_fma_f32 v2, v88, v80, -v2
	v_add_f32_e32 v0, v0, v2
	v_mul_f32_e32 v2, v91, v83
	v_fma_f32 v2, v90, v82, -v2
	v_mul_f32_e32 v1, v87, v78
	v_add_f32_e32 v0, v0, v2
	v_mul_f32_e32 v2, v93, v85
	v_mul_f32_e32 v3, v89, v80
	v_fma_f32 v2, v92, v84, -v2
	v_fmac_f32_e32 v1, v86, v79
	v_mul_f32_e32 v4, v91, v82
	v_add_f32_e32 v0, v0, v2
	v_add_f32_e32 v1, v33, v1
	v_fmac_f32_e32 v3, v88, v81
	v_mul_f32_e32 v2, v103, v95
	v_mul_f32_e32 v5, v93, v84
	v_add_f32_e32 v1, v1, v3
	v_fmac_f32_e32 v4, v90, v83
	v_fma_f32 v2, v102, v94, -v2
	v_add_f32_e32 v1, v1, v4
	v_fmac_f32_e32 v5, v92, v85
	v_mul_f32_e32 v6, v103, v94
	v_add_f32_e32 v0, v0, v2
	v_mul_f32_e32 v2, v105, v97
	v_add_f32_e32 v1, v1, v5
	v_fma_f32 v2, v104, v96, -v2
	v_mul_f32_e32 v7, v105, v96
	v_fmac_f32_e32 v6, v102, v95
	v_add_f32_e32 v0, v0, v2
	v_mul_f32_e32 v2, v107, v99
	v_mul_f32_e32 v3, v107, v98
	v_add_f32_e32 v1, v1, v6
	v_fmac_f32_e32 v7, v104, v97
	v_fma_f32 v2, v106, v98, -v2
	v_add_f32_e32 v1, v1, v7
	v_fmac_f32_e32 v3, v106, v99
	v_mul_f32_e32 v4, v109, v101
	v_mul_f32_e32 v5, v109, v100
	v_pk_add_f32 v[0:1], v[0:1], v[2:3]
	v_mov_b32_e32 v2, v111
	v_fma_f32 v4, v108, v100, -v4
	v_fmac_f32_e32 v5, v108, v101
	v_pk_mul_f32 v[2:3], v[118:119], v[2:3] op_sel_hi:[1,0]
	v_pk_add_f32 v[0:1], v[0:1], v[4:5]
	v_pk_fma_f32 v[4:5], v[118:119], v[110:111], v[2:3] op_sel:[0,0,1] op_sel_hi:[1,1,0] neg_lo:[0,0,1] neg_hi:[0,0,1]
	v_pk_fma_f32 v[2:3], v[118:119], v[110:111], v[2:3] op_sel:[0,0,1] op_sel_hi:[1,0,0]
	v_mov_b32_e32 v2, v113
	v_mov_b32_e32 v5, v3
	v_pk_mul_f32 v[2:3], v[8:9], v[2:3] op_sel_hi:[1,0]
	v_pk_add_f32 v[0:1], v[0:1], v[4:5]
	v_pk_fma_f32 v[4:5], v[8:9], v[112:113], v[2:3] op_sel:[0,0,1] op_sel_hi:[1,1,0] neg_lo:[0,0,1] neg_hi:[0,0,1]
	v_pk_fma_f32 v[2:3], v[8:9], v[112:113], v[2:3] op_sel:[0,0,1] op_sel_hi:[1,0,0]
	v_mov_b32_e32 v2, v115
	v_mov_b32_e32 v5, v3
	;; [unrolled: 6-line block ×5, first 2 shown]
	v_pk_mul_f32 v[2:3], v[18:19], v[2:3] op_sel_hi:[1,0]
	v_pk_fma_f32 v[6:7], v[18:19], v[124:125], v[2:3] op_sel:[0,0,1] op_sel_hi:[1,1,0] neg_lo:[0,0,1] neg_hi:[0,0,1]
	v_pk_fma_f32 v[2:3], v[18:19], v[124:125], v[2:3] op_sel:[0,0,1] op_sel_hi:[1,0,0]
	v_mov_b32_e32 v2, v127
	v_mov_b32_e32 v7, v3
	v_pk_mul_f32 v[2:3], v[12:13], v[2:3] op_sel_hi:[1,0]
	v_pk_fma_f32 v[8:9], v[12:13], v[126:127], v[2:3] op_sel:[0,0,1] op_sel_hi:[1,1,0] neg_lo:[0,0,1] neg_hi:[0,0,1]
	v_pk_fma_f32 v[2:3], v[12:13], v[126:127], v[2:3] op_sel:[0,0,1] op_sel_hi:[1,0,0]
	v_mov_b32_e32 v2, v129
	v_mov_b32_e32 v9, v3
	v_pk_mul_f32 v[2:3], v[14:15], v[2:3] op_sel_hi:[1,0]
	v_pk_add_f32 v[0:1], v[0:1], v[4:5]
	v_pk_fma_f32 v[10:11], v[14:15], v[128:129], v[2:3] op_sel:[0,0,1] op_sel_hi:[1,1,0] neg_lo:[0,0,1] neg_hi:[0,0,1]
	v_pk_fma_f32 v[2:3], v[14:15], v[128:129], v[2:3] op_sel:[0,0,1] op_sel_hi:[1,0,0]
	v_pk_add_f32 v[0:1], v[0:1], v[6:7]
	v_mov_b32_e32 v11, v3
	v_pk_add_f32 v[0:1], v[0:1], v[8:9]
	v_pk_add_f32 v[32:33], v[0:1], v[10:11]
	v_mov_b32_e32 v0, s13
	v_add_co_u32_e32 v34, vcc, s12, v34
	v_addc_co_u32_e32 v29, vcc, v29, v0, vcc
	v_add_co_u32_e32 v36, vcc, s12, v36
	v_addc_co_u32_e32 v31, vcc, v31, v0, vcc
	;; [unrolled: 2-line block ×19, first 2 shown]
	s_add_i32 s4, s6, 1
	s_add_i32 s10, s10, s31
	;; [unrolled: 1-line block ×3, first 2 shown]
	v_add_co_u32_e32 v72, vcc, s12, v72
	v_add_u32_e32 v74, 64, v74
	v_addc_co_u32_e32 v69, vcc, v69, v0, vcc
	s_cmp_ge_u32 s5, s33
	s_mov_b32 s6, s4
	s_barrier
	s_cbranch_scc1 .LBB117_146
.LBB117_91:                             ; =>This Inner Loop Header: Depth=1
	s_cmp_eq_u32 s30, s6
	s_cselect_b32 s24, s38, 0
	s_and_saveexec_b64 s[4:5], s[0:1]
	s_cbranch_execz .LBB117_96
; %bb.92:                               ;   in Loop: Header=BB117_91 Depth=1
	s_cmp_lg_u32 s24, 0
	s_cselect_b64 s[8:9], -1, 0
	v_cmp_le_i32_e32 vcc, s24, v30
	s_and_b64 s[8:9], s[8:9], vcc
	s_and_saveexec_b64 s[14:15], s[8:9]
	s_xor_b64 s[8:9], exec, s[14:15]
	s_cbranch_execz .LBB117_94
; %bb.93:                               ;   in Loop: Header=BB117_91 Depth=1
	v_mov_b32_e32 v77, v76
	ds_write_b64 v140, v[76:77]
.LBB117_94:                             ;   in Loop: Header=BB117_91 Depth=1
	s_andn2_saveexec_b64 s[8:9], s[8:9]
	s_cbranch_execz .LBB117_96
; %bb.95:                               ;   in Loop: Header=BB117_91 Depth=1
	s_ashr_i32 s11, s10, 31
	s_lshl_b64 s[8:9], s[10:11], 3
	v_mov_b32_e32 v1, s9
	v_add_co_u32_e32 v0, vcc, s8, v131
	v_addc_co_u32_e32 v1, vcc, v132, v1, vcc
	global_load_dwordx2 v[0:1], v[0:1], off
	s_waitcnt vmcnt(0)
	ds_write_b64 v140, v[0:1]
.LBB117_96:                             ;   in Loop: Header=BB117_91 Depth=1
	s_or_b64 exec, exec, s[4:5]
	s_cmp_eq_u32 s24, 0
	v_add_co_u32_e32 v0, vcc, v34, v133
	s_cselect_b64 s[14:15], -1, 0
	s_cmp_lg_u32 s24, 0
	v_addc_co_u32_e32 v1, vcc, v29, v134, vcc
	s_cselect_b64 s[8:9], -1, 0
	s_and_b64 vcc, exec, s[8:9]
	s_waitcnt lgkmcnt(0)
	s_barrier
	s_cbranch_vccz .LBB117_104
; %bb.97:                               ;   in Loop: Header=BB117_91 Depth=1
	v_pk_mov_b32 v[80:81], 0, 0
	v_cmp_gt_i32_e32 vcc, s24, v130
	v_pk_mov_b32 v[78:79], v[80:81], v[80:81] op_sel:[0,1]
	s_and_saveexec_b64 s[4:5], vcc
	s_cbranch_execz .LBB117_99
; %bb.98:                               ;   in Loop: Header=BB117_91 Depth=1
	global_load_dwordx2 v[78:79], v[0:1], off
.LBB117_99:                             ;   in Loop: Header=BB117_91 Depth=1
	s_or_b64 exec, exec, s[4:5]
	v_cmp_gt_i32_e32 vcc, s24, v142
	s_and_saveexec_b64 s[4:5], vcc
	s_cbranch_execz .LBB117_101
; %bb.100:                              ;   in Loop: Header=BB117_91 Depth=1
	v_add_co_u32_e32 v2, vcc, v38, v133
	v_addc_co_u32_e32 v3, vcc, v35, v134, vcc
	global_load_dwordx2 v[80:81], v[2:3], off
.LBB117_101:                            ;   in Loop: Header=BB117_91 Depth=1
	s_or_b64 exec, exec, s[4:5]
	v_cmp_gt_i32_e32 vcc, s24, v143
	v_pk_mov_b32 v[82:83], 0, 0
	s_and_saveexec_b64 s[4:5], vcc
	s_cbranch_execz .LBB117_103
; %bb.102:                              ;   in Loop: Header=BB117_91 Depth=1
	v_add_co_u32_e32 v2, vcc, v40, v133
	v_addc_co_u32_e32 v3, vcc, v37, v134, vcc
	global_load_dwordx2 v[82:83], v[2:3], off
.LBB117_103:                            ;   in Loop: Header=BB117_91 Depth=1
	s_or_b64 exec, exec, s[4:5]
	v_cmp_gt_i32_e64 s[4:5], s24, v144
	s_mov_b64 s[16:17], 0
	s_branch .LBB117_106
.LBB117_104:                            ;   in Loop: Header=BB117_91 Depth=1
	s_mov_b64 s[4:5], 0
                                        ; implicit-def: $sgpr16_sgpr17
                                        ; implicit-def: $vgpr82_vgpr83
                                        ; implicit-def: $vgpr80_vgpr81
                                        ; implicit-def: $vgpr78_vgpr79
	s_cbranch_execz .LBB117_106
; %bb.105:                              ;   in Loop: Header=BB117_91 Depth=1
	global_load_dwordx2 v[78:79], v[0:1], off
	v_add_co_u32_e32 v0, vcc, v38, v133
	v_addc_co_u32_e32 v1, vcc, v35, v134, vcc
	global_load_dwordx2 v[80:81], v[0:1], off
	v_add_co_u32_e32 v0, vcc, v36, v133
	v_addc_co_u32_e32 v1, vcc, v31, v134, vcc
	global_load_dwordx2 v[82:83], v[0:1], off
	s_or_b64 s[4:5], s[4:5], exec
                                        ; implicit-def: $sgpr16_sgpr17
.LBB117_106:                            ;   in Loop: Header=BB117_91 Depth=1
	v_pk_mov_b32 v[84:85], s[16:17], s[16:17] op_sel:[0,1]
	s_and_saveexec_b64 s[16:17], s[4:5]
	s_cbranch_execz .LBB117_108
; %bb.107:                              ;   in Loop: Header=BB117_91 Depth=1
	v_add_co_u32_e32 v0, vcc, v42, v133
	v_addc_co_u32_e32 v1, vcc, v39, v134, vcc
	global_load_dwordx2 v[84:85], v[0:1], off
.LBB117_108:                            ;   in Loop: Header=BB117_91 Depth=1
	s_or_b64 exec, exec, s[16:17]
	ds_read_b64 v[0:1], v141
	ds_read_b64 v[86:87], v138
	v_cndmask_b32_e64 v8, 0, 1, s[8:9]
	v_cmp_ne_u32_e64 s[4:5], 1, v8
	s_andn2_b64 vcc, exec, s[8:9]
	s_waitcnt vmcnt(0) lgkmcnt(1)
	v_mul_f32_e32 v2, v1, v79
	v_mul_f32_e32 v3, v1, v78
	v_fma_f32 v2, v0, v78, -v2
	v_fmac_f32_e32 v3, v0, v79
	v_mul_f32_e32 v4, v1, v81
	ds_write_b64 v145, v[2:3]
	v_mul_f32_e32 v3, v1, v80
	v_fma_f32 v2, v0, v80, -v4
	v_fmac_f32_e32 v3, v0, v81
	ds_read_b64 v[88:89], v138 offset:8
	ds_write_b64 v145, v[2:3] offset:536
	v_mul_f32_e32 v2, v1, v83
	v_mul_f32_e32 v3, v1, v82
	v_fma_f32 v2, v0, v82, -v2
	v_fmac_f32_e32 v3, v0, v83
	ds_read_b64 v[90:91], v138 offset:16
	ds_write_b64 v145, v[2:3] offset:1072
	v_mul_f32_e32 v2, v1, v85
	v_mul_f32_e32 v3, v0, v85
	v_fma_f32 v2, v0, v84, -v2
	v_fmac_f32_e32 v3, v1, v84
	ds_read_b64 v[92:93], v138 offset:24
	ds_write_b64 v145, v[2:3] offset:1608
	s_waitcnt lgkmcnt(0)
	s_barrier
	ds_read2_b64 v[4:7], v137 offset1:1
	ds_read2_b64 v[0:3], v137 offset0:2 offset1:3
	v_add_co_u32_e64 v8, s[8:9], v44, v133
	v_addc_co_u32_e64 v9, s[8:9], v41, v134, s[8:9]
	s_waitcnt lgkmcnt(0)
	s_barrier
	s_cbranch_vccnz .LBB117_116
; %bb.109:                              ;   in Loop: Header=BB117_91 Depth=1
	v_pk_mov_b32 v[96:97], 0, 0
	v_cmp_gt_i32_e32 vcc, s24, v146
	v_pk_mov_b32 v[94:95], v[96:97], v[96:97] op_sel:[0,1]
	s_and_saveexec_b64 s[8:9], vcc
	s_cbranch_execz .LBB117_111
; %bb.110:                              ;   in Loop: Header=BB117_91 Depth=1
	global_load_dwordx2 v[94:95], v[8:9], off
.LBB117_111:                            ;   in Loop: Header=BB117_91 Depth=1
	s_or_b64 exec, exec, s[8:9]
	v_cmp_gt_i32_e32 vcc, s24, v147
	s_and_saveexec_b64 s[8:9], vcc
	s_cbranch_execz .LBB117_113
; %bb.112:                              ;   in Loop: Header=BB117_91 Depth=1
	v_add_co_u32_e32 v10, vcc, v46, v133
	v_addc_co_u32_e32 v11, vcc, v43, v134, vcc
	global_load_dwordx2 v[96:97], v[10:11], off
.LBB117_113:                            ;   in Loop: Header=BB117_91 Depth=1
	s_or_b64 exec, exec, s[8:9]
	v_cmp_gt_i32_e32 vcc, s24, v148
	v_pk_mov_b32 v[98:99], 0, 0
	s_and_saveexec_b64 s[8:9], vcc
	s_cbranch_execz .LBB117_115
; %bb.114:                              ;   in Loop: Header=BB117_91 Depth=1
	v_add_co_u32_e32 v10, vcc, v48, v133
	v_addc_co_u32_e32 v11, vcc, v45, v134, vcc
	global_load_dwordx2 v[98:99], v[10:11], off
.LBB117_115:                            ;   in Loop: Header=BB117_91 Depth=1
	s_or_b64 exec, exec, s[8:9]
	v_cmp_gt_i32_e64 s[8:9], s24, v149
	s_mov_b64 s[16:17], 0
	s_branch .LBB117_118
.LBB117_116:                            ;   in Loop: Header=BB117_91 Depth=1
	s_mov_b64 s[8:9], 0
                                        ; implicit-def: $sgpr16_sgpr17
                                        ; implicit-def: $vgpr98_vgpr99
                                        ; implicit-def: $vgpr96_vgpr97
                                        ; implicit-def: $vgpr94_vgpr95
	s_cbranch_execz .LBB117_118
; %bb.117:                              ;   in Loop: Header=BB117_91 Depth=1
	global_load_dwordx2 v[94:95], v[8:9], off
	v_add_co_u32_e32 v8, vcc, v46, v133
	v_addc_co_u32_e32 v9, vcc, v43, v134, vcc
	global_load_dwordx2 v[96:97], v[8:9], off
	v_add_co_u32_e32 v8, vcc, v50, v133
	v_addc_co_u32_e32 v9, vcc, v47, v134, vcc
	global_load_dwordx2 v[98:99], v[8:9], off
	s_or_b64 s[8:9], s[8:9], exec
                                        ; implicit-def: $sgpr16_sgpr17
.LBB117_118:                            ;   in Loop: Header=BB117_91 Depth=1
	v_pk_mov_b32 v[100:101], s[16:17], s[16:17] op_sel:[0,1]
	s_and_saveexec_b64 s[16:17], s[8:9]
	s_cbranch_execz .LBB117_120
; %bb.119:                              ;   in Loop: Header=BB117_91 Depth=1
	v_add_co_u32_e32 v8, vcc, v52, v133
	v_addc_co_u32_e32 v9, vcc, v49, v134, vcc
	global_load_dwordx2 v[100:101], v[8:9], off
.LBB117_120:                            ;   in Loop: Header=BB117_91 Depth=1
	s_or_b64 exec, exec, s[16:17]
	ds_read_b64 v[8:9], v141
	ds_read_b64 v[102:103], v138 offset:128
	s_and_b64 vcc, exec, s[4:5]
	s_waitcnt vmcnt(0) lgkmcnt(1)
	v_mul_f32_e32 v10, v9, v95
	v_mul_f32_e32 v11, v9, v94
	v_fma_f32 v10, v8, v94, -v10
	v_fmac_f32_e32 v11, v8, v95
	v_mul_f32_e32 v12, v9, v97
	ds_write_b64 v145, v[10:11]
	v_mul_f32_e32 v11, v9, v96
	v_fma_f32 v10, v8, v96, -v12
	v_fmac_f32_e32 v11, v8, v97
	ds_read_b64 v[104:105], v138 offset:136
	ds_write_b64 v145, v[10:11] offset:536
	v_mul_f32_e32 v10, v9, v99
	v_mul_f32_e32 v11, v9, v98
	v_fma_f32 v10, v8, v98, -v10
	v_fmac_f32_e32 v11, v8, v99
	ds_read_b64 v[106:107], v138 offset:144
	ds_write_b64 v145, v[10:11] offset:1072
	v_mul_f32_e32 v10, v9, v101
	v_mul_f32_e32 v11, v8, v101
	v_fma_f32 v10, v8, v100, -v10
	v_fmac_f32_e32 v11, v9, v100
	ds_read_b64 v[108:109], v138 offset:152
	ds_write_b64 v145, v[10:11] offset:1608
	s_waitcnt lgkmcnt(0)
	s_barrier
	ds_read2_b64 v[16:19], v137 offset1:1
	ds_read2_b64 v[12:15], v137 offset0:2 offset1:3
	v_add_co_u32_e64 v8, s[8:9], v54, v133
	v_addc_co_u32_e64 v9, s[8:9], v51, v134, s[8:9]
	s_waitcnt lgkmcnt(0)
	s_barrier
	s_cbranch_vccnz .LBB117_128
; %bb.121:                              ;   in Loop: Header=BB117_91 Depth=1
	v_pk_mov_b32 v[112:113], 0, 0
	v_cmp_gt_i32_e32 vcc, s24, v150
	v_pk_mov_b32 v[110:111], v[112:113], v[112:113] op_sel:[0,1]
	s_and_saveexec_b64 s[8:9], vcc
	s_cbranch_execz .LBB117_123
; %bb.122:                              ;   in Loop: Header=BB117_91 Depth=1
	global_load_dwordx2 v[110:111], v[8:9], off
.LBB117_123:                            ;   in Loop: Header=BB117_91 Depth=1
	s_or_b64 exec, exec, s[8:9]
	v_cmp_gt_i32_e32 vcc, s24, v151
	s_and_saveexec_b64 s[8:9], vcc
	s_cbranch_execz .LBB117_125
; %bb.124:                              ;   in Loop: Header=BB117_91 Depth=1
	v_add_co_u32_e32 v10, vcc, v58, v133
	v_addc_co_u32_e32 v11, vcc, v55, v134, vcc
	global_load_dwordx2 v[112:113], v[10:11], off
.LBB117_125:                            ;   in Loop: Header=BB117_91 Depth=1
	s_or_b64 exec, exec, s[8:9]
	v_cmp_gt_i32_e32 vcc, s24, v152
	v_pk_mov_b32 v[114:115], 0, 0
	s_and_saveexec_b64 s[8:9], vcc
	s_cbranch_execz .LBB117_127
; %bb.126:                              ;   in Loop: Header=BB117_91 Depth=1
	v_add_co_u32_e32 v10, vcc, v60, v133
	v_addc_co_u32_e32 v11, vcc, v57, v134, vcc
	global_load_dwordx2 v[114:115], v[10:11], off
.LBB117_127:                            ;   in Loop: Header=BB117_91 Depth=1
	s_or_b64 exec, exec, s[8:9]
	v_cmp_gt_i32_e64 s[8:9], s24, v153
	s_mov_b64 s[16:17], 0
	s_branch .LBB117_130
.LBB117_128:                            ;   in Loop: Header=BB117_91 Depth=1
	s_mov_b64 s[8:9], 0
                                        ; implicit-def: $sgpr16_sgpr17
                                        ; implicit-def: $vgpr114_vgpr115
                                        ; implicit-def: $vgpr112_vgpr113
                                        ; implicit-def: $vgpr110_vgpr111
	s_cbranch_execz .LBB117_130
; %bb.129:                              ;   in Loop: Header=BB117_91 Depth=1
	global_load_dwordx2 v[110:111], v[8:9], off
	v_add_co_u32_e32 v8, vcc, v58, v133
	v_addc_co_u32_e32 v9, vcc, v55, v134, vcc
	global_load_dwordx2 v[112:113], v[8:9], off
	v_add_co_u32_e32 v8, vcc, v62, v133
	v_addc_co_u32_e32 v9, vcc, v59, v134, vcc
	global_load_dwordx2 v[114:115], v[8:9], off
	s_or_b64 s[8:9], s[8:9], exec
                                        ; implicit-def: $sgpr16_sgpr17
.LBB117_130:                            ;   in Loop: Header=BB117_91 Depth=1
	v_pk_mov_b32 v[116:117], s[16:17], s[16:17] op_sel:[0,1]
	s_and_saveexec_b64 s[16:17], s[8:9]
	s_cbranch_execz .LBB117_132
; %bb.131:                              ;   in Loop: Header=BB117_91 Depth=1
	v_add_co_u32_e32 v8, vcc, v64, v133
	v_addc_co_u32_e32 v9, vcc, v61, v134, vcc
	global_load_dwordx2 v[116:117], v[8:9], off
.LBB117_132:                            ;   in Loop: Header=BB117_91 Depth=1
	s_or_b64 exec, exec, s[16:17]
	ds_read_b64 v[8:9], v141
	ds_read_b64 v[118:119], v138 offset:256
	s_and_b64 vcc, exec, s[4:5]
	v_add_co_u32_e64 v128, s[4:5], v56, v133
	s_waitcnt vmcnt(0) lgkmcnt(1)
	v_mul_f32_e32 v10, v9, v111
	v_mul_f32_e32 v11, v9, v110
	;; [unrolled: 1-line block ×4, first 2 shown]
	v_fma_f32 v10, v8, v110, -v10
	v_fmac_f32_e32 v11, v8, v111
	v_fma_f32 v20, v8, v112, -v20
	v_fmac_f32_e32 v21, v8, v113
	ds_write2_b64 v145, v[10:11], v[20:21] offset1:67
	v_mul_f32_e32 v10, v9, v115
	v_mul_f32_e32 v11, v9, v114
	v_mul_f32_e32 v20, v9, v117
	v_mul_f32_e32 v21, v8, v117
	v_fma_f32 v10, v8, v114, -v10
	v_fmac_f32_e32 v11, v8, v115
	v_fma_f32 v20, v8, v116, -v20
	v_fmac_f32_e32 v21, v9, v116
	ds_write2_b64 v145, v[10:11], v[20:21] offset0:134 offset1:201
	ds_read2_b64 v[8:11], v138 offset0:33 offset1:34
	ds_read_b64 v[120:121], v138 offset:280
	s_waitcnt lgkmcnt(0)
	s_barrier
	ds_read2_b64 v[24:27], v137 offset1:1
	ds_read2_b64 v[20:23], v137 offset0:2 offset1:3
	v_addc_co_u32_e64 v129, s[4:5], v53, v134, s[4:5]
	s_waitcnt lgkmcnt(0)
	s_barrier
	s_cbranch_vccnz .LBB117_140
; %bb.133:                              ;   in Loop: Header=BB117_91 Depth=1
	v_pk_mov_b32 v[124:125], 0, 0
	v_cmp_gt_i32_e32 vcc, s24, v154
	v_pk_mov_b32 v[122:123], v[124:125], v[124:125] op_sel:[0,1]
	s_and_saveexec_b64 s[4:5], vcc
	s_cbranch_execz .LBB117_135
; %bb.134:                              ;   in Loop: Header=BB117_91 Depth=1
	global_load_dwordx2 v[122:123], v[128:129], off
.LBB117_135:                            ;   in Loop: Header=BB117_91 Depth=1
	s_or_b64 exec, exec, s[4:5]
	v_cmp_gt_i32_e32 vcc, s24, v155
	s_and_saveexec_b64 s[4:5], vcc
	s_cbranch_execz .LBB117_137
; %bb.136:                              ;   in Loop: Header=BB117_91 Depth=1
	v_add_co_u32_e32 v124, vcc, v66, v133
	v_addc_co_u32_e32 v125, vcc, v63, v134, vcc
	global_load_dwordx2 v[124:125], v[124:125], off
.LBB117_137:                            ;   in Loop: Header=BB117_91 Depth=1
	s_or_b64 exec, exec, s[4:5]
	v_cmp_gt_i32_e32 vcc, s24, v156
	v_pk_mov_b32 v[126:127], 0, 0
	s_and_saveexec_b64 s[4:5], vcc
	s_cbranch_execz .LBB117_139
; %bb.138:                              ;   in Loop: Header=BB117_91 Depth=1
	v_add_co_u32_e32 v126, vcc, v68, v133
	v_addc_co_u32_e32 v127, vcc, v65, v134, vcc
	global_load_dwordx2 v[126:127], v[126:127], off
.LBB117_139:                            ;   in Loop: Header=BB117_91 Depth=1
	s_or_b64 exec, exec, s[4:5]
	v_cmp_gt_i32_e64 s[4:5], s24, v157
	s_mov_b64 s[8:9], 0
	s_branch .LBB117_142
.LBB117_140:                            ;   in Loop: Header=BB117_91 Depth=1
	s_mov_b64 s[4:5], 0
                                        ; implicit-def: $sgpr8_sgpr9
                                        ; implicit-def: $vgpr126_vgpr127
                                        ; implicit-def: $vgpr124_vgpr125
                                        ; implicit-def: $vgpr122_vgpr123
	s_cbranch_execz .LBB117_142
; %bb.141:                              ;   in Loop: Header=BB117_91 Depth=1
	s_waitcnt vmcnt(0)
	v_add_co_u32_e32 v124, vcc, v66, v133
	v_addc_co_u32_e32 v125, vcc, v63, v134, vcc
	v_add_co_u32_e32 v126, vcc, v70, v133
	v_addc_co_u32_e32 v127, vcc, v67, v134, vcc
	global_load_dwordx2 v[122:123], v[128:129], off
	s_or_b64 s[4:5], s[4:5], exec
	global_load_dwordx2 v[124:125], v[124:125], off
                                        ; implicit-def: $sgpr8_sgpr9
	s_nop 0
	global_load_dwordx2 v[126:127], v[126:127], off
.LBB117_142:                            ;   in Loop: Header=BB117_91 Depth=1
	v_pk_mov_b32 v[128:129], s[8:9], s[8:9] op_sel:[0,1]
	s_and_saveexec_b64 s[8:9], s[4:5]
	s_cbranch_execz .LBB117_144
; %bb.143:                              ;   in Loop: Header=BB117_91 Depth=1
	v_add_co_u32_e32 v128, vcc, v72, v133
	v_addc_co_u32_e32 v129, vcc, v69, v134, vcc
	global_load_dwordx2 v[128:129], v[128:129], off
.LBB117_144:                            ;   in Loop: Header=BB117_91 Depth=1
	s_or_b64 exec, exec, s[8:9]
	v_pk_add_f32 v[24:25], v[24:25], 0 op_sel_hi:[1,0]
	v_pk_add_f32 v[24:25], v[24:25], v[26:27]
	v_pk_add_f32 v[20:21], v[24:25], v[20:21]
	;; [unrolled: 1-line block ×3, first 2 shown]
	ds_read_b64 v[20:21], v141
	v_pk_add_f32 v[16:17], v[16:17], 0 op_sel_hi:[1,0]
	v_pk_add_f32 v[16:17], v[16:17], v[18:19]
	v_pk_add_f32 v[12:13], v[16:17], v[12:13]
	;; [unrolled: 1-line block ×3, first 2 shown]
	s_waitcnt vmcnt(0) lgkmcnt(0)
	v_mul_f32_e32 v12, v21, v123
	v_mul_f32_e32 v13, v21, v122
	v_mul_f32_e32 v14, v21, v125
	v_mul_f32_e32 v15, v21, v124
	v_fma_f32 v12, v20, v122, -v12
	v_fmac_f32_e32 v13, v20, v123
	v_fma_f32 v14, v20, v124, -v14
	v_fmac_f32_e32 v15, v20, v125
	ds_write2_b64 v145, v[12:13], v[14:15] offset1:67
	v_mul_f32_e32 v12, v21, v127
	v_mul_f32_e32 v13, v21, v126
	;; [unrolled: 1-line block ×4, first 2 shown]
	v_fma_f32 v12, v20, v126, -v12
	v_fmac_f32_e32 v13, v20, v127
	v_fma_f32 v14, v20, v128, -v14
	v_fmac_f32_e32 v15, v21, v128
	ds_write2_b64 v145, v[12:13], v[14:15] offset0:134 offset1:201
	ds_read_b128 v[16:19], v138 offset:384
	ds_read_b128 v[12:15], v138 offset:400
	s_waitcnt lgkmcnt(0)
	s_barrier
	ds_read2_b64 v[20:23], v137 offset1:1
	v_pk_add_f32 v[4:5], v[4:5], 0 op_sel_hi:[1,0]
	v_pk_add_f32 v[158:159], v[4:5], v[6:7]
	ds_read2_b64 v[4:7], v137 offset0:2 offset1:3
	v_pk_add_f32 v[0:1], v[158:159], v[0:1]
	v_pk_add_f32 v[0:1], v[0:1], v[2:3]
	s_waitcnt lgkmcnt(1)
	v_pk_add_f32 v[2:3], v[20:21], 0 op_sel_hi:[1,0]
	v_cmp_gt_i32_e32 vcc, s24, v30
	v_pk_add_f32 v[2:3], v[2:3], v[22:23]
	s_or_b64 s[4:5], s[14:15], vcc
	s_waitcnt lgkmcnt(0)
	v_pk_add_f32 v[2:3], v[2:3], v[4:5]
	s_and_b64 s[8:9], s[2:3], s[4:5]
	v_pk_add_f32 v[2:3], v[2:3], v[6:7]
	s_barrier
	ds_write2_b64 v139, v[0:1], v[26:27] offset1:16
	ds_write2_b64 v139, v[24:25], v[2:3] offset0:32 offset1:48
	s_waitcnt lgkmcnt(0)
	s_barrier
	s_and_saveexec_b64 s[4:5], s[8:9]
	s_cbranch_execz .LBB117_90
; %bb.145:                              ;   in Loop: Header=BB117_91 Depth=1
	ds_read_b64 v[20:21], v135
	ds_read2_b64 v[0:3], v135 offset0:1 offset1:2
	ds_read2_b64 v[4:7], v135 offset0:3 offset1:4
	v_ashrrev_i32_e32 v75, 31, v74
	v_lshlrev_b64 v[22:23], 3, v[74:75]
	v_mov_b32_e32 v25, s19
	s_waitcnt lgkmcnt(1)
	v_add_f32_e32 v0, v0, v20
	v_add_f32_e32 v1, v1, v21
	;; [unrolled: 1-line block ×4, first 2 shown]
	ds_read2_b64 v[0:3], v135 offset0:5 offset1:6
	s_waitcnt lgkmcnt(1)
	v_add_f32_e32 v4, v20, v4
	v_add_f32_e32 v5, v21, v5
	;; [unrolled: 1-line block ×4, first 2 shown]
	ds_read2_b64 v[4:7], v135 offset0:7 offset1:8
	v_add_co_u32_e32 v24, vcc, s7, v22
	v_addc_co_u32_e32 v25, vcc, v25, v23, vcc
	s_waitcnt lgkmcnt(1)
	v_pk_add_f32 v[0:1], v[20:21], v[0:1]
	ds_read2_b64 v[20:23], v135 offset0:9 offset1:10
	v_pk_add_f32 v[0:1], v[0:1], v[2:3]
	s_waitcnt lgkmcnt(1)
	v_pk_add_f32 v[0:1], v[0:1], v[4:5]
	v_pk_add_f32 v[4:5], v[0:1], v[6:7]
	ds_read2_b64 v[0:3], v135 offset0:11 offset1:12
	s_waitcnt lgkmcnt(1)
	v_pk_add_f32 v[20:21], v[4:5], v[20:21]
	ds_read2_b64 v[4:7], v135 offset0:13 offset1:14
	v_pk_add_f32 v[20:21], v[20:21], v[22:23]
	ds_read_b64 v[22:23], v136
	s_waitcnt lgkmcnt(2)
	v_pk_add_f32 v[0:1], v[20:21], v[0:1]
	v_pk_add_f32 v[0:1], v[0:1], v[2:3]
	s_waitcnt lgkmcnt(1)
	v_pk_add_f32 v[0:1], v[0:1], v[4:5]
	v_pk_add_f32 v[0:1], v[0:1], v[6:7]
	s_waitcnt lgkmcnt(0)
	v_pk_add_f32 v[0:1], v[0:1], v[22:23]
	global_store_dwordx2 v[24:25], v[0:1], off
	s_branch .LBB117_90
.LBB117_146:
	s_movk_i32 s2, 0x218
	v_cmp_gt_i32_e32 vcc, s18, v30
	v_mad_u32_u24 v0, v71, s2, v73
	s_or_b64 s[2:3], s[20:21], vcc
	s_and_b64 s[0:1], s[0:1], s[2:3]
	ds_write_b64 v0, v[32:33]
	s_waitcnt lgkmcnt(0)
	s_barrier
	s_and_saveexec_b64 s[2:3], s[0:1]
	s_cbranch_execz .LBB117_148
; %bb.147:
	ds_read2_b64 v[0:3], v73 offset1:67
	ds_read2_b64 v[4:7], v73 offset0:134 offset1:201
	v_ashrrev_i32_e32 v29, 31, v28
	v_lshlrev_b64 v[8:9], 3, v[28:29]
	v_mov_b32_e32 v10, s19
	s_waitcnt lgkmcnt(1)
	v_pk_add_f32 v[0:1], v[2:3], v[0:1]
	v_add_co_u32_e32 v8, vcc, s7, v8
	s_waitcnt lgkmcnt(0)
	v_pk_add_f32 v[0:1], v[0:1], v[4:5]
	v_addc_co_u32_e32 v9, vcc, v10, v9, vcc
	v_pk_add_f32 v[0:1], v[0:1], v[6:7]
	global_store_dwordx2 v[8:9], v[0:1], off
.LBB117_148:
	s_endpgm
	.section	.rodata,"a",@progbits
	.p2align	6, 0x0
	.amdhsa_kernel _ZL26rocblas_hemvn_kernel_upperILb0ELi64ELi4ELi33ELi32ELi16Ei19rocblas_complex_numIfEPKS1_PS1_EviT6_lT7_lT5_lS6_lS7_lS5_lT8_i
		.amdhsa_group_segment_fixed_size 9600
		.amdhsa_private_segment_fixed_size 0
		.amdhsa_kernarg_size 376
		.amdhsa_user_sgpr_count 6
		.amdhsa_user_sgpr_private_segment_buffer 1
		.amdhsa_user_sgpr_dispatch_ptr 0
		.amdhsa_user_sgpr_queue_ptr 0
		.amdhsa_user_sgpr_kernarg_segment_ptr 1
		.amdhsa_user_sgpr_dispatch_id 0
		.amdhsa_user_sgpr_flat_scratch_init 0
		.amdhsa_user_sgpr_kernarg_preload_length 0
		.amdhsa_user_sgpr_kernarg_preload_offset 0
		.amdhsa_user_sgpr_private_segment_size 0
		.amdhsa_uses_dynamic_stack 0
		.amdhsa_system_sgpr_private_segment_wavefront_offset 0
		.amdhsa_system_sgpr_workgroup_id_x 1
		.amdhsa_system_sgpr_workgroup_id_y 0
		.amdhsa_system_sgpr_workgroup_id_z 1
		.amdhsa_system_sgpr_workgroup_info 0
		.amdhsa_system_vgpr_workitem_id 1
		.amdhsa_next_free_vgpr 160
		.amdhsa_next_free_sgpr 44
		.amdhsa_accum_offset 160
		.amdhsa_reserve_vcc 1
		.amdhsa_reserve_flat_scratch 0
		.amdhsa_float_round_mode_32 0
		.amdhsa_float_round_mode_16_64 0
		.amdhsa_float_denorm_mode_32 3
		.amdhsa_float_denorm_mode_16_64 3
		.amdhsa_dx10_clamp 1
		.amdhsa_ieee_mode 1
		.amdhsa_fp16_overflow 0
		.amdhsa_tg_split 0
		.amdhsa_exception_fp_ieee_invalid_op 0
		.amdhsa_exception_fp_denorm_src 0
		.amdhsa_exception_fp_ieee_div_zero 0
		.amdhsa_exception_fp_ieee_overflow 0
		.amdhsa_exception_fp_ieee_underflow 0
		.amdhsa_exception_fp_ieee_inexact 0
		.amdhsa_exception_int_div_zero 0
	.end_amdhsa_kernel
	.section	.text._ZL26rocblas_hemvn_kernel_upperILb0ELi64ELi4ELi33ELi32ELi16Ei19rocblas_complex_numIfEPKS1_PS1_EviT6_lT7_lT5_lS6_lS7_lS5_lT8_i,"axG",@progbits,_ZL26rocblas_hemvn_kernel_upperILb0ELi64ELi4ELi33ELi32ELi16Ei19rocblas_complex_numIfEPKS1_PS1_EviT6_lT7_lT5_lS6_lS7_lS5_lT8_i,comdat
.Lfunc_end117:
	.size	_ZL26rocblas_hemvn_kernel_upperILb0ELi64ELi4ELi33ELi32ELi16Ei19rocblas_complex_numIfEPKS1_PS1_EviT6_lT7_lT5_lS6_lS7_lS5_lT8_i, .Lfunc_end117-_ZL26rocblas_hemvn_kernel_upperILb0ELi64ELi4ELi33ELi32ELi16Ei19rocblas_complex_numIfEPKS1_PS1_EviT6_lT7_lT5_lS6_lS7_lS5_lT8_i
                                        ; -- End function
	.section	.AMDGPU.csdata,"",@progbits
; Kernel info:
; codeLenInByte = 8588
; NumSgprs: 48
; NumVgprs: 160
; NumAgprs: 0
; TotalNumVgprs: 160
; ScratchSize: 0
; MemoryBound: 1
; FloatMode: 240
; IeeeMode: 1
; LDSByteSize: 9600 bytes/workgroup (compile time only)
; SGPRBlocks: 5
; VGPRBlocks: 19
; NumSGPRsForWavesPerEU: 48
; NumVGPRsForWavesPerEU: 160
; AccumOffset: 160
; Occupancy: 3
; WaveLimiterHint : 1
; COMPUTE_PGM_RSRC2:SCRATCH_EN: 0
; COMPUTE_PGM_RSRC2:USER_SGPR: 6
; COMPUTE_PGM_RSRC2:TRAP_HANDLER: 0
; COMPUTE_PGM_RSRC2:TGID_X_EN: 1
; COMPUTE_PGM_RSRC2:TGID_Y_EN: 0
; COMPUTE_PGM_RSRC2:TGID_Z_EN: 1
; COMPUTE_PGM_RSRC2:TIDIG_COMP_CNT: 1
; COMPUTE_PGM_RSRC3_GFX90A:ACCUM_OFFSET: 39
; COMPUTE_PGM_RSRC3_GFX90A:TG_SPLIT: 0
	.section	.text._ZL26rocblas_hemvn_kernel_lowerILb0ELi64ELi4ELi33ELi32ELi16ElPK19rocblas_complex_numIfES3_PS1_EviT6_lT7_lT5_lS6_lS7_lS5_lT8_i,"axG",@progbits,_ZL26rocblas_hemvn_kernel_lowerILb0ELi64ELi4ELi33ELi32ELi16ElPK19rocblas_complex_numIfES3_PS1_EviT6_lT7_lT5_lS6_lS7_lS5_lT8_i,comdat
	.globl	_ZL26rocblas_hemvn_kernel_lowerILb0ELi64ELi4ELi33ELi32ELi16ElPK19rocblas_complex_numIfES3_PS1_EviT6_lT7_lT5_lS6_lS7_lS5_lT8_i ; -- Begin function _ZL26rocblas_hemvn_kernel_lowerILb0ELi64ELi4ELi33ELi32ELi16ElPK19rocblas_complex_numIfES3_PS1_EviT6_lT7_lT5_lS6_lS7_lS5_lT8_i
	.p2align	8
	.type	_ZL26rocblas_hemvn_kernel_lowerILb0ELi64ELi4ELi33ELi32ELi16ElPK19rocblas_complex_numIfES3_PS1_EviT6_lT7_lT5_lS6_lS7_lS5_lT8_i,@function
_ZL26rocblas_hemvn_kernel_lowerILb0ELi64ELi4ELi33ELi32ELi16ElPK19rocblas_complex_numIfES3_PS1_EviT6_lT7_lT5_lS6_lS7_lS5_lT8_i: ; @_ZL26rocblas_hemvn_kernel_lowerILb0ELi64ELi4ELi33ELi32ELi16ElPK19rocblas_complex_numIfES3_PS1_EviT6_lT7_lT5_lS6_lS7_lS5_lT8_i
; %bb.0:
	s_load_dwordx2 s[2:3], s[4:5], 0x84
	s_add_u32 s0, s4, 0x78
	s_addc_u32 s1, s5, 0
	s_waitcnt lgkmcnt(0)
	s_lshr_b32 s8, s2, 16
	s_and_b32 s2, s2, 0xffff
	s_and_b32 s3, s3, 0xffff
	s_mul_i32 s2, s8, s2
	s_mul_i32 s2, s2, s3
	s_cmpk_lg_i32 s2, 0x100
	s_cbranch_scc1 .LBB118_97
; %bb.1:
	s_load_dwordx16 s[12:27], s[4:5], 0x8
	s_waitcnt lgkmcnt(0)
	s_mul_i32 s3, s7, s15
	s_mul_hi_u32 s8, s7, s14
	s_mul_i32 s2, s7, s14
	s_add_i32 s3, s8, s3
	s_lshl_b64 s[2:3], s[2:3], 3
	s_add_u32 s2, s12, s2
	s_addc_u32 s3, s13, s3
	s_load_dwordx2 s[8:9], s[2:3], 0x0
	s_load_dwordx2 s[28:29], s[4:5], 0x68
	s_load_dwordx8 s[36:43], s[4:5], 0x48
	s_waitcnt lgkmcnt(0)
	s_or_b32 s2, s8, s9
	s_bitset0_b32 s2, 31
	s_cmp_lg_u32 s2, 0
	s_cselect_b64 s[2:3], -1, 0
	s_mov_b64 s[8:9], -1
	s_and_b64 vcc, exec, s[2:3]
	s_cbranch_vccnz .LBB118_3
; %bb.2:
	s_mul_i32 s8, s7, s43
	s_mul_hi_u32 s9, s7, s42
	s_add_i32 s9, s9, s8
	s_mul_i32 s8, s7, s42
	s_lshl_b64 s[8:9], s[8:9], 3
	s_add_u32 s8, s40, s8
	s_addc_u32 s9, s41, s9
	s_load_dwordx2 s[8:9], s[8:9], 0x0
	s_waitcnt lgkmcnt(0)
	v_cmp_neq_f32_e64 s[10:11], s8, 1.0
	v_cmp_neq_f32_e64 s[8:9], s9, 0
	s_or_b64 s[8:9], s[10:11], s[8:9]
.LBB118_3:
	s_andn2_b64 vcc, exec, s[8:9]
	s_cbranch_vccnz .LBB118_97
; %bb.4:
	s_andn2_b64 vcc, exec, s[2:3]
	s_cbranch_vccnz .LBB118_97
; %bb.5:
	s_load_dword s42, s[0:1], 0x0
	s_load_dword s33, s[4:5], 0x0
	s_mul_i32 s0, s7, s39
	s_mul_hi_u32 s1, s7, s38
	s_add_i32 s1, s1, s0
	s_mul_i32 s0, s7, s38
	s_lshl_b64 s[0:1], s[0:1], 3
	s_add_u32 s2, s24, s0
	s_addc_u32 s3, s25, s1
	s_lshl_b64 s[0:1], s[26:27], 3
	s_add_u32 s2, s2, s0
	s_addc_u32 s3, s3, s1
	s_waitcnt lgkmcnt(0)
	s_ashr_i32 s43, s33, 31
	s_lshr_b32 s1, s43, 26
	s_add_i32 s1, s33, s1
	v_and_b32_e32 v26, 0x3ff, v0
	s_lshl_b32 s26, s6, 6
	s_andn2_b32 s1, s1, 63
	s_add_i32 s0, s42, -1
	s_sub_i32 s1, s33, s1
	v_add_u32_e32 v16, s26, v26
	s_cmp_eq_u32 s6, s0
	v_ashrrev_i32_e32 v17, 31, v16
	v_bfe_u32 v72, v0, 10, 10
	s_cselect_b32 s24, s1, 0
	v_mul_lo_u32 v2, v17, s36
	v_mul_lo_u32 v3, v16, s37
	v_mad_u64_u32 v[0:1], s[0:1], v16, s36, 0
	v_add3_u32 v1, v1, v3, v2
	v_lshlrev_b64 v[0:1], 3, v[0:1]
	v_mov_b32_e32 v2, s3
	v_add_co_u32_e32 v20, vcc, s2, v0
	v_addc_co_u32_e32 v21, vcc, v2, v1, vcc
	v_cmp_ne_u32_e64 s[0:1], 0, v72
	v_cmp_eq_u32_e64 s[2:3], 0, v72
	s_and_saveexec_b64 s[4:5], s[2:3]
	s_cbranch_execz .LBB118_10
; %bb.6:
	s_cmp_lg_u32 s24, 0
	s_cselect_b64 s[8:9], -1, 0
	v_cmp_le_i32_e32 vcc, s24, v26
	v_mov_b32_e32 v0, 0x2380
	s_and_b64 s[8:9], s[8:9], vcc
	v_lshl_add_u32 v0, v26, 3, v0
	s_and_saveexec_b64 s[10:11], s[8:9]
	s_xor_b64 s[8:9], exec, s[10:11]
	s_cbranch_execz .LBB118_8
; %bb.7:
	v_mov_b32_e32 v2, 0
	v_mov_b32_e32 v3, v2
	ds_write_b64 v0, v[2:3]
                                        ; implicit-def: $vgpr0
.LBB118_8:
	s_andn2_saveexec_b64 s[8:9], s[8:9]
	s_cbranch_execz .LBB118_10
; %bb.9:
	global_load_dwordx2 v[2:3], v[20:21], off
	s_waitcnt vmcnt(0)
	ds_write_b64 v0, v[2:3]
.LBB118_10:
	s_or_b64 exec, exec, s[4:5]
	s_mul_i32 s4, s7, s23
	s_mul_hi_u32 s5, s7, s22
	s_add_i32 s5, s5, s4
	s_mul_i32 s4, s7, s22
	s_lshl_b64 s[4:5], s[4:5], 3
	s_add_u32 s8, s16, s4
	s_addc_u32 s9, s17, s5
	s_lshl_b64 s[4:5], s[18:19], 3
	s_add_u32 s8, s8, s4
	s_addc_u32 s9, s9, s5
	s_ashr_i32 s27, s26, 31
	v_lshl_add_u32 v27, v72, 6, v26
	s_lshl_b64 s[4:5], s[26:27], 3
	v_and_b32_e32 v0, 31, v26
	v_lshrrev_b32_e32 v8, 5, v27
	s_add_u32 s8, s8, s4
	v_mov_b32_e32 v1, 0
	s_addc_u32 s9, s9, s5
	v_mad_u64_u32 v[2:3], s[4:5], v8, s20, v[0:1]
	v_mov_b32_e32 v4, v3
	v_mad_u64_u32 v[4:5], s[4:5], v8, s21, v[4:5]
	s_mul_i32 s4, s26, s21
	s_mul_hi_u32 s5, s26, s20
	s_add_i32 s4, s5, s4
	s_mul_i32 s5, s27, s20
	s_add_i32 s5, s4, s5
	s_mul_i32 s4, s26, s20
	s_lshl_b64 s[30:31], s[4:5], 3
	v_mov_b32_e32 v3, v4
	s_add_u32 s4, s30, s8
	v_lshlrev_b64 v[22:23], 3, v[2:3]
	s_addc_u32 s5, s31, s9
	v_mov_b32_e32 v1, s5
	v_add_co_u32_e32 v2, vcc, s4, v22
	s_cmp_lg_u32 s24, 0
	v_addc_co_u32_e32 v3, vcc, v1, v23, vcc
	s_cselect_b64 s[34:35], -1, 0
	s_cmp_eq_u32 s24, 0
	s_cselect_b64 s[38:39], -1, 0
	s_and_b64 vcc, exec, s[34:35]
	s_cbranch_vccnz .LBB118_12
; %bb.11:
	s_lshl_b64 s[4:5], s[20:21], 6
	v_mov_b32_e32 v1, s5
	v_add_co_u32_e32 v4, vcc, s4, v2
	v_addc_co_u32_e32 v5, vcc, v3, v1, vcc
	global_load_dwordx2 v[6:7], v[4:5], off
	global_load_dwordx2 v[12:13], v[2:3], off
	v_add_co_u32_e32 v4, vcc, s4, v4
	v_addc_co_u32_e32 v5, vcc, v5, v1, vcc
	v_mov_b32_e32 v1, 0xc0
	v_mad_u64_u32 v[10:11], s[4:5], s20, v1, v[2:3]
	s_mul_i32 s4, s21, 0xc0
	v_add_u32_e32 v11, s4, v11
	global_load_dwordx2 v[14:15], v[10:11], off
	global_load_dwordx2 v[18:19], v[4:5], off
	v_mul_u32_u24_e32 v1, 33, v8
	v_add_lshl_u32 v1, v1, v0, 3
	s_waitcnt vmcnt(2)
	ds_write_b64 v1, v[12:13]
	ds_write_b64 v1, v[6:7] offset:2112
	s_waitcnt vmcnt(1)
	ds_write_b64 v1, v[14:15] offset:6336
	s_waitcnt vmcnt(0)
	ds_write_b64 v1, v[18:19] offset:4224
	s_cbranch_execz .LBB118_13
	s_branch .LBB118_28
.LBB118_12:
.LBB118_13:
	v_lshlrev_b32_e32 v1, 3, v0
	v_sub_co_u32_e32 v4, vcc, v2, v1
	s_ashr_i32 s25, s24, 31
	v_subbrev_co_u32_e32 v5, vcc, 0, v3, vcc
	s_lshl_b64 s[8:9], s[24:25], 3
	v_mov_b32_e32 v6, s9
	v_add_co_u32_e32 v4, vcc, s8, v4
	v_addc_co_u32_e32 v5, vcc, v5, v6, vcc
	v_add_co_u32_e32 v4, vcc, -8, v4
	v_addc_co_u32_e32 v5, vcc, -1, v5, vcc
	v_cmp_gt_i32_e32 vcc, s24, v0
	v_mov_b32_e32 v6, 0
	v_cndmask_b32_e32 v5, v5, v3, vcc
	v_cndmask_b32_e32 v4, v4, v2, vcc
	v_cmp_gt_i32_e64 s[4:5], s24, v8
	v_mov_b32_e32 v7, v6
	s_and_saveexec_b64 s[10:11], s[4:5]
	s_cbranch_execz .LBB118_15
; %bb.14:
	global_load_dwordx2 v[6:7], v[4:5], off
.LBB118_15:
	s_or_b64 exec, exec, s[10:11]
	v_mul_u32_u24_e32 v9, 33, v8
	v_add_lshl_u32 v9, v9, v0, 3
	s_waitcnt vmcnt(0)
	ds_write_b64 v9, v[6:7]
	v_add_u32_e32 v6, 8, v8
	v_cmp_le_i32_e64 s[4:5], s24, v6
	s_and_saveexec_b64 s[10:11], s[4:5]
	s_xor_b64 s[4:5], exec, s[10:11]
	s_cbranch_execz .LBB118_17
; %bb.16:
	v_mul_u32_u24_e32 v6, 33, v6
	v_add_lshl_u32 v10, v6, v0, 3
	v_mov_b32_e32 v6, 0
	v_mov_b32_e32 v7, v6
	ds_write_b64 v10, v[6:7]
.LBB118_17:
	s_andn2_saveexec_b64 s[10:11], s[4:5]
	s_cbranch_execz .LBB118_19
; %bb.18:
	s_lshl_b64 s[4:5], s[20:21], 6
	v_mov_b32_e32 v7, s5
	v_add_co_u32_e64 v6, s[4:5], s4, v4
	v_addc_co_u32_e64 v7, s[4:5], v5, v7, s[4:5]
	global_load_dwordx2 v[6:7], v[6:7], off
	s_waitcnt vmcnt(0)
	ds_write_b64 v9, v[6:7] offset:2112
.LBB118_19:
	s_or_b64 exec, exec, s[10:11]
	v_add_u32_e32 v6, 16, v8
	v_cmp_le_i32_e64 s[4:5], s24, v6
	s_and_saveexec_b64 s[10:11], s[4:5]
	s_xor_b64 s[4:5], exec, s[10:11]
	s_cbranch_execz .LBB118_21
; %bb.20:
	v_mov_b32_e32 v6, 0
	v_mov_b32_e32 v7, v6
	ds_write_b64 v9, v[6:7] offset:4224
.LBB118_21:
	s_andn2_saveexec_b64 s[10:11], s[4:5]
	s_cbranch_execz .LBB118_23
; %bb.22:
	s_lshl_b64 s[4:5], s[20:21], 7
	v_mov_b32_e32 v7, s5
	v_add_co_u32_e64 v6, s[4:5], s4, v4
	v_addc_co_u32_e64 v7, s[4:5], v5, v7, s[4:5]
	global_load_dwordx2 v[6:7], v[6:7], off
	s_waitcnt vmcnt(0)
	ds_write_b64 v9, v[6:7] offset:4224
.LBB118_23:
	s_or_b64 exec, exec, s[10:11]
	v_add_u32_e32 v6, 24, v8
	v_cmp_le_i32_e64 s[4:5], s24, v6
	s_and_saveexec_b64 s[10:11], s[4:5]
	s_xor_b64 s[4:5], exec, s[10:11]
	s_cbranch_execz .LBB118_25
; %bb.24:
	v_mov_b32_e32 v6, 0
	v_mov_b32_e32 v7, v6
	ds_write_b64 v9, v[6:7] offset:6336
                                        ; implicit-def: $vgpr9
.LBB118_25:
	s_andn2_saveexec_b64 s[4:5], s[4:5]
	s_cbranch_execz .LBB118_27
; %bb.26:
	v_mov_b32_e32 v6, 0xc0
	v_mad_u64_u32 v[6:7], s[10:11], s20, v6, v[4:5]
	s_mul_i32 s10, s21, 0xc0
	v_add_u32_e32 v7, s10, v7
	global_load_dwordx2 v[6:7], v[6:7], off
	s_waitcnt vmcnt(0)
	ds_write_b64 v9, v[6:7] offset:6336
.LBB118_27:
	s_or_b64 exec, exec, s[4:5]
	v_add_co_u32_e64 v1, s[4:5], v4, v1
	v_addc_co_u32_e64 v4, s[4:5], 0, v5, s[4:5]
	v_mov_b32_e32 v5, s9
	v_subrev_co_u32_e64 v1, s[4:5], s8, v1
	v_subb_co_u32_e64 v4, s[4:5], v4, v5, s[4:5]
	v_add_co_u32_e64 v1, s[4:5], 8, v1
	v_addc_co_u32_e64 v4, s[4:5], 0, v4, s[4:5]
	v_cndmask_b32_e32 v3, v4, v3, vcc
	v_cndmask_b32_e32 v2, v1, v2, vcc
.LBB118_28:
	v_lshlrev_b32_e32 v1, 2, v8
	v_mul_u32_u24_e32 v28, 33, v0
	v_cmp_lt_u32_e64 s[18:19], v1, v0
	v_add_lshl_u32 v12, v1, v28, 3
	s_waitcnt lgkmcnt(0)
	s_barrier
	s_and_saveexec_b64 s[4:5], s[18:19]
	s_cbranch_execz .LBB118_30
; %bb.29:
	v_mul_u32_u24_e32 v4, 0x84, v8
	v_add_lshl_u32 v4, v4, v0, 3
	ds_read_b64 v[4:5], v4
	s_waitcnt lgkmcnt(0)
	ds_write_b64 v12, v[4:5]
.LBB118_30:
	s_or_b64 exec, exec, s[4:5]
	v_or_b32_e32 v4, 1, v1
	v_cmp_lt_u32_e64 s[8:9], v4, v0
	s_and_saveexec_b64 s[4:5], s[8:9]
	s_cbranch_execz .LBB118_32
; %bb.31:
	v_mul_u32_u24_e32 v4, 33, v4
	v_add_lshl_u32 v4, v4, v0, 3
	ds_read_b64 v[4:5], v4
	s_waitcnt lgkmcnt(0)
	ds_write_b64 v12, v[4:5] offset:8
.LBB118_32:
	s_or_b64 exec, exec, s[4:5]
	v_or_b32_e32 v4, 2, v1
	v_cmp_lt_u32_e64 s[10:11], v4, v0
	s_and_saveexec_b64 s[4:5], s[10:11]
	s_cbranch_execz .LBB118_34
; %bb.33:
	v_mul_u32_u24_e32 v4, 33, v4
	v_add_lshl_u32 v4, v4, v0, 3
	ds_read_b64 v[4:5], v4
	s_waitcnt lgkmcnt(0)
	ds_write_b64 v12, v[4:5] offset:16
.LBB118_34:
	s_or_b64 exec, exec, s[4:5]
	v_or_b32_e32 v4, 3, v1
	v_cmp_lt_u32_e64 s[12:13], v4, v0
	v_mad_u32_u24 v4, v4, 33, v0
	v_lshlrev_b32_e32 v9, 3, v4
	s_and_saveexec_b64 s[4:5], s[12:13]
	s_cbranch_execz .LBB118_36
; %bb.35:
	ds_read_b64 v[4:5], v9
	s_waitcnt lgkmcnt(0)
	ds_write_b64 v12, v[4:5] offset:24
.LBB118_36:
	s_or_b64 exec, exec, s[4:5]
	v_mul_u32_u24_e32 v4, 0x84, v8
	v_add_lshl_u32 v11, v4, v0, 3
	s_waitcnt lgkmcnt(0)
	s_barrier
	v_lshlrev_b32_e32 v13, 3, v1
	v_add_u32_e32 v10, 0xfffffdf0, v9
	ds_read_b64 v[14:15], v11
	ds_read_b128 v[4:7], v13 offset:9088
	ds_read2_b64 v[30:33], v10 offset1:33
	ds_read_b64 v[18:19], v9
	ds_read_b128 v[34:37], v13 offset:9104
	s_mov_b32 s14, 0
	s_mov_b32 s15, s14
	s_waitcnt lgkmcnt(3)
	v_pk_mul_f32 v[24:25], v[4:5], v[14:15] op_sel:[0,1]
	v_pk_fma_f32 v[38:39], v[4:5], v[14:15], v[24:25] op_sel:[0,0,1] op_sel_hi:[1,1,0] neg_lo:[0,0,1] neg_hi:[0,0,1]
	v_pk_fma_f32 v[4:5], v[4:5], v[14:15], v[24:25] op_sel:[0,0,1] op_sel_hi:[1,0,0]
	s_waitcnt lgkmcnt(2)
	v_pk_mul_f32 v[14:15], v[6:7], v[30:31] op_sel:[0,1]
	v_pk_fma_f32 v[24:25], v[6:7], v[30:31], v[14:15] op_sel:[0,0,1] op_sel_hi:[1,1,0] neg_lo:[0,0,1] neg_hi:[0,0,1]
	v_pk_fma_f32 v[6:7], v[6:7], v[30:31], v[14:15] op_sel:[0,0,1] op_sel_hi:[1,0,0]
	v_mov_b32_e32 v39, v5
	v_mov_b32_e32 v25, v7
	s_waitcnt lgkmcnt(0)
	v_pk_mul_f32 v[6:7], v[34:35], v[32:33] op_sel:[0,1]
	v_pk_add_f32 v[4:5], v[38:39], 0 op_sel_hi:[1,0]
	v_pk_fma_f32 v[14:15], v[34:35], v[32:33], v[6:7] op_sel:[0,0,1] op_sel_hi:[1,1,0] neg_lo:[0,0,1] neg_hi:[0,0,1]
	v_pk_fma_f32 v[6:7], v[34:35], v[32:33], v[6:7] op_sel:[0,0,1] op_sel_hi:[1,0,0]
	v_pk_add_f32 v[4:5], v[4:5], v[24:25]
	v_mov_b32_e32 v15, v7
	v_pk_mul_f32 v[6:7], v[36:37], v[18:19] op_sel:[0,1]
	v_pk_add_f32 v[4:5], v[4:5], v[14:15]
	v_pk_fma_f32 v[14:15], v[36:37], v[18:19], v[6:7] op_sel:[0,0,1] op_sel_hi:[1,1,0] neg_lo:[0,0,1] neg_hi:[0,0,1]
	v_pk_fma_f32 v[6:7], v[36:37], v[18:19], v[6:7] op_sel:[0,0,1] op_sel_hi:[1,0,0]
	v_mov_b32_e32 v15, v7
	v_add_lshl_u32 v29, v8, v28, 3
	v_pk_add_f32 v[4:5], v[4:5], v[14:15]
	v_cmp_gt_u32_e64 s[4:5], 32, v27
	v_pk_mov_b32 v[18:19], s[14:15], s[14:15] op_sel:[0,1]
	s_barrier
	ds_write_b64 v29, v[4:5]
	s_waitcnt lgkmcnt(0)
	s_barrier
	s_and_saveexec_b64 s[14:15], s[4:5]
	s_cbranch_execz .LBB118_38
; %bb.37:
	v_lshlrev_b32_e32 v1, 3, v28
	ds_read2_b64 v[4:7], v1 offset1:7
	ds_read2_b64 v[30:33], v1 offset0:1 offset1:2
	ds_read2_b64 v[34:37], v1 offset0:3 offset1:4
	s_waitcnt lgkmcnt(1)
	v_add_f32_e32 v4, v30, v4
	v_add_f32_e32 v5, v31, v5
	;; [unrolled: 1-line block ×4, first 2 shown]
	ds_read2_b64 v[30:33], v1 offset0:5 offset1:6
	s_waitcnt lgkmcnt(1)
	v_add_f32_e32 v1, v4, v34
	v_add_f32_e32 v4, v5, v35
	;; [unrolled: 1-line block ×4, first 2 shown]
	s_waitcnt lgkmcnt(0)
	v_add_f32_e32 v1, v1, v30
	v_add_f32_e32 v5, v4, v31
	;; [unrolled: 1-line block ×4, first 2 shown]
	v_pk_add_f32 v[18:19], v[4:5], v[6:7]
.LBB118_38:
	s_or_b64 exec, exec, s[14:15]
	s_lshl_b64 s[22:23], s[20:21], 8
	v_mov_b32_e32 v1, s23
	v_add_co_u32_e32 v4, vcc, s22, v2
	v_addc_co_u32_e32 v5, vcc, v3, v1, vcc
	v_add_co_u32_e32 v2, vcc, 0x100, v4
	v_cndmask_b32_e64 v1, 0, 1, s[38:39]
	s_mov_b64 s[16:17], vcc
	v_cmp_ne_u32_e64 s[14:15], 1, v1
	s_andn2_b64 vcc, exec, s[38:39]
	v_addc_co_u32_e64 v1, s[16:17], 0, v5, s[16:17]
	s_barrier
	s_cbranch_vccnz .LBB118_40
; %bb.39:
	s_lshl_b64 s[16:17], s[20:21], 6
	v_mov_b32_e32 v3, s17
	v_add_co_u32_e32 v6, vcc, s16, v4
	v_addc_co_u32_e32 v7, vcc, v5, v3, vcc
	v_add_co_u32_e32 v14, vcc, s16, v6
	v_addc_co_u32_e32 v15, vcc, v7, v3, vcc
	v_mov_b32_e32 v3, 0xc0
	v_mad_u64_u32 v[24:25], s[16:17], s20, v3, v[4:5]
	s_mul_i32 s16, s21, 0xc0
	v_add_u32_e32 v25, s16, v25
	global_load_dwordx2 v[30:31], v[4:5], off offset:256
	global_load_dwordx2 v[32:33], v[6:7], off offset:256
	;; [unrolled: 1-line block ×4, first 2 shown]
	v_mul_u32_u24_e32 v3, 33, v8
	v_add_lshl_u32 v3, v3, v0, 3
	s_waitcnt vmcnt(3)
	ds_write_b64 v3, v[30:31]
	s_waitcnt vmcnt(2)
	ds_write_b64 v3, v[32:33] offset:2112
	s_waitcnt vmcnt(1)
	ds_write_b64 v3, v[34:35] offset:4224
	;; [unrolled: 2-line block ×3, first 2 shown]
	s_cbranch_execz .LBB118_41
	s_branch .LBB118_56
.LBB118_40:
.LBB118_41:
	v_lshlrev_b32_e32 v3, 3, v0
	v_sub_co_u32_e32 v5, vcc, v2, v3
	s_ashr_i32 s25, s24, 31
	v_subbrev_co_u32_e32 v6, vcc, 0, v1, vcc
	s_lshl_b64 s[38:39], s[24:25], 3
	v_mov_b32_e32 v7, s39
	v_add_co_u32_e32 v5, vcc, s38, v5
	v_addc_co_u32_e32 v6, vcc, v6, v7, vcc
	v_or_b32_e32 v4, 32, v0
	v_add_co_u32_e32 v7, vcc, 0xfffffef8, v5
	v_addc_co_u32_e32 v5, vcc, -1, v6, vcc
	v_cmp_gt_i32_e64 s[16:17], s24, v4
	s_sub_i32 s25, s24, 32
	v_mov_b32_e32 v6, 0
	v_cndmask_b32_e64 v5, v5, v1, s[16:17]
	v_cndmask_b32_e64 v4, v7, v2, s[16:17]
	v_cmp_gt_i32_e32 vcc, s25, v8
	v_mov_b32_e32 v7, v6
	s_and_saveexec_b64 s[40:41], vcc
	s_cbranch_execz .LBB118_43
; %bb.42:
	global_load_dwordx2 v[6:7], v[4:5], off
.LBB118_43:
	s_or_b64 exec, exec, s[40:41]
	v_mul_u32_u24_e32 v14, 33, v8
	v_add_lshl_u32 v14, v14, v0, 3
	s_waitcnt vmcnt(0)
	ds_write_b64 v14, v[6:7]
	v_add_u32_e32 v6, 8, v8
	v_cmp_le_i32_e32 vcc, s25, v6
	s_and_saveexec_b64 s[40:41], vcc
	s_xor_b64 s[40:41], exec, s[40:41]
	s_cbranch_execz .LBB118_45
; %bb.44:
	v_mul_u32_u24_e32 v6, 33, v6
	v_add_lshl_u32 v15, v6, v0, 3
	v_mov_b32_e32 v6, 0
	v_mov_b32_e32 v7, v6
	ds_write_b64 v15, v[6:7]
.LBB118_45:
	s_andn2_saveexec_b64 s[40:41], s[40:41]
	s_cbranch_execz .LBB118_47
; %bb.46:
	s_lshl_b64 s[44:45], s[20:21], 6
	v_mov_b32_e32 v7, s45
	v_add_co_u32_e32 v6, vcc, s44, v4
	v_addc_co_u32_e32 v7, vcc, v5, v7, vcc
	global_load_dwordx2 v[6:7], v[6:7], off
	s_waitcnt vmcnt(0)
	ds_write_b64 v14, v[6:7] offset:2112
.LBB118_47:
	s_or_b64 exec, exec, s[40:41]
	v_add_u32_e32 v6, 16, v8
	v_cmp_le_i32_e32 vcc, s25, v6
	s_and_saveexec_b64 s[40:41], vcc
	s_xor_b64 s[40:41], exec, s[40:41]
	s_cbranch_execz .LBB118_49
; %bb.48:
	v_mov_b32_e32 v6, 0
	v_mov_b32_e32 v7, v6
	ds_write_b64 v14, v[6:7] offset:4224
.LBB118_49:
	s_andn2_saveexec_b64 s[40:41], s[40:41]
	s_cbranch_execz .LBB118_51
; %bb.50:
	s_lshl_b64 s[44:45], s[20:21], 7
	v_mov_b32_e32 v7, s45
	v_add_co_u32_e32 v6, vcc, s44, v4
	v_addc_co_u32_e32 v7, vcc, v5, v7, vcc
	global_load_dwordx2 v[6:7], v[6:7], off
	s_waitcnt vmcnt(0)
	ds_write_b64 v14, v[6:7] offset:4224
.LBB118_51:
	s_or_b64 exec, exec, s[40:41]
	v_add_u32_e32 v6, 24, v8
	v_cmp_le_i32_e32 vcc, s25, v6
	s_and_saveexec_b64 s[40:41], vcc
	s_xor_b64 s[40:41], exec, s[40:41]
	s_cbranch_execz .LBB118_53
; %bb.52:
	v_mov_b32_e32 v6, 0
	v_mov_b32_e32 v7, v6
	ds_write_b64 v14, v[6:7] offset:6336
                                        ; implicit-def: $vgpr14
.LBB118_53:
	s_andn2_saveexec_b64 s[40:41], s[40:41]
	s_cbranch_execz .LBB118_55
; %bb.54:
	v_mov_b32_e32 v6, 0xc0
	v_mad_u64_u32 v[6:7], s[44:45], s20, v6, v[4:5]
	s_mul_i32 s25, s21, 0xc0
	v_add_u32_e32 v7, s25, v7
	global_load_dwordx2 v[6:7], v[6:7], off
	s_waitcnt vmcnt(0)
	ds_write_b64 v14, v[6:7] offset:6336
.LBB118_55:
	s_or_b64 exec, exec, s[40:41]
	v_add_co_u32_e32 v3, vcc, v4, v3
	v_addc_co_u32_e32 v4, vcc, 0, v5, vcc
	v_mov_b32_e32 v5, s39
	v_subrev_co_u32_e32 v3, vcc, s38, v3
	v_subb_co_u32_e32 v4, vcc, v4, v5, vcc
	v_add_co_u32_e32 v3, vcc, 0x108, v3
	v_addc_co_u32_e32 v4, vcc, 0, v4, vcc
	v_cndmask_b32_e64 v1, v4, v1, s[16:17]
	v_cndmask_b32_e64 v2, v3, v2, s[16:17]
.LBB118_56:
	v_add_u32_e32 v6, 0x2380, v13
	s_lshl_b64 s[16:17], s[20:21], 5
	s_waitcnt lgkmcnt(0)
	s_barrier
	s_and_saveexec_b64 s[38:39], s[18:19]
	s_cbranch_execnz .LBB118_65
; %bb.57:
	s_or_b64 exec, exec, s[38:39]
	s_and_saveexec_b64 s[18:19], s[8:9]
	s_cbranch_execnz .LBB118_66
.LBB118_58:
	s_or_b64 exec, exec, s[18:19]
	s_and_saveexec_b64 s[8:9], s[10:11]
	s_cbranch_execnz .LBB118_67
.LBB118_59:
	s_or_b64 exec, exec, s[8:9]
	s_and_saveexec_b64 s[8:9], s[12:13]
	s_cbranch_execz .LBB118_61
.LBB118_60:
	ds_read_b64 v[4:5], v9
	s_waitcnt lgkmcnt(0)
	ds_write_b64 v12, v[4:5] offset:24
.LBB118_61:
	s_or_b64 exec, exec, s[8:9]
	s_waitcnt lgkmcnt(0)
	s_barrier
	ds_read_b64 v[4:5], v11
	ds_read_b128 v[30:33], v6 offset:256
	ds_read2_b64 v[34:37], v10 offset1:33
	ds_read_b64 v[10:11], v9
	ds_read_b128 v[38:41], v6 offset:272
	v_cmp_eq_u32_e64 s[10:11], 1, v8
	s_waitcnt lgkmcnt(3)
	v_pk_mul_f32 v[14:15], v[30:31], v[4:5] op_sel:[0,1]
	v_pk_fma_f32 v[24:25], v[30:31], v[4:5], v[14:15] op_sel:[0,0,1] op_sel_hi:[1,1,0] neg_lo:[0,0,1] neg_hi:[0,0,1]
	v_pk_fma_f32 v[4:5], v[30:31], v[4:5], v[14:15] op_sel:[0,0,1] op_sel_hi:[1,0,0]
	v_mov_b32_e32 v25, v5
	s_waitcnt lgkmcnt(2)
	v_pk_mul_f32 v[14:15], v[32:33], v[34:35] op_sel:[0,1]
	v_pk_add_f32 v[4:5], v[24:25], 0 op_sel_hi:[1,0]
	v_pk_fma_f32 v[24:25], v[32:33], v[34:35], v[14:15] op_sel:[0,0,1] op_sel_hi:[1,1,0] neg_lo:[0,0,1] neg_hi:[0,0,1]
	v_pk_fma_f32 v[14:15], v[32:33], v[34:35], v[14:15] op_sel:[0,0,1] op_sel_hi:[1,0,0]
	v_mov_b32_e32 v25, v15
	s_waitcnt lgkmcnt(0)
	v_pk_mul_f32 v[14:15], v[38:39], v[36:37] op_sel:[0,1]
	v_pk_add_f32 v[4:5], v[4:5], v[24:25]
	v_pk_fma_f32 v[24:25], v[38:39], v[36:37], v[14:15] op_sel:[0,0,1] op_sel_hi:[1,1,0] neg_lo:[0,0,1] neg_hi:[0,0,1]
	v_pk_fma_f32 v[14:15], v[38:39], v[36:37], v[14:15] op_sel:[0,0,1] op_sel_hi:[1,0,0]
	v_mov_b32_e32 v25, v15
	v_pk_mul_f32 v[14:15], v[40:41], v[10:11] op_sel:[0,1]
	v_pk_add_f32 v[4:5], v[4:5], v[24:25]
	v_pk_fma_f32 v[24:25], v[40:41], v[10:11], v[14:15] op_sel:[0,0,1] op_sel_hi:[1,1,0] neg_lo:[0,0,1] neg_hi:[0,0,1]
	v_pk_fma_f32 v[10:11], v[40:41], v[10:11], v[14:15] op_sel:[0,0,1] op_sel_hi:[1,0,0]
	v_mov_b32_e32 v25, v11
	v_pk_add_f32 v[4:5], v[4:5], v[24:25]
	s_barrier
	ds_write_b64 v29, v[4:5]
	s_waitcnt lgkmcnt(0)
	s_barrier
	s_and_saveexec_b64 s[8:9], s[10:11]
	s_cbranch_execz .LBB118_63
; %bb.62:
	v_lshlrev_b32_e32 v3, 3, v28
	ds_read2_b64 v[30:33], v3 offset1:7
	ds_read2_b64 v[34:37], v3 offset0:1 offset1:2
	ds_read2_b64 v[38:41], v3 offset0:3 offset1:4
	s_waitcnt lgkmcnt(1)
	v_add_f32_e32 v4, v34, v30
	v_add_f32_e32 v5, v35, v31
	;; [unrolled: 1-line block ×4, first 2 shown]
	ds_read2_b64 v[34:37], v3 offset0:5 offset1:6
	s_waitcnt lgkmcnt(1)
	v_add_f32_e32 v3, v4, v38
	v_add_f32_e32 v4, v5, v39
	;; [unrolled: 1-line block ×4, first 2 shown]
	s_waitcnt lgkmcnt(0)
	v_add_f32_e32 v4, v3, v34
	v_add_f32_e32 v5, v5, v35
	v_pk_add_f32 v[4:5], v[4:5], v[36:37]
	v_pk_add_f32 v[18:19], v[4:5], v[32:33]
.LBB118_63:
	s_or_b64 exec, exec, s[8:9]
	s_lshl_b64 s[8:9], s[16:17], 3
	v_mov_b32_e32 v3, s9
	v_subrev_co_u32_e64 v24, s[8:9], s8, v2
	s_and_b64 vcc, exec, s[14:15]
	v_subb_co_u32_e64 v25, s[8:9], v1, v3, s[8:9]
	s_barrier
	s_cbranch_vccnz .LBB118_68
; %bb.64:
	s_lshl_b64 s[8:9], s[20:21], 6
	v_mov_b32_e32 v1, s9
	v_add_co_u32_e32 v2, vcc, s8, v24
	v_addc_co_u32_e32 v3, vcc, v25, v1, vcc
	v_add_co_u32_e32 v4, vcc, s8, v2
	v_addc_co_u32_e32 v5, vcc, v3, v1, vcc
	v_mov_b32_e32 v1, 0xc0
	v_mad_u64_u32 v[10:11], s[8:9], s20, v1, v[24:25]
	s_mul_i32 s8, s21, 0xc0
	v_add_u32_e32 v11, s8, v11
	global_load_dwordx2 v[14:15], v[24:25], off
	global_load_dwordx2 v[30:31], v[2:3], off
	;; [unrolled: 1-line block ×4, first 2 shown]
	v_mad_u32_u24 v1, v8, 33, v0
	v_add_u32_e32 v4, 8, v8
	v_add_u32_e32 v5, 16, v8
	;; [unrolled: 1-line block ×3, first 2 shown]
	v_lshlrev_b32_e32 v7, 3, v1
	v_add_u32_e32 v2, 0x108, v1
	v_add_u32_e32 v3, 0x210, v1
	;; [unrolled: 1-line block ×3, first 2 shown]
	s_waitcnt vmcnt(3)
	ds_write_b64 v7, v[14:15]
	s_waitcnt vmcnt(2)
	ds_write_b64 v7, v[30:31] offset:2112
	s_waitcnt vmcnt(1)
	ds_write_b64 v7, v[32:33] offset:4224
	s_waitcnt vmcnt(0)
	ds_write_b64 v7, v[34:35] offset:6336
	s_cbranch_execz .LBB118_69
	s_branch .LBB118_84
.LBB118_65:
	ds_read_b64 v[4:5], v11
	s_waitcnt lgkmcnt(0)
	ds_write_b64 v12, v[4:5]
	s_or_b64 exec, exec, s[38:39]
	s_and_saveexec_b64 s[18:19], s[8:9]
	s_cbranch_execz .LBB118_58
.LBB118_66:
	ds_read_b64 v[4:5], v10
	s_waitcnt lgkmcnt(0)
	ds_write_b64 v12, v[4:5] offset:8
	s_or_b64 exec, exec, s[18:19]
	s_and_saveexec_b64 s[8:9], s[10:11]
	s_cbranch_execz .LBB118_59
.LBB118_67:
	ds_read_b64 v[4:5], v10 offset:264
	s_waitcnt lgkmcnt(0)
	ds_write_b64 v12, v[4:5] offset:16
	s_or_b64 exec, exec, s[8:9]
	s_and_saveexec_b64 s[8:9], s[12:13]
	s_cbranch_execnz .LBB118_60
	s_branch .LBB118_61
.LBB118_68:
                                        ; implicit-def: $vgpr1
                                        ; implicit-def: $vgpr4
                                        ; implicit-def: $vgpr2
                                        ; implicit-def: $vgpr5
                                        ; implicit-def: $vgpr3
                                        ; implicit-def: $vgpr9
                                        ; implicit-def: $vgpr10
.LBB118_69:
	v_lshlrev_b32_e32 v7, 3, v0
	v_sub_co_u32_e32 v2, vcc, v24, v7
	s_ashr_i32 s25, s24, 31
	v_subbrev_co_u32_e32 v3, vcc, 0, v25, vcc
	s_lshl_b64 s[12:13], s[24:25], 3
	v_mov_b32_e32 v4, s13
	v_add_co_u32_e32 v2, vcc, s12, v2
	v_addc_co_u32_e32 v3, vcc, v3, v4, vcc
	v_or_b32_e32 v1, 32, v0
	v_add_co_u32_e32 v2, vcc, 0xfffffef8, v2
	v_addc_co_u32_e32 v3, vcc, -1, v3, vcc
	v_cmp_gt_i32_e64 s[8:9], s24, v1
	v_mov_b32_e32 v4, 0
	v_cndmask_b32_e64 v3, v3, v25, s[8:9]
	v_cndmask_b32_e64 v2, v2, v24, s[8:9]
	v_cmp_gt_i32_e32 vcc, s24, v8
	v_mov_b32_e32 v5, v4
	s_and_saveexec_b64 s[14:15], vcc
	s_cbranch_execz .LBB118_71
; %bb.70:
	global_load_dwordx2 v[4:5], v[2:3], off
.LBB118_71:
	s_or_b64 exec, exec, s[14:15]
	v_mad_u32_u24 v1, v8, 33, v0
	v_lshlrev_b32_e32 v11, 3, v1
	s_waitcnt vmcnt(0)
	ds_write_b64 v11, v[4:5]
	v_add_u32_e32 v4, 8, v8
	v_cmp_le_i32_e32 vcc, s24, v4
	s_and_saveexec_b64 s[14:15], vcc
	s_xor_b64 s[14:15], exec, s[14:15]
	s_cbranch_execz .LBB118_73
; %bb.72:
	v_mul_u32_u24_e32 v5, 33, v4
	v_mov_b32_e32 v14, 0
	v_add_lshl_u32 v5, v5, v0, 3
	v_mov_b32_e32 v15, v14
	ds_write_b64 v5, v[14:15]
.LBB118_73:
	s_andn2_saveexec_b64 s[14:15], s[14:15]
	s_cbranch_execz .LBB118_75
; %bb.74:
	s_lshl_b64 s[16:17], s[20:21], 6
	v_mov_b32_e32 v5, s17
	v_add_co_u32_e32 v14, vcc, s16, v2
	v_addc_co_u32_e32 v15, vcc, v3, v5, vcc
	global_load_dwordx2 v[14:15], v[14:15], off
	s_waitcnt vmcnt(0)
	ds_write_b64 v11, v[14:15] offset:2112
.LBB118_75:
	s_or_b64 exec, exec, s[14:15]
	v_add_u32_e32 v5, 16, v8
	v_cmp_le_i32_e32 vcc, s24, v5
	s_and_saveexec_b64 s[14:15], vcc
	s_xor_b64 s[14:15], exec, s[14:15]
	s_cbranch_execz .LBB118_77
; %bb.76:
	v_mul_u32_u24_e32 v9, 33, v5
	v_mov_b32_e32 v14, 0
	v_add_lshl_u32 v0, v9, v0, 3
	v_mov_b32_e32 v15, v14
	ds_write_b64 v0, v[14:15]
.LBB118_77:
	s_andn2_saveexec_b64 s[14:15], s[14:15]
	s_cbranch_execz .LBB118_79
; %bb.78:
	s_lshl_b64 s[16:17], s[20:21], 7
	v_mov_b32_e32 v0, s17
	v_add_co_u32_e32 v14, vcc, s16, v2
	v_addc_co_u32_e32 v15, vcc, v3, v0, vcc
	global_load_dwordx2 v[14:15], v[14:15], off
	s_waitcnt vmcnt(0)
	ds_write_b64 v11, v[14:15] offset:4224
.LBB118_79:
	s_or_b64 exec, exec, s[14:15]
	v_add_u32_e32 v9, 24, v8
	v_cmp_le_i32_e32 vcc, s24, v9
                                        ; implicit-def: $vgpr10
	s_and_saveexec_b64 s[14:15], vcc
	s_xor_b64 s[14:15], exec, s[14:15]
	s_cbranch_execz .LBB118_81
; %bb.80:
	v_mov_b32_e32 v14, 0
	v_add_u32_e32 v10, 0x318, v1
	v_mov_b32_e32 v15, v14
	ds_write_b64 v11, v[14:15] offset:6336
                                        ; implicit-def: $vgpr11
.LBB118_81:
	s_andn2_saveexec_b64 s[14:15], s[14:15]
	s_cbranch_execz .LBB118_83
; %bb.82:
	v_mov_b32_e32 v0, 0xc0
	v_mad_u64_u32 v[14:15], s[16:17], s20, v0, v[2:3]
	s_mul_i32 s16, s21, 0xc0
	v_add_u32_e32 v15, s16, v15
	global_load_dwordx2 v[14:15], v[14:15], off
	v_add_u32_e32 v10, 0x318, v1
	s_waitcnt vmcnt(0)
	ds_write_b64 v11, v[14:15] offset:6336
.LBB118_83:
	s_or_b64 exec, exec, s[14:15]
	v_add_co_u32_e32 v0, vcc, v2, v7
	v_addc_co_u32_e32 v2, vcc, 0, v3, vcc
	v_mov_b32_e32 v3, s13
	v_subrev_co_u32_e32 v0, vcc, s12, v0
	v_subb_co_u32_e32 v2, vcc, v2, v3, vcc
	v_add_co_u32_e32 v0, vcc, 0x108, v0
	v_addc_co_u32_e32 v2, vcc, 0, v2, vcc
	v_cndmask_b32_e64 v25, v2, v25, s[8:9]
	v_cndmask_b32_e64 v24, v0, v24, s[8:9]
	v_add_u32_e32 v2, 0x108, v1
	v_add_u32_e32 v3, 0x210, v1
.LBB118_84:
	v_lshlrev_b32_e32 v0, 3, v1
	s_waitcnt lgkmcnt(0)
	s_barrier
	ds_read_b64 v[30:31], v0
	v_lshlrev_b32_e32 v7, 3, v8
	v_lshlrev_b32_e32 v13, 3, v2
	;; [unrolled: 1-line block ×7, first 2 shown]
	ds_read_b64 v[32:33], v0
	ds_read2_b64 v[8:11], v12 offset1:1
	ds_read2_b64 v[0:3], v12 offset0:2 offset1:3
	ds_read_b64 v[34:35], v4 offset:9088
	ds_read_b64 v[36:37], v13
	ds_read_b64 v[38:39], v7 offset:9088
	ds_read_b128 v[12:15], v6 offset:256
	ds_read_b128 v[4:7], v6 offset:272
	ds_read_b64 v[40:41], v40 offset:9088
	ds_read_b64 v[42:43], v42
	ds_read_b64 v[44:45], v44 offset:9088
	s_waitcnt lgkmcnt(5)
	v_pk_mul_f32 v[46:47], v[38:39], v[30:31] op_sel:[0,1]
	v_pk_fma_f32 v[48:49], v[38:39], v[30:31], v[46:47] op_sel:[0,0,1] op_sel_hi:[1,1,0] neg_lo:[0,0,1] neg_hi:[0,0,1]
	v_pk_fma_f32 v[30:31], v[38:39], v[30:31], v[46:47] op_sel:[0,0,1] op_sel_hi:[1,0,0]
	v_pk_mul_f32 v[38:39], v[34:35], v[36:37] op_sel:[0,1]
	v_pk_fma_f32 v[46:47], v[34:35], v[36:37], v[38:39] op_sel:[0,0,1] op_sel_hi:[1,1,0] neg_lo:[0,0,1] neg_hi:[0,0,1]
	v_pk_fma_f32 v[34:35], v[34:35], v[36:37], v[38:39] op_sel:[0,0,1] op_sel_hi:[1,0,0]
	v_mov_b32_e32 v47, v35
	s_waitcnt lgkmcnt(0)
	v_pk_mul_f32 v[34:35], v[44:45], v[32:33] op_sel:[0,1]
	v_mov_b32_e32 v49, v31
	v_pk_fma_f32 v[36:37], v[44:45], v[32:33], v[34:35] op_sel:[0,0,1] op_sel_hi:[1,1,0] neg_lo:[0,0,1] neg_hi:[0,0,1]
	v_pk_fma_f32 v[32:33], v[44:45], v[32:33], v[34:35] op_sel:[0,0,1] op_sel_hi:[1,0,0]
	v_pk_add_f32 v[30:31], v[48:49], 0 op_sel_hi:[1,0]
	v_mov_b32_e32 v37, v33
	v_pk_mul_f32 v[32:33], v[40:41], v[42:43] op_sel:[0,1]
	v_pk_add_f32 v[30:31], v[30:31], v[46:47]
	v_pk_fma_f32 v[34:35], v[40:41], v[42:43], v[32:33] op_sel:[0,0,1] op_sel_hi:[1,1,0] neg_lo:[0,0,1] neg_hi:[0,0,1]
	v_pk_fma_f32 v[32:33], v[40:41], v[42:43], v[32:33] op_sel:[0,0,1] op_sel_hi:[1,0,0]
	v_pk_add_f32 v[30:31], v[30:31], v[36:37]
	v_mov_b32_e32 v35, v33
	v_pk_add_f32 v[30:31], v[30:31], v[34:35]
	s_barrier
	ds_write_b64 v29, v[30:31]
	s_waitcnt lgkmcnt(0)
	s_barrier
	s_and_saveexec_b64 s[8:9], s[10:11]
	s_cbranch_execz .LBB118_86
; %bb.85:
	v_lshlrev_b32_e32 v42, 3, v28
	ds_read2_b64 v[30:33], v42 offset1:1
	ds_read2_b64 v[34:37], v42 offset0:2 offset1:3
	ds_read2_b64 v[38:41], v42 offset0:4 offset1:5
	s_waitcnt lgkmcnt(2)
	v_pk_add_f32 v[18:19], v[18:19], v[30:31]
	v_pk_add_f32 v[18:19], v[18:19], v[32:33]
	ds_read2_b64 v[30:33], v42 offset0:6 offset1:7
	s_waitcnt lgkmcnt(2)
	v_pk_add_f32 v[18:19], v[18:19], v[34:35]
	v_pk_add_f32 v[18:19], v[18:19], v[36:37]
	s_waitcnt lgkmcnt(1)
	v_pk_add_f32 v[18:19], v[18:19], v[38:39]
	v_pk_add_f32 v[18:19], v[18:19], v[40:41]
	;; [unrolled: 3-line block ×3, first 2 shown]
.LBB118_86:
	s_or_b64 exec, exec, s[8:9]
	v_pk_mul_f32 v[30:31], v[12:13], v[8:9] op_sel:[0,1]
	v_pk_fma_f32 v[32:33], v[12:13], v[8:9], v[30:31] op_sel:[0,0,1] op_sel_hi:[1,1,0] neg_lo:[0,0,1] neg_hi:[0,0,1]
	v_pk_fma_f32 v[8:9], v[12:13], v[8:9], v[30:31] op_sel:[0,0,1] op_sel_hi:[1,0,0]
	v_mov_b32_e32 v12, v11
	v_pk_mul_f32 v[12:13], v[14:15], v[12:13] op_sel_hi:[1,0]
	v_pk_fma_f32 v[30:31], v[14:15], v[10:11], v[12:13] op_sel:[0,0,1] op_sel_hi:[1,1,0] neg_lo:[0,0,1] neg_hi:[0,0,1]
	v_pk_fma_f32 v[10:11], v[14:15], v[10:11], v[12:13] op_sel:[0,0,1] op_sel_hi:[1,0,0]
	v_mov_b32_e32 v33, v9
	v_mov_b32_e32 v31, v11
	v_pk_mul_f32 v[10:11], v[4:5], v[0:1] op_sel:[0,1]
	v_pk_add_f32 v[8:9], v[32:33], 0 op_sel_hi:[1,0]
	v_pk_fma_f32 v[12:13], v[4:5], v[0:1], v[10:11] op_sel:[0,0,1] op_sel_hi:[1,1,0] neg_lo:[0,0,1] neg_hi:[0,0,1]
	v_pk_fma_f32 v[0:1], v[4:5], v[0:1], v[10:11] op_sel:[0,0,1] op_sel_hi:[1,0,0]
	v_mov_b32_e32 v4, v3
	v_pk_add_f32 v[8:9], v[8:9], v[30:31]
	v_mov_b32_e32 v13, v1
	v_pk_mul_f32 v[4:5], v[6:7], v[4:5] op_sel_hi:[1,0]
	v_pk_add_f32 v[0:1], v[8:9], v[12:13]
	v_pk_fma_f32 v[8:9], v[6:7], v[2:3], v[4:5] op_sel:[0,0,1] op_sel_hi:[1,1,0] neg_lo:[0,0,1] neg_hi:[0,0,1]
	v_pk_fma_f32 v[2:3], v[6:7], v[2:3], v[4:5] op_sel:[0,0,1] op_sel_hi:[1,0,0]
	v_mov_b32_e32 v9, v3
	v_pk_add_f32 v[0:1], v[0:1], v[8:9]
	s_barrier
	ds_write_b64 v29, v[0:1]
	s_waitcnt lgkmcnt(0)
	s_barrier
	s_and_saveexec_b64 s[8:9], s[4:5]
	s_cbranch_execz .LBB118_88
; %bb.87:
	v_lshlrev_b32_e32 v14, 3, v28
	ds_read2_b64 v[0:3], v14 offset1:1
	ds_read2_b64 v[4:7], v14 offset0:2 offset1:3
	ds_read2_b64 v[8:11], v14 offset0:4 offset1:5
	s_waitcnt lgkmcnt(2)
	v_pk_add_f32 v[0:1], v[18:19], v[0:1]
	v_pk_add_f32 v[12:13], v[0:1], v[2:3]
	ds_read2_b64 v[0:3], v14 offset0:6 offset1:7
	s_waitcnt lgkmcnt(2)
	v_pk_add_f32 v[4:5], v[12:13], v[4:5]
	v_pk_add_f32 v[4:5], v[4:5], v[6:7]
	s_waitcnt lgkmcnt(1)
	v_pk_add_f32 v[4:5], v[4:5], v[8:9]
	v_pk_add_f32 v[4:5], v[4:5], v[10:11]
	;; [unrolled: 3-line block ×3, first 2 shown]
.LBB118_88:
	s_or_b64 exec, exec, s[8:9]
	s_mul_hi_u32 s4, s33, s7
	s_mul_i32 s43, s43, s7
	s_add_i32 s4, s4, s43
	s_mul_i32 s7, s33, s7
	s_mul_i32 s4, s4, s42
	s_mul_hi_u32 s5, s7, s42
	s_add_i32 s5, s5, s4
	s_mul_i32 s4, s7, s42
	s_lshl_b64 s[4:5], s[4:5], 3
	s_add_u32 s7, s28, s4
	s_mul_i32 s4, s6, s33
	s_addc_u32 s8, s29, s5
	s_ashr_i32 s5, s4, 31
	s_lshl_b64 s[4:5], s[4:5], 3
	s_add_u32 s7, s7, s4
	v_cmp_le_i32_e32 vcc, s24, v26
	s_addc_u32 s28, s8, s5
	s_and_b64 vcc, s[34:35], vcc
	s_cmp_lt_i32 s6, 1
	v_lshlrev_b32_e32 v73, 3, v26
	s_barrier
	s_cbranch_scc1 .LBB118_95
; %bb.89:
	s_mul_i32 s4, s26, s37
	s_mul_hi_u32 s5, s26, s36
	s_add_i32 s4, s5, s4
	s_mul_i32 s5, s27, s36
	s_add_i32 s5, s4, s5
	s_mul_i32 s4, s26, s36
	s_lshl_b64 s[4:5], s[4:5], 3
	v_mov_b32_e32 v0, s5
	v_subrev_co_u32_e64 v74, s[4:5], s4, v20
	v_subb_co_u32_e64 v75, s[4:5], v21, v0, s[4:5]
	v_mov_b32_e32 v0, s31
	v_subrev_co_u32_e64 v1, s[4:5], s30, v24
	v_subb_co_u32_e64 v0, s[4:5], v25, v0, s[4:5]
	v_lshlrev_b32_e32 v3, 2, v72
	v_sub_co_u32_e64 v6, s[4:5], v1, v22
	v_subb_co_u32_e64 v7, s[4:5], v0, v23, s[4:5]
	v_mad_u64_u32 v[0:1], s[4:5], v3, s20, 0
	v_mov_b32_e32 v2, v1
	v_mad_u64_u32 v[2:3], s[4:5], v3, s21, v[2:3]
	v_mov_b32_e32 v1, v2
	v_lshlrev_b64 v[0:1], 3, v[0:1]
	v_add_co_u32_e64 v0, s[4:5], v6, v0
	v_addc_co_u32_e64 v1, s[4:5], v7, v1, s[4:5]
	s_ashr_i32 s25, s24, 31
	s_lshl_b64 s[4:5], s[24:25], 3
	v_mov_b32_e32 v2, s5
	v_add_co_u32_e64 v3, s[4:5], s4, v0
	v_addc_co_u32_e64 v2, s[4:5], v1, v2, s[4:5]
	s_movk_i32 s4, 0xfef8
	v_add_co_u32_e64 v3, s[4:5], s4, v3
	v_addc_co_u32_e64 v2, s[4:5], -1, v2, s[4:5]
	v_add_co_u32_e64 v0, s[4:5], v0, v73
	v_addc_co_u32_e64 v1, s[4:5], 0, v1, s[4:5]
	s_movk_i32 s4, 0xff00
	v_add_co_u32_e64 v0, s[4:5], s4, v0
	v_addc_co_u32_e64 v1, s[4:5], -1, v1, s[4:5]
	v_cndmask_b32_e32 v14, v0, v3, vcc
	v_and_b32_e32 v0, 48, v26
	v_and_b32_e32 v4, 15, v26
	v_cndmask_b32_e32 v15, v1, v2, vcc
	v_lshlrev_b32_e32 v1, 3, v0
	s_movk_i32 s8, 0x218
	v_lshrrev_b32_e32 v5, 4, v27
	v_mad_u32_u24 v78, v4, s8, v1
	v_or_b32_e32 v1, 0x78, v73
	v_mad_u32_u24 v79, v4, s8, v1
	v_lshlrev_b32_e32 v1, 5, v5
	v_mad_u32_u24 v80, v4, s8, v1
	v_mov_b32_e32 v1, 0x2180
	v_lshl_add_u32 v81, v72, 5, v1
	s_movk_i32 s9, 0x860
	v_lshlrev_b32_e32 v1, 3, v5
	v_mad_u32_u24 v82, v72, s9, v73
	v_mad_u32_u24 v83, v4, s8, v1
	s_mul_i32 s8, s21, 24
	s_mul_hi_u32 s9, s20, 24
	s_add_i32 s8, s9, s8
	s_mul_i32 s9, s21, 0x90
	s_mul_hi_u32 s16, s20, 0x90
	s_add_i32 s9, s16, s9
	;; [unrolled: 3-line block ×10, first 2 shown]
	s_mul_i32 s16, s21, 0x88
	s_mul_hi_u32 s17, s20, 0x88
	s_lshl_b64 s[10:11], s[20:21], 3
	s_lshl_b64 s[14:15], s[20:21], 4
	s_add_i32 s45, s17, s16
	s_lshl_b64 s[16:17], s[20:21], 7
	v_mov_b32_e32 v13, 0
	v_add_u32_e32 v76, 0x2180, v73
	v_add_u32_e32 v77, 0x2380, v73
	v_cmp_gt_u32_e64 s[4:5], 64, v27
	s_lshl_b64 s[12:13], s[20:21], 9
	s_mul_i32 s24, s20, 24
	s_mul_i32 s25, s20, 0x90
	;; [unrolled: 1-line block ×11, first 2 shown]
	v_or_b32_e32 v84, v0, v4
	s_mov_b32 s20, 0
	v_mov_b32_e32 v85, s11
	v_mov_b32_e32 v86, s15
	v_mov_b32_e32 v87, s8
	v_mov_b32_e32 v88, s17
	v_mov_b32_e32 v89, s45
	v_mov_b32_e32 v90, s9
	v_mov_b32_e32 v91, s18
	v_mov_b32_e32 v92, s23
	v_mov_b32_e32 v93, s44
	v_mov_b32_e32 v94, s19
	v_mov_b32_e32 v95, s39
	v_mov_b32_e32 v96, s43
	v_mov_b32_e32 v97, s42
	v_mov_b32_e32 v98, s40
	v_mov_b32_e32 v99, s41
	s_branch .LBB118_91
.LBB118_90:                             ;   in Loop: Header=BB118_91 Depth=1
	s_or_b64 exec, exec, s[18:19]
	v_mul_f32_e32 v12, v29, v21
	v_fma_f32 v12, v28, v20, -v12
	v_add_f32_e32 v12, v18, v12
	v_mul_f32_e32 v18, v43, v23
	v_fma_f32 v18, v42, v22, -v18
	v_add_f32_e32 v12, v12, v18
	v_mul_f32_e32 v18, v41, v25
	v_fma_f32 v18, v40, v24, -v18
	v_mul_f32_e32 v20, v29, v20
	v_add_f32_e32 v12, v12, v18
	v_mul_f32_e32 v18, v39, v27
	v_mul_f32_e32 v22, v43, v22
	v_fma_f32 v18, v38, v26, -v18
	v_fmac_f32_e32 v20, v28, v21
	v_mul_f32_e32 v24, v41, v24
	v_add_f32_e32 v12, v12, v18
	v_add_f32_e32 v18, v19, v20
	v_fmac_f32_e32 v22, v42, v23
	v_mul_f32_e32 v26, v39, v26
	v_add_f32_e32 v18, v18, v22
	v_fmac_f32_e32 v24, v40, v25
	v_add_f32_e32 v18, v18, v24
	v_fmac_f32_e32 v26, v38, v27
	v_add_f32_e32 v19, v18, v26
	v_mul_f32_e32 v18, v51, v35
	v_fma_f32 v18, v50, v34, -v18
	v_add_f32_e32 v12, v12, v18
	v_mul_f32_e32 v18, v59, v33
	v_fma_f32 v18, v58, v32, -v18
	v_mul_f32_e32 v24, v51, v34
	v_add_f32_e32 v18, v12, v18
	v_mul_f32_e32 v12, v55, v31
	v_mul_f32_e32 v25, v59, v32
	v_fma_f32 v20, v54, v30, -v12
	v_mul_f32_e32 v12, v57, v37
	v_fmac_f32_e32 v24, v50, v35
	v_mul_f32_e32 v21, v55, v30
	v_fma_f32 v22, v56, v36, -v12
	v_add_f32_e32 v12, v19, v24
	v_fmac_f32_e32 v25, v58, v33
	v_mul_f32_e32 v23, v57, v36
	v_add_f32_e32 v19, v12, v25
	v_fmac_f32_e32 v21, v54, v31
	v_mov_b32_e32 v12, v53
	v_fmac_f32_e32 v23, v56, v37
	v_pk_add_f32 v[18:19], v[18:19], v[20:21]
	v_pk_mul_f32 v[20:21], v[70:71], v[12:13] op_sel_hi:[1,0]
	v_pk_add_f32 v[18:19], v[18:19], v[22:23]
	v_pk_fma_f32 v[22:23], v[70:71], v[52:53], v[20:21] op_sel:[0,0,1] op_sel_hi:[1,1,0] neg_lo:[0,0,1] neg_hi:[0,0,1]
	v_pk_fma_f32 v[20:21], v[70:71], v[52:53], v[20:21] op_sel:[0,0,1] op_sel_hi:[1,0,0]
	v_mov_b32_e32 v12, v49
	v_mov_b32_e32 v23, v21
	v_pk_mul_f32 v[20:21], v[8:9], v[12:13] op_sel_hi:[1,0]
	v_pk_add_f32 v[18:19], v[18:19], v[22:23]
	v_pk_fma_f32 v[22:23], v[8:9], v[48:49], v[20:21] op_sel:[0,0,1] op_sel_hi:[1,1,0] neg_lo:[0,0,1] neg_hi:[0,0,1]
	v_pk_fma_f32 v[8:9], v[8:9], v[48:49], v[20:21] op_sel:[0,0,1] op_sel_hi:[1,0,0]
	v_mov_b32_e32 v23, v9
	v_mov_b32_e32 v12, v47
	v_pk_add_f32 v[8:9], v[18:19], v[22:23]
	v_pk_mul_f32 v[18:19], v[10:11], v[12:13] op_sel_hi:[1,0]
	v_pk_fma_f32 v[20:21], v[10:11], v[46:47], v[18:19] op_sel:[0,0,1] op_sel_hi:[1,1,0] neg_lo:[0,0,1] neg_hi:[0,0,1]
	v_pk_fma_f32 v[10:11], v[10:11], v[46:47], v[18:19] op_sel:[0,0,1] op_sel_hi:[1,0,0]
	v_mov_b32_e32 v10, v45
	v_mov_b32_e32 v21, v11
	v_pk_mul_f32 v[10:11], v[68:69], v[10:11] op_sel_hi:[1,0]
	v_pk_fma_f32 v[18:19], v[68:69], v[44:45], v[10:11] op_sel:[0,0,1] op_sel_hi:[1,1,0] neg_lo:[0,0,1] neg_hi:[0,0,1]
	v_pk_fma_f32 v[10:11], v[68:69], v[44:45], v[10:11] op_sel:[0,0,1] op_sel_hi:[1,0,0]
	v_mov_b32_e32 v10, v67
	v_pk_add_f32 v[8:9], v[8:9], v[20:21]
	v_mov_b32_e32 v19, v11
	v_pk_mul_f32 v[10:11], v[0:1], v[10:11] op_sel_hi:[1,0]
	v_pk_add_f32 v[8:9], v[8:9], v[18:19]
	v_pk_fma_f32 v[18:19], v[0:1], v[66:67], v[10:11] op_sel:[0,0,1] op_sel_hi:[1,1,0] neg_lo:[0,0,1] neg_hi:[0,0,1]
	v_pk_fma_f32 v[0:1], v[0:1], v[66:67], v[10:11] op_sel:[0,0,1] op_sel_hi:[1,0,0]
	v_mov_b32_e32 v0, v65
	v_mov_b32_e32 v19, v1
	v_pk_mul_f32 v[0:1], v[6:7], v[0:1] op_sel_hi:[1,0]
	v_pk_fma_f32 v[10:11], v[6:7], v[64:65], v[0:1] op_sel:[0,0,1] op_sel_hi:[1,1,0] neg_lo:[0,0,1] neg_hi:[0,0,1]
	v_pk_fma_f32 v[0:1], v[6:7], v[64:65], v[0:1] op_sel:[0,0,1] op_sel_hi:[1,0,0]
	v_mov_b32_e32 v0, v61
	v_mov_b32_e32 v11, v1
	v_pk_mul_f32 v[0:1], v[4:5], v[0:1] op_sel_hi:[1,0]
	;; [unrolled: 5-line block ×3, first 2 shown]
	v_pk_fma_f32 v[4:5], v[2:3], v[62:63], v[0:1] op_sel:[0,0,1] op_sel_hi:[1,1,0] neg_lo:[0,0,1] neg_hi:[0,0,1]
	v_pk_fma_f32 v[0:1], v[2:3], v[62:63], v[0:1] op_sel:[0,0,1] op_sel_hi:[1,0,0]
	v_mov_b32_e32 v5, v1
	v_pk_add_f32 v[0:1], v[8:9], v[18:19]
	v_pk_add_f32 v[0:1], v[0:1], v[10:11]
	;; [unrolled: 1-line block ×4, first 2 shown]
	v_mov_b32_e32 v0, s13
	s_add_i32 s20, s20, 64
	s_add_i32 s6, s6, -1
	v_add_co_u32_e64 v14, s[8:9], s12, v14
	s_cmp_eq_u32 s6, 0
	v_addc_co_u32_e64 v15, s[8:9], v15, v0, s[8:9]
	s_barrier
	s_cbranch_scc1 .LBB118_95
.LBB118_91:                             ; =>This Inner Loop Header: Depth=1
	s_and_saveexec_b64 s[18:19], s[2:3]
	s_cbranch_execz .LBB118_93
; %bb.92:                               ;   in Loop: Header=BB118_91 Depth=1
	s_mul_i32 s8, s20, s37
	s_mul_hi_u32 s9, s20, s36
	s_add_i32 s9, s9, s8
	s_mul_i32 s8, s20, s36
	s_lshl_b64 s[8:9], s[8:9], 3
	v_mov_b32_e32 v1, s9
	v_add_co_u32_e64 v0, s[8:9], s8, v74
	v_addc_co_u32_e64 v1, s[8:9], v75, v1, s[8:9]
	global_load_dwordx2 v[0:1], v[0:1], off
	s_waitcnt vmcnt(0)
	ds_write_b64 v76, v[0:1]
.LBB118_93:                             ;   in Loop: Header=BB118_91 Depth=1
	s_or_b64 exec, exec, s[18:19]
	v_add_co_u32_e64 v0, s[8:9], s10, v14
	v_addc_co_u32_e64 v1, s[8:9], v15, v85, s[8:9]
	v_add_co_u32_e64 v2, s[8:9], s14, v14
	s_waitcnt lgkmcnt(0)
	s_barrier
	global_load_dwordx2 v[20:21], v[14:15], off
	v_addc_co_u32_e64 v3, s[8:9], v15, v86, s[8:9]
	global_load_dwordx2 v[22:23], v[0:1], off
	global_load_dwordx2 v[24:25], v[2:3], off
	v_add_co_u32_e64 v0, s[8:9], s24, v14
	v_addc_co_u32_e64 v1, s[8:9], v15, v87, s[8:9]
	global_load_dwordx2 v[26:27], v[0:1], off
	ds_read_b64 v[0:1], v77
	ds_read_b64 v[28:29], v81
	v_add_co_u32_e64 v8, s[8:9], s16, v14
	v_addc_co_u32_e64 v9, s[8:9], v15, v88, s[8:9]
	v_add_co_u32_e64 v10, s[8:9], s38, v14
	v_addc_co_u32_e64 v11, s[8:9], v15, v89, s[8:9]
	;; [unrolled: 2-line block ×3, first 2 shown]
	s_waitcnt vmcnt(3) lgkmcnt(1)
	v_mul_f32_e32 v2, v1, v21
	v_mul_f32_e32 v3, v1, v20
	v_fma_f32 v2, v0, v20, -v2
	v_fmac_f32_e32 v3, v0, v21
	s_waitcnt vmcnt(2)
	v_mul_f32_e32 v4, v1, v23
	v_mul_f32_e32 v5, v1, v22
	s_waitcnt vmcnt(1)
	v_mul_f32_e32 v6, v1, v25
	v_mul_f32_e32 v7, v1, v24
	ds_write_b64 v82, v[2:3]
	v_fma_f32 v4, v0, v22, -v4
	v_fmac_f32_e32 v5, v0, v23
	s_waitcnt vmcnt(0)
	v_mul_f32_e32 v12, v1, v27
	v_mul_f32_e32 v31, v0, v27
	v_fma_f32 v6, v0, v24, -v6
	v_fmac_f32_e32 v7, v0, v25
	ds_read_b64 v[42:43], v81 offset:8
	ds_write_b64 v82, v[4:5] offset:536
	v_fma_f32 v30, v0, v26, -v12
	v_fmac_f32_e32 v31, v1, v26
	ds_read_b64 v[40:41], v81 offset:16
	ds_write_b64 v82, v[6:7] offset:1072
	ds_read_b64 v[38:39], v81 offset:24
	ds_write_b64 v82, v[30:31] offset:1608
	s_waitcnt lgkmcnt(0)
	s_barrier
	ds_read2_b64 v[4:7], v80 offset1:1
	ds_read2_b64 v[0:3], v80 offset0:2 offset1:3
	s_waitcnt lgkmcnt(0)
	s_barrier
	global_load_dwordx2 v[34:35], v[8:9], off
	global_load_dwordx2 v[32:33], v[10:11], off
	global_load_dwordx2 v[30:31], v[36:37], off
	v_add_co_u32_e64 v8, s[8:9], s26, v14
	v_addc_co_u32_e64 v9, s[8:9], v15, v91, s[8:9]
	global_load_dwordx2 v[36:37], v[8:9], off
	ds_read_b64 v[44:45], v77
	ds_read_b64 v[50:51], v81 offset:128
	v_add_co_u32_e64 v8, s[8:9], s22, v14
	v_addc_co_u32_e64 v9, s[8:9], v15, v92, s[8:9]
	v_add_co_u32_e64 v10, s[8:9], s35, v14
	v_addc_co_u32_e64 v11, s[8:9], v15, v93, s[8:9]
	;; [unrolled: 2-line block ×3, first 2 shown]
	v_pk_add_f32 v[4:5], v[4:5], 0 op_sel_hi:[1,0]
	v_pk_add_f32 v[4:5], v[4:5], v[6:7]
	v_pk_add_f32 v[0:1], v[4:5], v[0:1]
	s_waitcnt vmcnt(3) lgkmcnt(1)
	v_mul_f32_e32 v12, v45, v35
	v_mul_f32_e32 v47, v45, v34
	s_waitcnt vmcnt(2)
	v_mul_f32_e32 v48, v45, v33
	v_mul_f32_e32 v49, v45, v32
	v_fma_f32 v46, v44, v34, -v12
	v_fmac_f32_e32 v47, v44, v35
	s_waitcnt vmcnt(1)
	v_mul_f32_e32 v52, v45, v31
	v_mul_f32_e32 v53, v45, v30
	v_fma_f32 v48, v44, v32, -v48
	v_fmac_f32_e32 v49, v44, v33
	ds_write_b64 v82, v[46:47]
	s_waitcnt vmcnt(0)
	v_mul_f32_e32 v54, v45, v37
	v_mul_f32_e32 v63, v44, v37
	v_fma_f32 v52, v44, v30, -v52
	v_fmac_f32_e32 v53, v44, v31
	ds_read_b64 v[58:59], v81 offset:136
	ds_write_b64 v82, v[48:49] offset:536
	v_fma_f32 v62, v44, v36, -v54
	v_fmac_f32_e32 v63, v45, v36
	ds_read_b64 v[54:55], v81 offset:144
	ds_write_b64 v82, v[52:53] offset:1072
	ds_read_b64 v[56:57], v81 offset:152
	ds_write_b64 v82, v[62:63] offset:1608
	s_waitcnt lgkmcnt(0)
	s_barrier
	ds_read2_b64 v[100:103], v80 offset1:1
	ds_read2_b64 v[104:107], v80 offset0:2 offset1:3
	s_waitcnt lgkmcnt(0)
	s_barrier
	global_load_dwordx2 v[52:53], v[8:9], off
	global_load_dwordx2 v[48:49], v[10:11], off
	;; [unrolled: 1-line block ×3, first 2 shown]
	v_add_co_u32_e64 v8, s[8:9], s29, v14
	v_addc_co_u32_e64 v9, s[8:9], v15, v95, s[8:9]
	global_load_dwordx2 v[44:45], v[8:9], off
	ds_read_b64 v[8:9], v77
	ds_read_b64 v[70:71], v81 offset:256
	v_add_co_u32_e64 v62, s[8:9], s34, v14
	v_addc_co_u32_e64 v63, s[8:9], v15, v96, s[8:9]
	v_add_co_u32_e64 v116, s[8:9], s33, v14
	v_addc_co_u32_e64 v117, s[8:9], v15, v97, s[8:9]
	;; [unrolled: 2-line block ×3, first 2 shown]
	s_waitcnt vmcnt(3) lgkmcnt(1)
	v_mul_f32_e32 v10, v9, v53
	v_mul_f32_e32 v11, v9, v52
	s_waitcnt vmcnt(2)
	v_mul_f32_e32 v12, v9, v49
	v_mul_f32_e32 v61, v9, v48
	s_waitcnt vmcnt(1)
	v_mul_f32_e32 v64, v9, v47
	v_mul_f32_e32 v65, v9, v46
	v_fma_f32 v10, v8, v52, -v10
	s_waitcnt vmcnt(0)
	v_mul_f32_e32 v66, v9, v45
	v_mul_f32_e32 v67, v8, v45
	v_fma_f32 v60, v8, v48, -v12
	v_fmac_f32_e32 v11, v8, v53
	v_fmac_f32_e32 v61, v8, v49
	v_fma_f32 v64, v8, v46, -v64
	v_fma_f32 v66, v8, v44, -v66
	v_fmac_f32_e32 v65, v8, v47
	v_fmac_f32_e32 v67, v9, v44
	ds_write2_b64 v82, v[10:11], v[60:61] offset1:67
	ds_write2_b64 v82, v[64:65], v[66:67] offset0:134 offset1:201
	ds_read2_b64 v[8:11], v81 offset0:33 offset1:34
	ds_read_b64 v[68:69], v81 offset:280
	s_waitcnt lgkmcnt(0)
	s_barrier
	ds_read2_b64 v[108:111], v80 offset1:1
	ds_read2_b64 v[112:115], v80 offset0:2 offset1:3
	s_waitcnt lgkmcnt(0)
	s_barrier
	global_load_dwordx2 v[66:67], v[62:63], off
	global_load_dwordx2 v[64:65], v[116:117], off
	;; [unrolled: 1-line block ×3, first 2 shown]
	v_add_co_u32_e64 v62, s[8:9], s31, v14
	v_addc_co_u32_e64 v63, s[8:9], v15, v99, s[8:9]
	global_load_dwordx2 v[62:63], v[62:63], off
	v_pk_add_f32 v[116:117], v[0:1], v[2:3]
	v_pk_add_f32 v[0:1], v[100:101], 0 op_sel_hi:[1,0]
	v_pk_add_f32 v[0:1], v[0:1], v[102:103]
	v_pk_add_f32 v[0:1], v[0:1], v[104:105]
	;; [unrolled: 1-line block ×3, first 2 shown]
	ds_read_b64 v[2:3], v77
	ds_read_b64 v[0:1], v81 offset:384
	v_pk_add_f32 v[4:5], v[108:109], 0 op_sel_hi:[1,0]
	v_pk_add_f32 v[4:5], v[4:5], v[110:111]
	v_pk_add_f32 v[4:5], v[4:5], v[112:113]
	;; [unrolled: 1-line block ×3, first 2 shown]
	s_waitcnt vmcnt(3) lgkmcnt(1)
	v_mul_f32_e32 v4, v3, v67
	v_mul_f32_e32 v5, v3, v66
	s_waitcnt vmcnt(2)
	v_mul_f32_e32 v6, v3, v65
	v_mul_f32_e32 v101, v3, v64
	v_fma_f32 v4, v2, v66, -v4
	v_fmac_f32_e32 v5, v2, v67
	s_waitcnt vmcnt(1)
	v_mul_f32_e32 v7, v3, v61
	v_mul_f32_e32 v103, v3, v60
	v_fma_f32 v100, v2, v64, -v6
	v_fmac_f32_e32 v101, v2, v65
	ds_write_b64 v82, v[4:5]
	s_waitcnt vmcnt(0)
	v_mul_f32_e32 v12, v3, v63
	v_mul_f32_e32 v105, v2, v63
	v_fma_f32 v102, v2, v60, -v7
	v_fmac_f32_e32 v103, v2, v61
	ds_read_b64 v[6:7], v81 offset:392
	ds_write_b64 v82, v[100:101] offset:536
	v_fma_f32 v104, v2, v62, -v12
	v_fmac_f32_e32 v105, v3, v62
	ds_read_b64 v[4:5], v81 offset:400
	ds_write_b64 v82, v[102:103] offset:1072
	ds_read_b64 v[2:3], v81 offset:408
	ds_write_b64 v82, v[104:105] offset:1608
	s_waitcnt lgkmcnt(0)
	s_barrier
	ds_read2_b64 v[100:103], v80 offset1:1
	ds_read2_b64 v[104:107], v80 offset0:2 offset1:3
	s_waitcnt lgkmcnt(0)
	s_barrier
	v_pk_add_f32 v[100:101], v[100:101], 0 op_sel_hi:[1,0]
	v_pk_add_f32 v[100:101], v[100:101], v[102:103]
	v_pk_add_f32 v[100:101], v[100:101], v[104:105]
	;; [unrolled: 1-line block ×3, first 2 shown]
	ds_write2_b64 v83, v[116:117], v[118:119] offset1:16
	ds_write2_b64 v83, v[108:109], v[100:101] offset0:32 offset1:48
	s_waitcnt lgkmcnt(0)
	s_barrier
	s_and_saveexec_b64 s[18:19], s[4:5]
	s_cbranch_execz .LBB118_90
; %bb.94:                               ;   in Loop: Header=BB118_91 Depth=1
	ds_read_b64 v[108:109], v78
	ds_read2_b64 v[100:103], v78 offset0:1 offset1:2
	ds_read2_b64 v[104:107], v78 offset0:3 offset1:4
	s_waitcnt lgkmcnt(1)
	v_add_f32_e32 v12, v100, v108
	v_add_f32_e32 v100, v101, v109
	;; [unrolled: 1-line block ×4, first 2 shown]
	ds_read2_b64 v[100:103], v78 offset0:5 offset1:6
	s_waitcnt lgkmcnt(1)
	v_add_f32_e32 v12, v12, v104
	v_add_f32_e32 v104, v108, v105
	;; [unrolled: 1-line block ×4, first 2 shown]
	v_add_u32_e32 v12, s20, v84
	ds_read2_b64 v[104:107], v78 offset0:7 offset1:8
	v_lshlrev_b64 v[110:111], 3, v[12:13]
	v_mov_b32_e32 v12, s28
	v_add_co_u32_e64 v112, s[8:9], s7, v110
	v_addc_co_u32_e64 v113, s[8:9], v12, v111, s[8:9]
	s_waitcnt lgkmcnt(1)
	v_pk_add_f32 v[100:101], v[108:109], v[100:101]
	ds_read2_b64 v[108:111], v78 offset0:9 offset1:10
	v_pk_add_f32 v[100:101], v[100:101], v[102:103]
	s_waitcnt lgkmcnt(1)
	v_pk_add_f32 v[100:101], v[100:101], v[104:105]
	v_pk_add_f32 v[104:105], v[100:101], v[106:107]
	ds_read2_b64 v[100:103], v78 offset0:11 offset1:12
	s_waitcnt lgkmcnt(1)
	v_pk_add_f32 v[108:109], v[104:105], v[108:109]
	ds_read2_b64 v[104:107], v78 offset0:13 offset1:14
	v_pk_add_f32 v[108:109], v[108:109], v[110:111]
	ds_read_b64 v[110:111], v79
	s_waitcnt lgkmcnt(2)
	v_pk_add_f32 v[100:101], v[108:109], v[100:101]
	v_pk_add_f32 v[100:101], v[100:101], v[102:103]
	s_waitcnt lgkmcnt(1)
	v_pk_add_f32 v[100:101], v[100:101], v[104:105]
	v_pk_add_f32 v[100:101], v[100:101], v[106:107]
	s_waitcnt lgkmcnt(0)
	v_pk_add_f32 v[100:101], v[100:101], v[110:111]
	global_store_dwordx2 v[112:113], v[100:101], off
	s_branch .LBB118_90
.LBB118_95:
	s_movk_i32 s2, 0x218
	s_or_b64 s[0:1], s[0:1], vcc
	v_mad_u32_u24 v0, v72, s2, v73
	s_xor_b64 s[0:1], s[0:1], -1
	ds_write_b64 v0, v[18:19]
	s_waitcnt lgkmcnt(0)
	s_barrier
	s_and_saveexec_b64 s[2:3], s[0:1]
	s_cbranch_execz .LBB118_97
; %bb.96:
	ds_read2_b64 v[0:3], v73 offset1:67
	ds_read2_b64 v[4:7], v73 offset0:134 offset1:201
	v_lshlrev_b64 v[8:9], 3, v[16:17]
	v_mov_b32_e32 v10, s28
	v_add_co_u32_e32 v8, vcc, s7, v8
	s_waitcnt lgkmcnt(1)
	v_pk_add_f32 v[0:1], v[2:3], v[0:1]
	s_waitcnt lgkmcnt(0)
	v_pk_add_f32 v[0:1], v[0:1], v[4:5]
	v_addc_co_u32_e32 v9, vcc, v10, v9, vcc
	v_pk_add_f32 v[0:1], v[0:1], v[6:7]
	global_store_dwordx2 v[8:9], v[0:1], off
.LBB118_97:
	s_endpgm
	.section	.rodata,"a",@progbits
	.p2align	6, 0x0
	.amdhsa_kernel _ZL26rocblas_hemvn_kernel_lowerILb0ELi64ELi4ELi33ELi32ELi16ElPK19rocblas_complex_numIfES3_PS1_EviT6_lT7_lT5_lS6_lS7_lS5_lT8_i
		.amdhsa_group_segment_fixed_size 9600
		.amdhsa_private_segment_fixed_size 0
		.amdhsa_kernarg_size 376
		.amdhsa_user_sgpr_count 6
		.amdhsa_user_sgpr_private_segment_buffer 1
		.amdhsa_user_sgpr_dispatch_ptr 0
		.amdhsa_user_sgpr_queue_ptr 0
		.amdhsa_user_sgpr_kernarg_segment_ptr 1
		.amdhsa_user_sgpr_dispatch_id 0
		.amdhsa_user_sgpr_flat_scratch_init 0
		.amdhsa_user_sgpr_kernarg_preload_length 0
		.amdhsa_user_sgpr_kernarg_preload_offset 0
		.amdhsa_user_sgpr_private_segment_size 0
		.amdhsa_uses_dynamic_stack 0
		.amdhsa_system_sgpr_private_segment_wavefront_offset 0
		.amdhsa_system_sgpr_workgroup_id_x 1
		.amdhsa_system_sgpr_workgroup_id_y 0
		.amdhsa_system_sgpr_workgroup_id_z 1
		.amdhsa_system_sgpr_workgroup_info 0
		.amdhsa_system_vgpr_workitem_id 1
		.amdhsa_next_free_vgpr 120
		.amdhsa_next_free_sgpr 46
		.amdhsa_accum_offset 120
		.amdhsa_reserve_vcc 1
		.amdhsa_reserve_flat_scratch 0
		.amdhsa_float_round_mode_32 0
		.amdhsa_float_round_mode_16_64 0
		.amdhsa_float_denorm_mode_32 3
		.amdhsa_float_denorm_mode_16_64 3
		.amdhsa_dx10_clamp 1
		.amdhsa_ieee_mode 1
		.amdhsa_fp16_overflow 0
		.amdhsa_tg_split 0
		.amdhsa_exception_fp_ieee_invalid_op 0
		.amdhsa_exception_fp_denorm_src 0
		.amdhsa_exception_fp_ieee_div_zero 0
		.amdhsa_exception_fp_ieee_overflow 0
		.amdhsa_exception_fp_ieee_underflow 0
		.amdhsa_exception_fp_ieee_inexact 0
		.amdhsa_exception_int_div_zero 0
	.end_amdhsa_kernel
	.section	.text._ZL26rocblas_hemvn_kernel_lowerILb0ELi64ELi4ELi33ELi32ELi16ElPK19rocblas_complex_numIfES3_PS1_EviT6_lT7_lT5_lS6_lS7_lS5_lT8_i,"axG",@progbits,_ZL26rocblas_hemvn_kernel_lowerILb0ELi64ELi4ELi33ELi32ELi16ElPK19rocblas_complex_numIfES3_PS1_EviT6_lT7_lT5_lS6_lS7_lS5_lT8_i,comdat
.Lfunc_end118:
	.size	_ZL26rocblas_hemvn_kernel_lowerILb0ELi64ELi4ELi33ELi32ELi16ElPK19rocblas_complex_numIfES3_PS1_EviT6_lT7_lT5_lS6_lS7_lS5_lT8_i, .Lfunc_end118-_ZL26rocblas_hemvn_kernel_lowerILb0ELi64ELi4ELi33ELi32ELi16ElPK19rocblas_complex_numIfES3_PS1_EviT6_lT7_lT5_lS6_lS7_lS5_lT8_i
                                        ; -- End function
	.section	.AMDGPU.csdata,"",@progbits
; Kernel info:
; codeLenInByte = 7824
; NumSgprs: 50
; NumVgprs: 120
; NumAgprs: 0
; TotalNumVgprs: 120
; ScratchSize: 0
; MemoryBound: 1
; FloatMode: 240
; IeeeMode: 1
; LDSByteSize: 9600 bytes/workgroup (compile time only)
; SGPRBlocks: 6
; VGPRBlocks: 14
; NumSGPRsForWavesPerEU: 50
; NumVGPRsForWavesPerEU: 120
; AccumOffset: 120
; Occupancy: 4
; WaveLimiterHint : 0
; COMPUTE_PGM_RSRC2:SCRATCH_EN: 0
; COMPUTE_PGM_RSRC2:USER_SGPR: 6
; COMPUTE_PGM_RSRC2:TRAP_HANDLER: 0
; COMPUTE_PGM_RSRC2:TGID_X_EN: 1
; COMPUTE_PGM_RSRC2:TGID_Y_EN: 0
; COMPUTE_PGM_RSRC2:TGID_Z_EN: 1
; COMPUTE_PGM_RSRC2:TIDIG_COMP_CNT: 1
; COMPUTE_PGM_RSRC3_GFX90A:ACCUM_OFFSET: 29
; COMPUTE_PGM_RSRC3_GFX90A:TG_SPLIT: 0
	.section	.text._ZL26rocblas_hemvn_kernel_lowerILb0ELi64ELi4ELi33ELi32ELi16EiPK19rocblas_complex_numIfES3_PS1_EviT6_lT7_lT5_lS6_lS7_lS5_lT8_i,"axG",@progbits,_ZL26rocblas_hemvn_kernel_lowerILb0ELi64ELi4ELi33ELi32ELi16EiPK19rocblas_complex_numIfES3_PS1_EviT6_lT7_lT5_lS6_lS7_lS5_lT8_i,comdat
	.globl	_ZL26rocblas_hemvn_kernel_lowerILb0ELi64ELi4ELi33ELi32ELi16EiPK19rocblas_complex_numIfES3_PS1_EviT6_lT7_lT5_lS6_lS7_lS5_lT8_i ; -- Begin function _ZL26rocblas_hemvn_kernel_lowerILb0ELi64ELi4ELi33ELi32ELi16EiPK19rocblas_complex_numIfES3_PS1_EviT6_lT7_lT5_lS6_lS7_lS5_lT8_i
	.p2align	8
	.type	_ZL26rocblas_hemvn_kernel_lowerILb0ELi64ELi4ELi33ELi32ELi16EiPK19rocblas_complex_numIfES3_PS1_EviT6_lT7_lT5_lS6_lS7_lS5_lT8_i,@function
_ZL26rocblas_hemvn_kernel_lowerILb0ELi64ELi4ELi33ELi32ELi16EiPK19rocblas_complex_numIfES3_PS1_EviT6_lT7_lT5_lS6_lS7_lS5_lT8_i: ; @_ZL26rocblas_hemvn_kernel_lowerILb0ELi64ELi4ELi33ELi32ELi16EiPK19rocblas_complex_numIfES3_PS1_EviT6_lT7_lT5_lS6_lS7_lS5_lT8_i
; %bb.0:
	s_load_dwordx2 s[2:3], s[4:5], 0x84
	s_add_u32 s0, s4, 0x78
	s_addc_u32 s1, s5, 0
	s_waitcnt lgkmcnt(0)
	s_lshr_b32 s8, s2, 16
	s_and_b32 s2, s2, 0xffff
	s_and_b32 s3, s3, 0xffff
	s_mul_i32 s2, s8, s2
	s_mul_i32 s2, s2, s3
	s_cmpk_lg_i32 s2, 0x100
	s_cbranch_scc1 .LBB119_97
; %bb.1:
	s_load_dwordx8 s[8:15], s[4:5], 0x8
	s_waitcnt lgkmcnt(0)
	s_mul_i32 s3, s7, s11
	s_mul_hi_u32 s11, s7, s10
	s_mul_i32 s2, s7, s10
	s_add_i32 s3, s11, s3
	s_lshl_b64 s[2:3], s[2:3], 3
	s_add_u32 s2, s8, s2
	s_addc_u32 s3, s9, s3
	s_load_dwordx2 s[8:9], s[2:3], 0x0
	s_load_dwordx8 s[16:23], s[4:5], 0x50
	s_waitcnt lgkmcnt(0)
	s_or_b32 s2, s8, s9
	s_bitset0_b32 s2, 31
	s_cmp_lg_u32 s2, 0
	s_cselect_b64 s[2:3], -1, 0
	s_mov_b64 s[8:9], -1
	s_and_b64 vcc, exec, s[2:3]
	s_cbranch_vccnz .LBB119_3
; %bb.2:
	s_mul_i32 s8, s7, s21
	s_mul_hi_u32 s9, s7, s20
	s_add_i32 s9, s9, s8
	s_mul_i32 s8, s7, s20
	s_lshl_b64 s[8:9], s[8:9], 3
	s_add_u32 s8, s18, s8
	s_addc_u32 s9, s19, s9
	s_load_dwordx2 s[8:9], s[8:9], 0x0
	s_waitcnt lgkmcnt(0)
	v_cmp_neq_f32_e64 s[10:11], s8, 1.0
	v_cmp_neq_f32_e64 s[8:9], s9, 0
	s_or_b64 s[8:9], s[10:11], s[8:9]
.LBB119_3:
	s_andn2_b64 vcc, exec, s[8:9]
	s_cbranch_vccnz .LBB119_97
; %bb.4:
	s_andn2_b64 vcc, exec, s[2:3]
	s_cbranch_vccnz .LBB119_97
; %bb.5:
	s_load_dword s41, s[0:1], 0x0
	s_load_dword s40, s[4:5], 0x0
	s_load_dwordx4 s[8:11], s[4:5], 0x30
	s_load_dwordx2 s[2:3], s[4:5], 0x40
	s_load_dword s33, s[4:5], 0x48
	s_mul_i32 s0, s7, s17
	s_mul_hi_u32 s1, s7, s16
	s_add_i32 s1, s1, s0
	s_mul_i32 s0, s7, s16
	s_lshl_b64 s[0:1], s[0:1], 3
	s_waitcnt lgkmcnt(0)
	s_add_u32 s10, s10, s0
	s_addc_u32 s11, s11, s1
	s_lshl_b64 s[0:1], s[2:3], 3
	s_add_u32 s0, s10, s0
	s_addc_u32 s1, s11, s1
	v_and_b32_e32 v26, 0x3ff, v0
	s_lshl_b32 s26, s6, 6
	s_ashr_i32 s42, s40, 31
	s_lshr_b32 s3, s42, 26
	v_add_u32_e32 v16, s26, v26
	v_bfe_u32 v17, v0, 10, 10
	s_add_i32 s3, s40, s3
	v_mul_lo_u32 v0, v16, s33
	s_andn2_b32 s3, s3, 63
	v_ashrrev_i32_e32 v1, 31, v0
	s_add_i32 s2, s41, -1
	s_sub_i32 s3, s40, s3
	v_lshlrev_b64 v[0:1], 3, v[0:1]
	s_cmp_eq_u32 s6, s2
	v_mov_b32_e32 v2, s1
	v_add_co_u32_e32 v20, vcc, s0, v0
	s_cselect_b32 s24, s3, 0
	v_addc_co_u32_e32 v21, vcc, v2, v1, vcc
	v_cmp_ne_u32_e64 s[0:1], 0, v17
	v_cmp_eq_u32_e64 s[2:3], 0, v17
	s_and_saveexec_b64 s[10:11], s[2:3]
	s_cbranch_execz .LBB119_10
; %bb.6:
	s_cmp_lg_u32 s24, 0
	s_cselect_b64 s[16:17], -1, 0
	v_cmp_le_i32_e32 vcc, s24, v26
	v_mov_b32_e32 v0, 0x2380
	s_and_b64 s[16:17], s[16:17], vcc
	v_lshl_add_u32 v0, v26, 3, v0
	s_and_saveexec_b64 s[18:19], s[16:17]
	s_xor_b64 s[16:17], exec, s[18:19]
	s_cbranch_execz .LBB119_8
; %bb.7:
	v_mov_b32_e32 v2, 0
	v_mov_b32_e32 v3, v2
	ds_write_b64 v0, v[2:3]
                                        ; implicit-def: $vgpr0
.LBB119_8:
	s_andn2_saveexec_b64 s[16:17], s[16:17]
	s_cbranch_execz .LBB119_10
; %bb.9:
	global_load_dwordx2 v[2:3], v[20:21], off
	s_waitcnt vmcnt(0)
	ds_write_b64 v0, v[2:3]
.LBB119_10:
	s_or_b64 exec, exec, s[10:11]
	s_mul_i32 s9, s7, s9
	s_mul_hi_u32 s10, s7, s8
	s_add_i32 s9, s10, s9
	s_mul_i32 s8, s7, s8
	s_lshl_b64 s[8:9], s[8:9], 3
	s_add_u32 s10, s12, s8
	s_addc_u32 s11, s13, s9
	s_lshl_b64 s[8:9], s[14:15], 3
	s_load_dword s20, s[4:5], 0x28
	s_add_u32 s8, s10, s8
	s_addc_u32 s9, s11, s9
	s_ashr_i32 s27, s26, 31
	v_lshl_add_u32 v27, v17, 6, v26
	s_lshl_b64 s[4:5], s[26:27], 3
	v_and_b32_e32 v0, 31, v26
	v_lshrrev_b32_e32 v8, 5, v27
	s_add_u32 s8, s8, s4
	s_addc_u32 s9, s9, s5
	s_waitcnt lgkmcnt(0)
	v_mad_u64_u32 v[2:3], s[4:5], v8, s20, v[0:1]
	s_mul_i32 s4, s26, s20
	s_ashr_i32 s5, s4, 31
	s_lshl_b64 s[28:29], s[4:5], 3
	v_ashrrev_i32_e32 v3, 31, v2
	s_add_u32 s4, s28, s8
	v_lshlrev_b64 v[22:23], 3, v[2:3]
	s_addc_u32 s5, s29, s9
	v_mov_b32_e32 v1, s5
	v_add_co_u32_e32 v2, vcc, s4, v22
	s_cmp_lg_u32 s24, 0
	v_addc_co_u32_e32 v3, vcc, v1, v23, vcc
	s_cselect_b64 s[30:31], -1, 0
	s_cmp_eq_u32 s24, 0
	s_cselect_b64 s[34:35], -1, 0
	s_and_b64 vcc, exec, s[30:31]
	s_cbranch_vccnz .LBB119_12
; %bb.11:
	s_lshl_b32 s4, s20, 3
	s_ashr_i32 s5, s4, 31
	s_lshl_b64 s[4:5], s[4:5], 3
	v_mov_b32_e32 v1, s5
	v_add_co_u32_e32 v6, vcc, s4, v2
	s_ashr_i32 s21, s20, 31
	v_addc_co_u32_e32 v7, vcc, v3, v1, vcc
	s_lshl_b64 s[4:5], s[20:21], 6
	global_load_dwordx2 v[4:5], v[2:3], off
	global_load_dwordx2 v[10:11], v[6:7], off
	v_mov_b32_e32 v1, s5
	v_add_co_u32_e32 v6, vcc, s4, v6
	v_addc_co_u32_e32 v7, vcc, v7, v1, vcc
	global_load_dwordx2 v[12:13], v[6:7], off
	v_add_co_u32_e32 v6, vcc, s4, v6
	v_addc_co_u32_e32 v7, vcc, v7, v1, vcc
	global_load_dwordx2 v[6:7], v[6:7], off
	v_mul_u32_u24_e32 v1, 33, v8
	v_add_lshl_u32 v1, v1, v0, 3
	s_waitcnt vmcnt(3)
	ds_write_b64 v1, v[4:5]
	s_waitcnt vmcnt(2)
	ds_write_b64 v1, v[10:11] offset:2112
	s_waitcnt vmcnt(1)
	ds_write_b64 v1, v[12:13] offset:4224
	;; [unrolled: 2-line block ×3, first 2 shown]
	s_cbranch_execz .LBB119_13
	s_branch .LBB119_28
.LBB119_12:
.LBB119_13:
	v_lshlrev_b32_e32 v1, 3, v0
	v_sub_co_u32_e32 v4, vcc, v2, v1
	s_ashr_i32 s25, s24, 31
	v_subbrev_co_u32_e32 v5, vcc, 0, v3, vcc
	s_lshl_b64 s[8:9], s[24:25], 3
	v_mov_b32_e32 v6, s9
	v_add_co_u32_e32 v4, vcc, s8, v4
	v_addc_co_u32_e32 v5, vcc, v5, v6, vcc
	v_add_co_u32_e32 v4, vcc, -8, v4
	v_addc_co_u32_e32 v5, vcc, -1, v5, vcc
	v_cmp_gt_i32_e32 vcc, s24, v0
	v_mov_b32_e32 v6, 0
	v_cndmask_b32_e32 v5, v5, v3, vcc
	v_cndmask_b32_e32 v4, v4, v2, vcc
	v_cmp_gt_i32_e64 s[4:5], s24, v8
	v_mov_b32_e32 v7, v6
	s_and_saveexec_b64 s[10:11], s[4:5]
	s_cbranch_execz .LBB119_15
; %bb.14:
	global_load_dwordx2 v[6:7], v[4:5], off
.LBB119_15:
	s_or_b64 exec, exec, s[10:11]
	v_mul_u32_u24_e32 v9, 33, v8
	v_add_lshl_u32 v9, v9, v0, 3
	s_waitcnt vmcnt(0)
	ds_write_b64 v9, v[6:7]
	v_add_u32_e32 v6, 8, v8
	v_cmp_le_i32_e64 s[4:5], s24, v6
	s_and_saveexec_b64 s[10:11], s[4:5]
	s_xor_b64 s[4:5], exec, s[10:11]
	s_cbranch_execz .LBB119_17
; %bb.16:
	v_mul_u32_u24_e32 v6, 33, v6
	v_add_lshl_u32 v10, v6, v0, 3
	v_mov_b32_e32 v6, 0
	v_mov_b32_e32 v7, v6
	ds_write_b64 v10, v[6:7]
.LBB119_17:
	s_andn2_saveexec_b64 s[10:11], s[4:5]
	s_cbranch_execz .LBB119_19
; %bb.18:
	s_lshl_b32 s4, s20, 3
	s_ashr_i32 s5, s4, 31
	s_lshl_b64 s[4:5], s[4:5], 3
	v_mov_b32_e32 v7, s5
	v_add_co_u32_e64 v6, s[4:5], s4, v4
	v_addc_co_u32_e64 v7, s[4:5], v5, v7, s[4:5]
	global_load_dwordx2 v[6:7], v[6:7], off
	s_waitcnt vmcnt(0)
	ds_write_b64 v9, v[6:7] offset:2112
.LBB119_19:
	s_or_b64 exec, exec, s[10:11]
	v_add_u32_e32 v6, 16, v8
	v_cmp_le_i32_e64 s[4:5], s24, v6
	s_and_saveexec_b64 s[10:11], s[4:5]
	s_xor_b64 s[4:5], exec, s[10:11]
	s_cbranch_execz .LBB119_21
; %bb.20:
	v_mov_b32_e32 v6, 0
	v_mov_b32_e32 v7, v6
	ds_write_b64 v9, v[6:7] offset:4224
.LBB119_21:
	s_andn2_saveexec_b64 s[10:11], s[4:5]
	s_cbranch_execz .LBB119_23
; %bb.22:
	s_lshl_b32 s4, s20, 4
	s_ashr_i32 s5, s4, 31
	s_lshl_b64 s[4:5], s[4:5], 3
	v_mov_b32_e32 v7, s5
	v_add_co_u32_e64 v6, s[4:5], s4, v4
	v_addc_co_u32_e64 v7, s[4:5], v5, v7, s[4:5]
	global_load_dwordx2 v[6:7], v[6:7], off
	s_waitcnt vmcnt(0)
	ds_write_b64 v9, v[6:7] offset:4224
.LBB119_23:
	s_or_b64 exec, exec, s[10:11]
	v_add_u32_e32 v6, 24, v8
	v_cmp_le_i32_e64 s[4:5], s24, v6
	s_and_saveexec_b64 s[10:11], s[4:5]
	s_xor_b64 s[4:5], exec, s[10:11]
	s_cbranch_execz .LBB119_25
; %bb.24:
	v_mov_b32_e32 v6, 0
	v_mov_b32_e32 v7, v6
	ds_write_b64 v9, v[6:7] offset:6336
                                        ; implicit-def: $vgpr9
.LBB119_25:
	s_andn2_saveexec_b64 s[10:11], s[4:5]
	s_cbranch_execz .LBB119_27
; %bb.26:
	s_mul_i32 s4, s20, 24
	s_ashr_i32 s5, s4, 31
	s_lshl_b64 s[4:5], s[4:5], 3
	v_mov_b32_e32 v7, s5
	v_add_co_u32_e64 v6, s[4:5], s4, v4
	v_addc_co_u32_e64 v7, s[4:5], v5, v7, s[4:5]
	global_load_dwordx2 v[6:7], v[6:7], off
	s_waitcnt vmcnt(0)
	ds_write_b64 v9, v[6:7] offset:6336
.LBB119_27:
	s_or_b64 exec, exec, s[10:11]
	v_add_co_u32_e64 v1, s[4:5], v4, v1
	v_addc_co_u32_e64 v4, s[4:5], 0, v5, s[4:5]
	v_mov_b32_e32 v5, s9
	v_subrev_co_u32_e64 v1, s[4:5], s8, v1
	v_subb_co_u32_e64 v4, s[4:5], v4, v5, s[4:5]
	v_add_co_u32_e64 v1, s[4:5], 8, v1
	v_addc_co_u32_e64 v4, s[4:5], 0, v4, s[4:5]
	v_cndmask_b32_e32 v3, v4, v3, vcc
	v_cndmask_b32_e32 v2, v1, v2, vcc
.LBB119_28:
	v_lshlrev_b32_e32 v1, 2, v8
	v_mul_u32_u24_e32 v28, 33, v0
	v_cmp_lt_u32_e64 s[18:19], v1, v0
	v_add_lshl_u32 v12, v1, v28, 3
	s_waitcnt lgkmcnt(0)
	s_barrier
	s_and_saveexec_b64 s[4:5], s[18:19]
	s_cbranch_execz .LBB119_30
; %bb.29:
	v_mul_u32_u24_e32 v4, 0x84, v8
	v_add_lshl_u32 v4, v4, v0, 3
	ds_read_b64 v[4:5], v4
	s_waitcnt lgkmcnt(0)
	ds_write_b64 v12, v[4:5]
.LBB119_30:
	s_or_b64 exec, exec, s[4:5]
	v_or_b32_e32 v4, 1, v1
	v_cmp_lt_u32_e64 s[8:9], v4, v0
	s_and_saveexec_b64 s[4:5], s[8:9]
	s_cbranch_execz .LBB119_32
; %bb.31:
	v_mul_u32_u24_e32 v4, 33, v4
	v_add_lshl_u32 v4, v4, v0, 3
	ds_read_b64 v[4:5], v4
	s_waitcnt lgkmcnt(0)
	ds_write_b64 v12, v[4:5] offset:8
.LBB119_32:
	s_or_b64 exec, exec, s[4:5]
	v_or_b32_e32 v4, 2, v1
	v_cmp_lt_u32_e64 s[10:11], v4, v0
	s_and_saveexec_b64 s[4:5], s[10:11]
	s_cbranch_execz .LBB119_34
; %bb.33:
	v_mul_u32_u24_e32 v4, 33, v4
	v_add_lshl_u32 v4, v4, v0, 3
	ds_read_b64 v[4:5], v4
	s_waitcnt lgkmcnt(0)
	ds_write_b64 v12, v[4:5] offset:16
.LBB119_34:
	s_or_b64 exec, exec, s[4:5]
	v_or_b32_e32 v4, 3, v1
	v_cmp_lt_u32_e64 s[12:13], v4, v0
	v_mad_u32_u24 v4, v4, 33, v0
	v_lshlrev_b32_e32 v9, 3, v4
	s_and_saveexec_b64 s[4:5], s[12:13]
	s_cbranch_execz .LBB119_36
; %bb.35:
	ds_read_b64 v[4:5], v9
	s_waitcnt lgkmcnt(0)
	ds_write_b64 v12, v[4:5] offset:24
.LBB119_36:
	s_or_b64 exec, exec, s[4:5]
	v_mul_u32_u24_e32 v4, 0x84, v8
	v_add_lshl_u32 v11, v4, v0, 3
	s_waitcnt lgkmcnt(0)
	s_barrier
	v_lshlrev_b32_e32 v13, 3, v1
	v_add_u32_e32 v10, 0xfffffdf0, v9
	ds_read_b64 v[14:15], v11
	ds_read_b128 v[4:7], v13 offset:9088
	ds_read2_b64 v[30:33], v10 offset1:33
	ds_read_b64 v[18:19], v9
	ds_read_b128 v[34:37], v13 offset:9104
	s_mov_b32 s14, 0
	s_mov_b32 s15, s14
	s_waitcnt lgkmcnt(3)
	v_pk_mul_f32 v[24:25], v[4:5], v[14:15] op_sel:[0,1]
	v_pk_fma_f32 v[38:39], v[4:5], v[14:15], v[24:25] op_sel:[0,0,1] op_sel_hi:[1,1,0] neg_lo:[0,0,1] neg_hi:[0,0,1]
	v_pk_fma_f32 v[4:5], v[4:5], v[14:15], v[24:25] op_sel:[0,0,1] op_sel_hi:[1,0,0]
	s_waitcnt lgkmcnt(2)
	v_pk_mul_f32 v[14:15], v[6:7], v[30:31] op_sel:[0,1]
	v_pk_fma_f32 v[24:25], v[6:7], v[30:31], v[14:15] op_sel:[0,0,1] op_sel_hi:[1,1,0] neg_lo:[0,0,1] neg_hi:[0,0,1]
	v_pk_fma_f32 v[6:7], v[6:7], v[30:31], v[14:15] op_sel:[0,0,1] op_sel_hi:[1,0,0]
	v_mov_b32_e32 v39, v5
	v_mov_b32_e32 v25, v7
	s_waitcnt lgkmcnt(0)
	v_pk_mul_f32 v[6:7], v[34:35], v[32:33] op_sel:[0,1]
	v_pk_add_f32 v[4:5], v[38:39], 0 op_sel_hi:[1,0]
	v_pk_fma_f32 v[14:15], v[34:35], v[32:33], v[6:7] op_sel:[0,0,1] op_sel_hi:[1,1,0] neg_lo:[0,0,1] neg_hi:[0,0,1]
	v_pk_fma_f32 v[6:7], v[34:35], v[32:33], v[6:7] op_sel:[0,0,1] op_sel_hi:[1,0,0]
	v_pk_add_f32 v[4:5], v[4:5], v[24:25]
	v_mov_b32_e32 v15, v7
	v_pk_mul_f32 v[6:7], v[36:37], v[18:19] op_sel:[0,1]
	v_pk_add_f32 v[4:5], v[4:5], v[14:15]
	v_pk_fma_f32 v[14:15], v[36:37], v[18:19], v[6:7] op_sel:[0,0,1] op_sel_hi:[1,1,0] neg_lo:[0,0,1] neg_hi:[0,0,1]
	v_pk_fma_f32 v[6:7], v[36:37], v[18:19], v[6:7] op_sel:[0,0,1] op_sel_hi:[1,0,0]
	v_mov_b32_e32 v15, v7
	v_add_lshl_u32 v29, v8, v28, 3
	v_pk_add_f32 v[4:5], v[4:5], v[14:15]
	v_cmp_gt_u32_e64 s[4:5], 32, v27
	v_pk_mov_b32 v[18:19], s[14:15], s[14:15] op_sel:[0,1]
	s_barrier
	ds_write_b64 v29, v[4:5]
	s_waitcnt lgkmcnt(0)
	s_barrier
	s_and_saveexec_b64 s[14:15], s[4:5]
	s_cbranch_execz .LBB119_38
; %bb.37:
	v_lshlrev_b32_e32 v1, 3, v28
	ds_read2_b64 v[4:7], v1 offset1:7
	ds_read2_b64 v[30:33], v1 offset0:1 offset1:2
	ds_read2_b64 v[34:37], v1 offset0:3 offset1:4
	s_waitcnt lgkmcnt(1)
	v_add_f32_e32 v4, v30, v4
	v_add_f32_e32 v5, v31, v5
	;; [unrolled: 1-line block ×4, first 2 shown]
	ds_read2_b64 v[30:33], v1 offset0:5 offset1:6
	s_waitcnt lgkmcnt(1)
	v_add_f32_e32 v1, v4, v34
	v_add_f32_e32 v4, v5, v35
	;; [unrolled: 1-line block ×4, first 2 shown]
	s_waitcnt lgkmcnt(0)
	v_add_f32_e32 v1, v1, v30
	v_add_f32_e32 v5, v4, v31
	;; [unrolled: 1-line block ×4, first 2 shown]
	v_pk_add_f32 v[18:19], v[4:5], v[6:7]
.LBB119_38:
	s_or_b64 exec, exec, s[14:15]
	s_lshl_b32 s14, s20, 5
	s_ashr_i32 s15, s14, 31
	s_lshl_b64 s[36:37], s[14:15], 3
	v_mov_b32_e32 v1, s37
	v_add_co_u32_e32 v4, vcc, s36, v2
	v_addc_co_u32_e32 v5, vcc, v3, v1, vcc
	v_add_co_u32_e32 v2, vcc, 0x100, v4
	v_cndmask_b32_e64 v1, 0, 1, s[34:35]
	s_mov_b64 s[16:17], vcc
	v_cmp_ne_u32_e64 s[14:15], 1, v1
	s_andn2_b64 vcc, exec, s[34:35]
	v_addc_co_u32_e64 v1, s[16:17], 0, v5, s[16:17]
	s_barrier
	s_cbranch_vccnz .LBB119_40
; %bb.39:
	s_lshl_b32 s16, s20, 3
	s_ashr_i32 s17, s16, 31
	s_lshl_b64 s[16:17], s[16:17], 3
	v_mov_b32_e32 v3, s17
	v_add_co_u32_e32 v6, vcc, s16, v4
	s_ashr_i32 s21, s20, 31
	v_addc_co_u32_e32 v7, vcc, v5, v3, vcc
	s_lshl_b64 s[16:17], s[20:21], 6
	v_mov_b32_e32 v3, s17
	v_add_co_u32_e32 v14, vcc, s16, v6
	v_addc_co_u32_e32 v15, vcc, v7, v3, vcc
	v_add_co_u32_e32 v24, vcc, s16, v14
	v_addc_co_u32_e32 v25, vcc, v15, v3, vcc
	global_load_dwordx2 v[30:31], v[4:5], off offset:256
	global_load_dwordx2 v[32:33], v[6:7], off offset:256
	;; [unrolled: 1-line block ×4, first 2 shown]
	v_mul_u32_u24_e32 v3, 33, v8
	v_add_lshl_u32 v3, v3, v0, 3
	s_waitcnt vmcnt(3)
	ds_write_b64 v3, v[30:31]
	s_waitcnt vmcnt(2)
	ds_write_b64 v3, v[32:33] offset:2112
	s_waitcnt vmcnt(1)
	ds_write_b64 v3, v[34:35] offset:4224
	;; [unrolled: 2-line block ×3, first 2 shown]
	s_cbranch_execz .LBB119_41
	s_branch .LBB119_56
.LBB119_40:
.LBB119_41:
	v_lshlrev_b32_e32 v3, 3, v0
	v_sub_co_u32_e32 v5, vcc, v2, v3
	s_ashr_i32 s25, s24, 31
	v_subbrev_co_u32_e32 v6, vcc, 0, v1, vcc
	s_lshl_b64 s[34:35], s[24:25], 3
	v_mov_b32_e32 v7, s35
	v_add_co_u32_e32 v5, vcc, s34, v5
	v_addc_co_u32_e32 v6, vcc, v6, v7, vcc
	v_or_b32_e32 v4, 32, v0
	v_add_co_u32_e32 v7, vcc, 0xfffffef8, v5
	v_addc_co_u32_e32 v5, vcc, -1, v6, vcc
	v_cmp_gt_i32_e64 s[16:17], s24, v4
	s_sub_i32 s21, s24, 32
	v_mov_b32_e32 v6, 0
	v_cndmask_b32_e64 v5, v5, v1, s[16:17]
	v_cndmask_b32_e64 v4, v7, v2, s[16:17]
	v_cmp_gt_i32_e32 vcc, s21, v8
	v_mov_b32_e32 v7, v6
	s_and_saveexec_b64 s[38:39], vcc
	s_cbranch_execz .LBB119_43
; %bb.42:
	global_load_dwordx2 v[6:7], v[4:5], off
.LBB119_43:
	s_or_b64 exec, exec, s[38:39]
	v_mul_u32_u24_e32 v14, 33, v8
	v_add_lshl_u32 v14, v14, v0, 3
	s_waitcnt vmcnt(0)
	ds_write_b64 v14, v[6:7]
	v_add_u32_e32 v6, 8, v8
	v_cmp_le_i32_e32 vcc, s21, v6
	s_and_saveexec_b64 s[38:39], vcc
	s_xor_b64 s[38:39], exec, s[38:39]
	s_cbranch_execz .LBB119_45
; %bb.44:
	v_mul_u32_u24_e32 v6, 33, v6
	v_add_lshl_u32 v15, v6, v0, 3
	v_mov_b32_e32 v6, 0
	v_mov_b32_e32 v7, v6
	ds_write_b64 v15, v[6:7]
.LBB119_45:
	s_andn2_saveexec_b64 s[38:39], s[38:39]
	s_cbranch_execz .LBB119_47
; %bb.46:
	s_lshl_b32 s44, s20, 3
	s_ashr_i32 s45, s44, 31
	s_lshl_b64 s[44:45], s[44:45], 3
	v_mov_b32_e32 v7, s45
	v_add_co_u32_e32 v6, vcc, s44, v4
	v_addc_co_u32_e32 v7, vcc, v5, v7, vcc
	global_load_dwordx2 v[6:7], v[6:7], off
	s_waitcnt vmcnt(0)
	ds_write_b64 v14, v[6:7] offset:2112
.LBB119_47:
	s_or_b64 exec, exec, s[38:39]
	v_add_u32_e32 v6, 16, v8
	v_cmp_le_i32_e32 vcc, s21, v6
	s_and_saveexec_b64 s[38:39], vcc
	s_xor_b64 s[38:39], exec, s[38:39]
	s_cbranch_execz .LBB119_49
; %bb.48:
	v_mul_u32_u24_e32 v6, 33, v6
	v_add_lshl_u32 v15, v6, v0, 3
	v_mov_b32_e32 v6, 0
	v_mov_b32_e32 v7, v6
	ds_write_b64 v15, v[6:7]
.LBB119_49:
	s_andn2_saveexec_b64 s[38:39], s[38:39]
	s_cbranch_execz .LBB119_51
; %bb.50:
	s_lshl_b32 s44, s20, 4
	s_ashr_i32 s45, s44, 31
	s_lshl_b64 s[44:45], s[44:45], 3
	v_mov_b32_e32 v7, s45
	v_add_co_u32_e32 v6, vcc, s44, v4
	v_addc_co_u32_e32 v7, vcc, v5, v7, vcc
	global_load_dwordx2 v[6:7], v[6:7], off
	s_waitcnt vmcnt(0)
	ds_write_b64 v14, v[6:7] offset:4224
.LBB119_51:
	s_or_b64 exec, exec, s[38:39]
	v_add_u32_e32 v6, 24, v8
	v_cmp_le_i32_e32 vcc, s21, v6
	s_and_saveexec_b64 s[38:39], vcc
	s_xor_b64 s[38:39], exec, s[38:39]
	s_cbranch_execz .LBB119_53
; %bb.52:
	v_mov_b32_e32 v6, 0
	v_mov_b32_e32 v7, v6
	ds_write_b64 v14, v[6:7] offset:6336
                                        ; implicit-def: $vgpr14
.LBB119_53:
	s_andn2_saveexec_b64 s[38:39], s[38:39]
	s_cbranch_execz .LBB119_55
; %bb.54:
	s_mul_i32 s44, s20, 24
	s_ashr_i32 s45, s44, 31
	s_lshl_b64 s[44:45], s[44:45], 3
	v_mov_b32_e32 v7, s45
	v_add_co_u32_e32 v6, vcc, s44, v4
	v_addc_co_u32_e32 v7, vcc, v5, v7, vcc
	global_load_dwordx2 v[6:7], v[6:7], off
	s_waitcnt vmcnt(0)
	ds_write_b64 v14, v[6:7] offset:6336
.LBB119_55:
	s_or_b64 exec, exec, s[38:39]
	v_add_co_u32_e32 v3, vcc, v4, v3
	v_addc_co_u32_e32 v4, vcc, 0, v5, vcc
	v_mov_b32_e32 v5, s35
	v_subrev_co_u32_e32 v3, vcc, s34, v3
	v_subb_co_u32_e32 v4, vcc, v4, v5, vcc
	v_add_co_u32_e32 v3, vcc, 0x108, v3
	v_addc_co_u32_e32 v4, vcc, 0, v4, vcc
	v_cndmask_b32_e64 v1, v4, v1, s[16:17]
	v_cndmask_b32_e64 v2, v3, v2, s[16:17]
.LBB119_56:
	v_add_u32_e32 v6, 0x2380, v13
	s_waitcnt lgkmcnt(0)
	s_barrier
	s_and_saveexec_b64 s[16:17], s[18:19]
	s_cbranch_execnz .LBB119_65
; %bb.57:
	s_or_b64 exec, exec, s[16:17]
	s_and_saveexec_b64 s[16:17], s[8:9]
	s_cbranch_execnz .LBB119_66
.LBB119_58:
	s_or_b64 exec, exec, s[16:17]
	s_and_saveexec_b64 s[8:9], s[10:11]
	s_cbranch_execnz .LBB119_67
.LBB119_59:
	s_or_b64 exec, exec, s[8:9]
	s_and_saveexec_b64 s[8:9], s[12:13]
	s_cbranch_execz .LBB119_61
.LBB119_60:
	ds_read_b64 v[4:5], v9
	s_waitcnt lgkmcnt(0)
	ds_write_b64 v12, v[4:5] offset:24
.LBB119_61:
	s_or_b64 exec, exec, s[8:9]
	s_waitcnt lgkmcnt(0)
	s_barrier
	ds_read_b64 v[4:5], v11
	ds_read_b128 v[30:33], v6 offset:256
	ds_read2_b64 v[34:37], v10 offset1:33
	ds_read_b64 v[10:11], v9
	ds_read_b128 v[38:41], v6 offset:272
	v_cmp_eq_u32_e64 s[10:11], 1, v8
	s_waitcnt lgkmcnt(3)
	v_pk_mul_f32 v[14:15], v[30:31], v[4:5] op_sel:[0,1]
	v_pk_fma_f32 v[24:25], v[30:31], v[4:5], v[14:15] op_sel:[0,0,1] op_sel_hi:[1,1,0] neg_lo:[0,0,1] neg_hi:[0,0,1]
	v_pk_fma_f32 v[4:5], v[30:31], v[4:5], v[14:15] op_sel:[0,0,1] op_sel_hi:[1,0,0]
	v_mov_b32_e32 v25, v5
	s_waitcnt lgkmcnt(2)
	v_pk_mul_f32 v[14:15], v[32:33], v[34:35] op_sel:[0,1]
	v_pk_add_f32 v[4:5], v[24:25], 0 op_sel_hi:[1,0]
	v_pk_fma_f32 v[24:25], v[32:33], v[34:35], v[14:15] op_sel:[0,0,1] op_sel_hi:[1,1,0] neg_lo:[0,0,1] neg_hi:[0,0,1]
	v_pk_fma_f32 v[14:15], v[32:33], v[34:35], v[14:15] op_sel:[0,0,1] op_sel_hi:[1,0,0]
	v_mov_b32_e32 v25, v15
	s_waitcnt lgkmcnt(0)
	v_pk_mul_f32 v[14:15], v[38:39], v[36:37] op_sel:[0,1]
	v_pk_add_f32 v[4:5], v[4:5], v[24:25]
	v_pk_fma_f32 v[24:25], v[38:39], v[36:37], v[14:15] op_sel:[0,0,1] op_sel_hi:[1,1,0] neg_lo:[0,0,1] neg_hi:[0,0,1]
	v_pk_fma_f32 v[14:15], v[38:39], v[36:37], v[14:15] op_sel:[0,0,1] op_sel_hi:[1,0,0]
	v_mov_b32_e32 v25, v15
	v_pk_mul_f32 v[14:15], v[40:41], v[10:11] op_sel:[0,1]
	v_pk_add_f32 v[4:5], v[4:5], v[24:25]
	v_pk_fma_f32 v[24:25], v[40:41], v[10:11], v[14:15] op_sel:[0,0,1] op_sel_hi:[1,1,0] neg_lo:[0,0,1] neg_hi:[0,0,1]
	v_pk_fma_f32 v[10:11], v[40:41], v[10:11], v[14:15] op_sel:[0,0,1] op_sel_hi:[1,0,0]
	v_mov_b32_e32 v25, v11
	v_pk_add_f32 v[4:5], v[4:5], v[24:25]
	s_barrier
	ds_write_b64 v29, v[4:5]
	s_waitcnt lgkmcnt(0)
	s_barrier
	s_and_saveexec_b64 s[8:9], s[10:11]
	s_cbranch_execz .LBB119_63
; %bb.62:
	v_lshlrev_b32_e32 v3, 3, v28
	ds_read2_b64 v[30:33], v3 offset1:7
	ds_read2_b64 v[34:37], v3 offset0:1 offset1:2
	ds_read2_b64 v[38:41], v3 offset0:3 offset1:4
	s_waitcnt lgkmcnt(1)
	v_add_f32_e32 v4, v34, v30
	v_add_f32_e32 v5, v35, v31
	;; [unrolled: 1-line block ×4, first 2 shown]
	ds_read2_b64 v[34:37], v3 offset0:5 offset1:6
	s_waitcnt lgkmcnt(1)
	v_add_f32_e32 v3, v4, v38
	v_add_f32_e32 v4, v5, v39
	;; [unrolled: 1-line block ×4, first 2 shown]
	s_waitcnt lgkmcnt(0)
	v_add_f32_e32 v4, v3, v34
	v_add_f32_e32 v5, v5, v35
	v_pk_add_f32 v[4:5], v[4:5], v[36:37]
	v_pk_add_f32 v[18:19], v[4:5], v[32:33]
.LBB119_63:
	s_or_b64 exec, exec, s[8:9]
	v_mov_b32_e32 v3, s37
	v_subrev_co_u32_e64 v24, s[8:9], s36, v2
	s_and_b64 vcc, exec, s[14:15]
	v_subb_co_u32_e64 v25, s[8:9], v1, v3, s[8:9]
	s_barrier
	s_cbranch_vccnz .LBB119_68
; %bb.64:
	s_lshl_b32 s8, s20, 3
	s_ashr_i32 s9, s8, 31
	s_lshl_b64 s[8:9], s[8:9], 3
	v_mov_b32_e32 v1, s9
	v_add_co_u32_e32 v2, vcc, s8, v24
	s_ashr_i32 s21, s20, 31
	v_addc_co_u32_e32 v3, vcc, v25, v1, vcc
	s_lshl_b64 s[8:9], s[20:21], 6
	v_mov_b32_e32 v1, s9
	v_add_co_u32_e32 v4, vcc, s8, v2
	v_addc_co_u32_e32 v5, vcc, v3, v1, vcc
	v_add_co_u32_e32 v10, vcc, s8, v4
	v_addc_co_u32_e32 v11, vcc, v5, v1, vcc
	global_load_dwordx2 v[14:15], v[24:25], off
	global_load_dwordx2 v[30:31], v[2:3], off
	;; [unrolled: 1-line block ×4, first 2 shown]
	v_mad_u32_u24 v1, v8, 33, v0
	v_add_u32_e32 v4, 8, v8
	v_add_u32_e32 v5, 16, v8
	;; [unrolled: 1-line block ×3, first 2 shown]
	v_lshlrev_b32_e32 v7, 3, v1
	v_add_u32_e32 v2, 0x108, v1
	v_add_u32_e32 v3, 0x210, v1
	;; [unrolled: 1-line block ×3, first 2 shown]
	s_waitcnt vmcnt(3)
	ds_write_b64 v7, v[14:15]
	s_waitcnt vmcnt(2)
	ds_write_b64 v7, v[30:31] offset:2112
	s_waitcnt vmcnt(1)
	ds_write_b64 v7, v[32:33] offset:4224
	;; [unrolled: 2-line block ×3, first 2 shown]
	s_cbranch_execz .LBB119_69
	s_branch .LBB119_84
.LBB119_65:
	ds_read_b64 v[4:5], v11
	s_waitcnt lgkmcnt(0)
	ds_write_b64 v12, v[4:5]
	s_or_b64 exec, exec, s[16:17]
	s_and_saveexec_b64 s[16:17], s[8:9]
	s_cbranch_execz .LBB119_58
.LBB119_66:
	ds_read_b64 v[4:5], v10
	s_waitcnt lgkmcnt(0)
	ds_write_b64 v12, v[4:5] offset:8
	s_or_b64 exec, exec, s[16:17]
	s_and_saveexec_b64 s[8:9], s[10:11]
	s_cbranch_execz .LBB119_59
.LBB119_67:
	ds_read_b64 v[4:5], v10 offset:264
	s_waitcnt lgkmcnt(0)
	ds_write_b64 v12, v[4:5] offset:16
	s_or_b64 exec, exec, s[8:9]
	s_and_saveexec_b64 s[8:9], s[12:13]
	s_cbranch_execnz .LBB119_60
	s_branch .LBB119_61
.LBB119_68:
                                        ; implicit-def: $vgpr1
                                        ; implicit-def: $vgpr4
                                        ; implicit-def: $vgpr2
                                        ; implicit-def: $vgpr5
                                        ; implicit-def: $vgpr3
                                        ; implicit-def: $vgpr9
                                        ; implicit-def: $vgpr10
.LBB119_69:
	v_lshlrev_b32_e32 v7, 3, v0
	v_sub_co_u32_e32 v2, vcc, v24, v7
	s_ashr_i32 s25, s24, 31
	v_subbrev_co_u32_e32 v3, vcc, 0, v25, vcc
	s_lshl_b64 s[12:13], s[24:25], 3
	v_mov_b32_e32 v4, s13
	v_add_co_u32_e32 v2, vcc, s12, v2
	v_addc_co_u32_e32 v3, vcc, v3, v4, vcc
	v_or_b32_e32 v1, 32, v0
	v_add_co_u32_e32 v2, vcc, 0xfffffef8, v2
	v_addc_co_u32_e32 v3, vcc, -1, v3, vcc
	v_cmp_gt_i32_e64 s[8:9], s24, v1
	v_mov_b32_e32 v4, 0
	v_cndmask_b32_e64 v3, v3, v25, s[8:9]
	v_cndmask_b32_e64 v2, v2, v24, s[8:9]
	v_cmp_gt_i32_e32 vcc, s24, v8
	v_mov_b32_e32 v5, v4
	s_and_saveexec_b64 s[14:15], vcc
	s_cbranch_execz .LBB119_71
; %bb.70:
	global_load_dwordx2 v[4:5], v[2:3], off
.LBB119_71:
	s_or_b64 exec, exec, s[14:15]
	v_mad_u32_u24 v1, v8, 33, v0
	v_lshlrev_b32_e32 v11, 3, v1
	s_waitcnt vmcnt(0)
	ds_write_b64 v11, v[4:5]
	v_add_u32_e32 v4, 8, v8
	v_cmp_le_i32_e32 vcc, s24, v4
	s_and_saveexec_b64 s[14:15], vcc
	s_xor_b64 s[14:15], exec, s[14:15]
	s_cbranch_execz .LBB119_73
; %bb.72:
	v_mul_u32_u24_e32 v5, 33, v4
	v_mov_b32_e32 v14, 0
	v_add_lshl_u32 v5, v5, v0, 3
	v_mov_b32_e32 v15, v14
	ds_write_b64 v5, v[14:15]
.LBB119_73:
	s_andn2_saveexec_b64 s[14:15], s[14:15]
	s_cbranch_execz .LBB119_75
; %bb.74:
	s_lshl_b32 s16, s20, 3
	s_ashr_i32 s17, s16, 31
	s_lshl_b64 s[16:17], s[16:17], 3
	v_mov_b32_e32 v5, s17
	v_add_co_u32_e32 v14, vcc, s16, v2
	v_addc_co_u32_e32 v15, vcc, v3, v5, vcc
	global_load_dwordx2 v[14:15], v[14:15], off
	s_waitcnt vmcnt(0)
	ds_write_b64 v11, v[14:15] offset:2112
.LBB119_75:
	s_or_b64 exec, exec, s[14:15]
	v_add_u32_e32 v5, 16, v8
	v_cmp_le_i32_e32 vcc, s24, v5
	s_and_saveexec_b64 s[14:15], vcc
	s_xor_b64 s[14:15], exec, s[14:15]
	s_cbranch_execz .LBB119_77
; %bb.76:
	v_mul_u32_u24_e32 v9, 33, v5
	v_mov_b32_e32 v14, 0
	v_add_lshl_u32 v9, v9, v0, 3
	v_mov_b32_e32 v15, v14
	ds_write_b64 v9, v[14:15]
.LBB119_77:
	s_andn2_saveexec_b64 s[14:15], s[14:15]
	s_cbranch_execz .LBB119_79
; %bb.78:
	s_lshl_b32 s16, s20, 4
	s_ashr_i32 s17, s16, 31
	s_lshl_b64 s[16:17], s[16:17], 3
	v_mov_b32_e32 v9, s17
	v_add_co_u32_e32 v14, vcc, s16, v2
	v_addc_co_u32_e32 v15, vcc, v3, v9, vcc
	global_load_dwordx2 v[14:15], v[14:15], off
	s_waitcnt vmcnt(0)
	ds_write_b64 v11, v[14:15] offset:4224
.LBB119_79:
	s_or_b64 exec, exec, s[14:15]
	v_add_u32_e32 v9, 24, v8
	v_cmp_le_i32_e32 vcc, s24, v9
                                        ; implicit-def: $vgpr10
	s_and_saveexec_b64 s[14:15], vcc
	s_xor_b64 s[14:15], exec, s[14:15]
	s_cbranch_execz .LBB119_81
; %bb.80:
	v_mad_u32_u24 v10, v9, 33, v0
	v_mov_b32_e32 v14, 0
	v_lshlrev_b32_e32 v0, 3, v10
	v_mov_b32_e32 v15, v14
	ds_write_b64 v0, v[14:15]
                                        ; implicit-def: $vgpr11
.LBB119_81:
	s_andn2_saveexec_b64 s[14:15], s[14:15]
	s_cbranch_execz .LBB119_83
; %bb.82:
	s_mul_i32 s16, s20, 24
	s_ashr_i32 s17, s16, 31
	s_lshl_b64 s[16:17], s[16:17], 3
	v_mov_b32_e32 v0, s17
	v_add_co_u32_e32 v14, vcc, s16, v2
	v_addc_co_u32_e32 v15, vcc, v3, v0, vcc
	global_load_dwordx2 v[14:15], v[14:15], off
	v_add_u32_e32 v10, 0x318, v1
	s_waitcnt vmcnt(0)
	ds_write_b64 v11, v[14:15] offset:6336
.LBB119_83:
	s_or_b64 exec, exec, s[14:15]
	v_add_co_u32_e32 v0, vcc, v2, v7
	v_addc_co_u32_e32 v2, vcc, 0, v3, vcc
	v_mov_b32_e32 v3, s13
	v_subrev_co_u32_e32 v0, vcc, s12, v0
	v_subb_co_u32_e32 v2, vcc, v2, v3, vcc
	v_add_co_u32_e32 v0, vcc, 0x108, v0
	v_addc_co_u32_e32 v2, vcc, 0, v2, vcc
	v_cndmask_b32_e64 v25, v2, v25, s[8:9]
	v_cndmask_b32_e64 v24, v0, v24, s[8:9]
	v_add_u32_e32 v2, 0x108, v1
	v_add_u32_e32 v3, 0x210, v1
.LBB119_84:
	v_lshlrev_b32_e32 v0, 3, v1
	s_waitcnt lgkmcnt(0)
	s_barrier
	ds_read_b64 v[30:31], v0
	v_lshlrev_b32_e32 v7, 3, v8
	v_lshlrev_b32_e32 v13, 3, v2
	;; [unrolled: 1-line block ×7, first 2 shown]
	ds_read_b64 v[32:33], v0
	ds_read2_b64 v[8:11], v12 offset1:1
	ds_read2_b64 v[0:3], v12 offset0:2 offset1:3
	ds_read_b64 v[34:35], v4 offset:9088
	ds_read_b64 v[36:37], v13
	ds_read_b64 v[38:39], v7 offset:9088
	ds_read_b128 v[12:15], v6 offset:256
	ds_read_b128 v[4:7], v6 offset:272
	ds_read_b64 v[40:41], v40 offset:9088
	ds_read_b64 v[42:43], v42
	ds_read_b64 v[44:45], v44 offset:9088
	s_waitcnt lgkmcnt(5)
	v_pk_mul_f32 v[46:47], v[38:39], v[30:31] op_sel:[0,1]
	v_pk_fma_f32 v[48:49], v[38:39], v[30:31], v[46:47] op_sel:[0,0,1] op_sel_hi:[1,1,0] neg_lo:[0,0,1] neg_hi:[0,0,1]
	v_pk_fma_f32 v[30:31], v[38:39], v[30:31], v[46:47] op_sel:[0,0,1] op_sel_hi:[1,0,0]
	v_pk_mul_f32 v[38:39], v[34:35], v[36:37] op_sel:[0,1]
	v_pk_fma_f32 v[46:47], v[34:35], v[36:37], v[38:39] op_sel:[0,0,1] op_sel_hi:[1,1,0] neg_lo:[0,0,1] neg_hi:[0,0,1]
	v_pk_fma_f32 v[34:35], v[34:35], v[36:37], v[38:39] op_sel:[0,0,1] op_sel_hi:[1,0,0]
	v_mov_b32_e32 v47, v35
	s_waitcnt lgkmcnt(0)
	v_pk_mul_f32 v[34:35], v[44:45], v[32:33] op_sel:[0,1]
	v_mov_b32_e32 v49, v31
	v_pk_fma_f32 v[36:37], v[44:45], v[32:33], v[34:35] op_sel:[0,0,1] op_sel_hi:[1,1,0] neg_lo:[0,0,1] neg_hi:[0,0,1]
	v_pk_fma_f32 v[32:33], v[44:45], v[32:33], v[34:35] op_sel:[0,0,1] op_sel_hi:[1,0,0]
	v_pk_add_f32 v[30:31], v[48:49], 0 op_sel_hi:[1,0]
	v_mov_b32_e32 v37, v33
	v_pk_mul_f32 v[32:33], v[40:41], v[42:43] op_sel:[0,1]
	v_pk_add_f32 v[30:31], v[30:31], v[46:47]
	v_pk_fma_f32 v[34:35], v[40:41], v[42:43], v[32:33] op_sel:[0,0,1] op_sel_hi:[1,1,0] neg_lo:[0,0,1] neg_hi:[0,0,1]
	v_pk_fma_f32 v[32:33], v[40:41], v[42:43], v[32:33] op_sel:[0,0,1] op_sel_hi:[1,0,0]
	v_pk_add_f32 v[30:31], v[30:31], v[36:37]
	v_mov_b32_e32 v35, v33
	v_pk_add_f32 v[30:31], v[30:31], v[34:35]
	s_barrier
	ds_write_b64 v29, v[30:31]
	s_waitcnt lgkmcnt(0)
	s_barrier
	s_and_saveexec_b64 s[8:9], s[10:11]
	s_cbranch_execz .LBB119_86
; %bb.85:
	v_lshlrev_b32_e32 v42, 3, v28
	ds_read2_b64 v[30:33], v42 offset1:1
	ds_read2_b64 v[34:37], v42 offset0:2 offset1:3
	ds_read2_b64 v[38:41], v42 offset0:4 offset1:5
	s_waitcnt lgkmcnt(2)
	v_pk_add_f32 v[18:19], v[18:19], v[30:31]
	v_pk_add_f32 v[18:19], v[18:19], v[32:33]
	ds_read2_b64 v[30:33], v42 offset0:6 offset1:7
	s_waitcnt lgkmcnt(2)
	v_pk_add_f32 v[18:19], v[18:19], v[34:35]
	v_pk_add_f32 v[18:19], v[18:19], v[36:37]
	s_waitcnt lgkmcnt(1)
	v_pk_add_f32 v[18:19], v[18:19], v[38:39]
	v_pk_add_f32 v[18:19], v[18:19], v[40:41]
	;; [unrolled: 3-line block ×3, first 2 shown]
.LBB119_86:
	s_or_b64 exec, exec, s[8:9]
	v_pk_mul_f32 v[30:31], v[12:13], v[8:9] op_sel:[0,1]
	v_pk_fma_f32 v[32:33], v[12:13], v[8:9], v[30:31] op_sel:[0,0,1] op_sel_hi:[1,1,0] neg_lo:[0,0,1] neg_hi:[0,0,1]
	v_pk_fma_f32 v[8:9], v[12:13], v[8:9], v[30:31] op_sel:[0,0,1] op_sel_hi:[1,0,0]
	v_mov_b32_e32 v12, v11
	v_pk_mul_f32 v[12:13], v[14:15], v[12:13] op_sel_hi:[1,0]
	v_pk_fma_f32 v[30:31], v[14:15], v[10:11], v[12:13] op_sel:[0,0,1] op_sel_hi:[1,1,0] neg_lo:[0,0,1] neg_hi:[0,0,1]
	v_pk_fma_f32 v[10:11], v[14:15], v[10:11], v[12:13] op_sel:[0,0,1] op_sel_hi:[1,0,0]
	v_mov_b32_e32 v33, v9
	v_mov_b32_e32 v31, v11
	v_pk_mul_f32 v[10:11], v[4:5], v[0:1] op_sel:[0,1]
	v_pk_add_f32 v[8:9], v[32:33], 0 op_sel_hi:[1,0]
	v_pk_fma_f32 v[12:13], v[4:5], v[0:1], v[10:11] op_sel:[0,0,1] op_sel_hi:[1,1,0] neg_lo:[0,0,1] neg_hi:[0,0,1]
	v_pk_fma_f32 v[0:1], v[4:5], v[0:1], v[10:11] op_sel:[0,0,1] op_sel_hi:[1,0,0]
	v_mov_b32_e32 v4, v3
	v_pk_add_f32 v[8:9], v[8:9], v[30:31]
	v_mov_b32_e32 v13, v1
	v_pk_mul_f32 v[4:5], v[6:7], v[4:5] op_sel_hi:[1,0]
	v_pk_add_f32 v[0:1], v[8:9], v[12:13]
	v_pk_fma_f32 v[8:9], v[6:7], v[2:3], v[4:5] op_sel:[0,0,1] op_sel_hi:[1,1,0] neg_lo:[0,0,1] neg_hi:[0,0,1]
	v_pk_fma_f32 v[2:3], v[6:7], v[2:3], v[4:5] op_sel:[0,0,1] op_sel_hi:[1,0,0]
	v_mov_b32_e32 v9, v3
	v_pk_add_f32 v[0:1], v[0:1], v[8:9]
	s_barrier
	ds_write_b64 v29, v[0:1]
	s_waitcnt lgkmcnt(0)
	s_barrier
	s_and_saveexec_b64 s[8:9], s[4:5]
	s_cbranch_execz .LBB119_88
; %bb.87:
	v_lshlrev_b32_e32 v14, 3, v28
	ds_read2_b64 v[0:3], v14 offset1:1
	ds_read2_b64 v[4:7], v14 offset0:2 offset1:3
	ds_read2_b64 v[8:11], v14 offset0:4 offset1:5
	s_waitcnt lgkmcnt(2)
	v_pk_add_f32 v[0:1], v[18:19], v[0:1]
	v_pk_add_f32 v[12:13], v[0:1], v[2:3]
	ds_read2_b64 v[0:3], v14 offset0:6 offset1:7
	s_waitcnt lgkmcnt(2)
	v_pk_add_f32 v[4:5], v[12:13], v[4:5]
	v_pk_add_f32 v[4:5], v[4:5], v[6:7]
	s_waitcnt lgkmcnt(1)
	v_pk_add_f32 v[4:5], v[4:5], v[8:9]
	v_pk_add_f32 v[4:5], v[4:5], v[10:11]
	;; [unrolled: 3-line block ×3, first 2 shown]
.LBB119_88:
	s_or_b64 exec, exec, s[8:9]
	s_mul_hi_u32 s4, s40, s7
	s_mul_i32 s42, s42, s7
	s_add_i32 s4, s4, s42
	s_mul_i32 s7, s40, s7
	s_mul_i32 s4, s4, s41
	s_mul_hi_u32 s5, s7, s41
	s_add_i32 s5, s5, s4
	s_mul_i32 s4, s7, s41
	s_lshl_b64 s[4:5], s[4:5], 3
	s_add_u32 s7, s22, s4
	s_mul_i32 s4, s6, s40
	s_addc_u32 s8, s23, s5
	s_ashr_i32 s5, s4, 31
	s_lshl_b64 s[4:5], s[4:5], 3
	s_add_u32 s7, s7, s4
	v_cmp_le_i32_e32 vcc, s24, v26
	s_addc_u32 s27, s8, s5
	s_and_b64 vcc, s[30:31], vcc
	s_cmp_lt_i32 s6, 1
	v_lshlrev_b32_e32 v72, 3, v26
	s_barrier
	s_cbranch_scc1 .LBB119_95
; %bb.89:
	s_mul_i32 s4, s26, s33
	s_ashr_i32 s5, s4, 31
	s_lshl_b64 s[4:5], s[4:5], 3
	v_mov_b32_e32 v0, s5
	v_subrev_co_u32_e64 v73, s[4:5], s4, v20
	v_subb_co_u32_e64 v74, s[4:5], v21, v0, s[4:5]
	v_mov_b32_e32 v0, s29
	v_subrev_co_u32_e64 v1, s[4:5], s28, v24
	v_subb_co_u32_e64 v0, s[4:5], v25, v0, s[4:5]
	v_sub_co_u32_e64 v4, s[4:5], v1, v22
	v_subb_co_u32_e64 v5, s[4:5], v0, v23, s[4:5]
	v_mul_lo_u32 v0, v17, s20
	v_lshl_add_u32 v0, v0, 2, v26
	v_ashrrev_i32_e32 v1, 31, v0
	v_lshlrev_b64 v[0:1], 3, v[0:1]
	v_add_co_u32_e64 v0, s[4:5], v4, v0
	v_addc_co_u32_e64 v1, s[4:5], v5, v1, s[4:5]
	s_movk_i32 s4, 0xff00
	v_add_co_u32_e64 v4, s[4:5], s4, v0
	v_addc_co_u32_e64 v5, s[4:5], -1, v1, s[4:5]
	v_sub_co_u32_e64 v0, s[4:5], v0, v72
	v_subbrev_co_u32_e64 v1, s[4:5], 0, v1, s[4:5]
	s_ashr_i32 s25, s24, 31
	s_lshl_b64 s[4:5], s[24:25], 3
	v_mov_b32_e32 v6, s5
	v_add_co_u32_e64 v0, s[4:5], s4, v0
	v_addc_co_u32_e64 v1, s[4:5], v1, v6, s[4:5]
	s_movk_i32 s4, 0xfef8
	v_add_co_u32_e64 v0, s[4:5], s4, v0
	v_addc_co_u32_e64 v1, s[4:5], -1, v1, s[4:5]
	v_cndmask_b32_e32 v14, v4, v0, vcc
	v_and_b32_e32 v0, 48, v26
	v_and_b32_e32 v2, 15, v26
	v_cndmask_b32_e32 v15, v5, v1, vcc
	v_lshlrev_b32_e32 v1, 3, v0
	s_movk_i32 s8, 0x218
	v_lshrrev_b32_e32 v3, 4, v27
	v_mad_u32_u24 v77, v2, s8, v1
	v_or_b32_e32 v1, 0x78, v72
	v_mad_u32_u24 v78, v2, s8, v1
	v_lshlrev_b32_e32 v1, 5, v3
	v_mad_u32_u24 v79, v2, s8, v1
	v_mov_b32_e32 v1, 0x2180
	s_ashr_i32 s21, s20, 31
	v_lshl_add_u32 v80, v17, 5, v1
	s_movk_i32 s9, 0x860
	v_lshlrev_b32_e32 v1, 3, v3
	v_mad_u32_u24 v81, v17, s9, v72
	v_mad_u32_u24 v82, v2, s8, v1
	s_lshl_b64 s[10:11], s[20:21], 3
	s_lshl_b64 s[14:15], s[20:21], 4
	s_mul_hi_i32 s8, s20, 24
	s_mul_hi_i32 s9, s20, 0x90
	;; [unrolled: 1-line block ×10, first 2 shown]
	s_lshl_b64 s[16:17], s[20:21], 8
	s_mul_hi_i32 s44, s20, 0x88
	s_lshl_b64 s[18:19], s[20:21], 7
	v_mov_b32_e32 v13, 0
	s_lshl_b32 s24, s33, 6
	v_add_u32_e32 v75, 0x2180, v72
	v_add_u32_e32 v76, 0x2380, v72
	v_cmp_gt_u32_e64 s[4:5], 64, v27
	s_lshl_b64 s[12:13], s[20:21], 9
	s_mul_i32 s25, s20, 24
	s_mul_i32 s26, s20, 0x90
	s_mul_i32 s28, s20, 0x98
	s_mul_i32 s29, s20, 0x110
	s_mul_i32 s30, s20, 0x118
	s_mul_i32 s31, s20, 0x190
	s_mul_i32 s33, s20, 0x198
	s_mul_i32 s34, s20, 0x188
	s_mul_i32 s35, s20, 0x180
	s_mul_i32 s36, s20, 0x108
	s_mul_i32 s37, s20, 0x88
	v_or_b32_e32 v12, v0, v2
	s_mov_b32 s20, 0
	v_mov_b32_e32 v83, s11
	v_mov_b32_e32 v84, s15
	;; [unrolled: 1-line block ×15, first 2 shown]
	s_branch .LBB119_91
.LBB119_90:                             ;   in Loop: Header=BB119_91 Depth=1
	s_or_b64 exec, exec, s[22:23]
	v_mul_f32_e32 v98, v29, v21
	v_fma_f32 v98, v28, v20, -v98
	v_mul_f32_e32 v20, v29, v20
	v_mul_f32_e32 v29, v43, v23
	v_add_f32_e32 v18, v18, v98
	v_fma_f32 v29, v42, v22, -v29
	v_add_f32_e32 v18, v18, v29
	v_mul_f32_e32 v29, v41, v25
	v_fma_f32 v29, v40, v24, -v29
	v_mul_f32_e32 v22, v43, v22
	v_add_f32_e32 v18, v18, v29
	v_mul_f32_e32 v29, v39, v27
	v_fmac_f32_e32 v20, v28, v21
	v_mul_f32_e32 v24, v41, v24
	v_fma_f32 v29, v38, v26, -v29
	v_add_f32_e32 v19, v19, v20
	v_fmac_f32_e32 v22, v42, v23
	v_mul_f32_e32 v20, v51, v35
	v_mul_f32_e32 v26, v39, v26
	v_add_f32_e32 v18, v18, v29
	v_add_f32_e32 v19, v19, v22
	v_fmac_f32_e32 v24, v40, v25
	v_fma_f32 v20, v50, v34, -v20
	v_add_f32_e32 v19, v19, v24
	v_fmac_f32_e32 v26, v38, v27
	v_mul_f32_e32 v24, v51, v34
	v_add_f32_e32 v18, v18, v20
	v_mul_f32_e32 v20, v59, v33
	v_add_f32_e32 v19, v19, v26
	v_fma_f32 v20, v58, v32, -v20
	v_mul_f32_e32 v25, v59, v32
	v_fmac_f32_e32 v24, v50, v35
	v_add_f32_e32 v18, v18, v20
	v_mul_f32_e32 v20, v55, v31
	v_mul_f32_e32 v21, v55, v30
	v_add_f32_e32 v19, v19, v24
	v_fmac_f32_e32 v25, v58, v33
	v_fma_f32 v20, v54, v30, -v20
	v_add_f32_e32 v19, v19, v25
	v_fmac_f32_e32 v21, v54, v31
	v_mul_f32_e32 v22, v57, v37
	v_mul_f32_e32 v23, v57, v36
	v_pk_add_f32 v[18:19], v[18:19], v[20:21]
	v_mov_b32_e32 v20, v53
	v_fma_f32 v22, v56, v36, -v22
	v_fmac_f32_e32 v23, v56, v37
	v_pk_mul_f32 v[20:21], v[70:71], v[20:21] op_sel_hi:[1,0]
	v_pk_add_f32 v[18:19], v[18:19], v[22:23]
	v_pk_fma_f32 v[22:23], v[70:71], v[52:53], v[20:21] op_sel:[0,0,1] op_sel_hi:[1,1,0] neg_lo:[0,0,1] neg_hi:[0,0,1]
	v_pk_fma_f32 v[20:21], v[70:71], v[52:53], v[20:21] op_sel:[0,0,1] op_sel_hi:[1,0,0]
	v_mov_b32_e32 v20, v49
	v_mov_b32_e32 v23, v21
	v_pk_mul_f32 v[20:21], v[8:9], v[20:21] op_sel_hi:[1,0]
	v_pk_add_f32 v[18:19], v[18:19], v[22:23]
	v_pk_fma_f32 v[22:23], v[8:9], v[48:49], v[20:21] op_sel:[0,0,1] op_sel_hi:[1,1,0] neg_lo:[0,0,1] neg_hi:[0,0,1]
	v_pk_fma_f32 v[8:9], v[8:9], v[48:49], v[20:21] op_sel:[0,0,1] op_sel_hi:[1,0,0]
	v_mov_b32_e32 v23, v9
	v_pk_add_f32 v[8:9], v[18:19], v[22:23]
	v_mov_b32_e32 v18, v47
	v_pk_mul_f32 v[18:19], v[10:11], v[18:19] op_sel_hi:[1,0]
	v_pk_fma_f32 v[20:21], v[10:11], v[46:47], v[18:19] op_sel:[0,0,1] op_sel_hi:[1,1,0] neg_lo:[0,0,1] neg_hi:[0,0,1]
	v_pk_fma_f32 v[10:11], v[10:11], v[46:47], v[18:19] op_sel:[0,0,1] op_sel_hi:[1,0,0]
	v_mov_b32_e32 v10, v45
	v_mov_b32_e32 v21, v11
	v_pk_mul_f32 v[10:11], v[68:69], v[10:11] op_sel_hi:[1,0]
	v_pk_fma_f32 v[18:19], v[68:69], v[44:45], v[10:11] op_sel:[0,0,1] op_sel_hi:[1,1,0] neg_lo:[0,0,1] neg_hi:[0,0,1]
	v_pk_fma_f32 v[10:11], v[68:69], v[44:45], v[10:11] op_sel:[0,0,1] op_sel_hi:[1,0,0]
	v_mov_b32_e32 v10, v67
	v_pk_add_f32 v[8:9], v[8:9], v[20:21]
	v_mov_b32_e32 v19, v11
	v_pk_mul_f32 v[10:11], v[0:1], v[10:11] op_sel_hi:[1,0]
	v_pk_add_f32 v[8:9], v[8:9], v[18:19]
	v_pk_fma_f32 v[18:19], v[0:1], v[66:67], v[10:11] op_sel:[0,0,1] op_sel_hi:[1,1,0] neg_lo:[0,0,1] neg_hi:[0,0,1]
	v_pk_fma_f32 v[0:1], v[0:1], v[66:67], v[10:11] op_sel:[0,0,1] op_sel_hi:[1,0,0]
	v_mov_b32_e32 v0, v65
	v_mov_b32_e32 v19, v1
	v_pk_mul_f32 v[0:1], v[6:7], v[0:1] op_sel_hi:[1,0]
	v_pk_fma_f32 v[10:11], v[6:7], v[64:65], v[0:1] op_sel:[0,0,1] op_sel_hi:[1,1,0] neg_lo:[0,0,1] neg_hi:[0,0,1]
	v_pk_fma_f32 v[0:1], v[6:7], v[64:65], v[0:1] op_sel:[0,0,1] op_sel_hi:[1,0,0]
	v_mov_b32_e32 v0, v61
	v_mov_b32_e32 v11, v1
	v_pk_mul_f32 v[0:1], v[4:5], v[0:1] op_sel_hi:[1,0]
	;; [unrolled: 5-line block ×3, first 2 shown]
	v_pk_fma_f32 v[4:5], v[2:3], v[62:63], v[0:1] op_sel:[0,0,1] op_sel_hi:[1,1,0] neg_lo:[0,0,1] neg_hi:[0,0,1]
	v_pk_fma_f32 v[0:1], v[2:3], v[62:63], v[0:1] op_sel:[0,0,1] op_sel_hi:[1,0,0]
	v_mov_b32_e32 v5, v1
	v_pk_add_f32 v[0:1], v[8:9], v[18:19]
	v_pk_add_f32 v[0:1], v[0:1], v[10:11]
	;; [unrolled: 1-line block ×4, first 2 shown]
	v_mov_b32_e32 v0, s13
	v_add_co_u32_e64 v14, s[8:9], s12, v14
	s_add_i32 s6, s6, -1
	s_add_i32 s20, s20, s24
	v_addc_co_u32_e64 v15, s[8:9], v15, v0, s[8:9]
	s_cmp_eq_u32 s6, 0
	v_add_u32_e32 v12, 64, v12
	s_barrier
	s_cbranch_scc1 .LBB119_95
.LBB119_91:                             ; =>This Inner Loop Header: Depth=1
	s_and_saveexec_b64 s[22:23], s[2:3]
	s_cbranch_execz .LBB119_93
; %bb.92:                               ;   in Loop: Header=BB119_91 Depth=1
	s_ashr_i32 s21, s20, 31
	s_lshl_b64 s[8:9], s[20:21], 3
	v_mov_b32_e32 v1, s9
	v_add_co_u32_e64 v0, s[8:9], s8, v73
	v_addc_co_u32_e64 v1, s[8:9], v74, v1, s[8:9]
	global_load_dwordx2 v[0:1], v[0:1], off
	s_waitcnt vmcnt(0)
	ds_write_b64 v75, v[0:1]
.LBB119_93:                             ;   in Loop: Header=BB119_91 Depth=1
	s_or_b64 exec, exec, s[22:23]
	v_add_co_u32_e64 v0, s[8:9], s10, v14
	v_addc_co_u32_e64 v1, s[8:9], v15, v83, s[8:9]
	v_add_co_u32_e64 v2, s[8:9], s14, v14
	s_waitcnt lgkmcnt(0)
	s_barrier
	global_load_dwordx2 v[20:21], v[14:15], off
	v_addc_co_u32_e64 v3, s[8:9], v15, v84, s[8:9]
	global_load_dwordx2 v[22:23], v[0:1], off
	global_load_dwordx2 v[24:25], v[2:3], off
	v_add_co_u32_e64 v0, s[8:9], s25, v14
	v_addc_co_u32_e64 v1, s[8:9], v15, v85, s[8:9]
	global_load_dwordx2 v[26:27], v[0:1], off
	ds_read_b64 v[0:1], v76
	ds_read_b64 v[28:29], v80
	v_add_co_u32_e64 v8, s[8:9], s18, v14
	v_addc_co_u32_e64 v9, s[8:9], v15, v86, s[8:9]
	v_add_co_u32_e64 v10, s[8:9], s37, v14
	v_addc_co_u32_e64 v11, s[8:9], v15, v87, s[8:9]
	;; [unrolled: 2-line block ×3, first 2 shown]
	s_waitcnt vmcnt(3) lgkmcnt(1)
	v_mul_f32_e32 v2, v1, v21
	v_mul_f32_e32 v3, v1, v20
	v_fma_f32 v2, v0, v20, -v2
	v_fmac_f32_e32 v3, v0, v21
	s_waitcnt vmcnt(2)
	v_mul_f32_e32 v4, v1, v23
	v_mul_f32_e32 v5, v1, v22
	s_waitcnt vmcnt(1)
	v_mul_f32_e32 v6, v1, v25
	v_mul_f32_e32 v7, v1, v24
	ds_write_b64 v81, v[2:3]
	v_fma_f32 v4, v0, v22, -v4
	v_fmac_f32_e32 v5, v0, v23
	s_waitcnt vmcnt(0)
	v_mul_f32_e32 v30, v1, v27
	v_mul_f32_e32 v31, v0, v27
	v_fma_f32 v6, v0, v24, -v6
	v_fmac_f32_e32 v7, v0, v25
	ds_read_b64 v[42:43], v80 offset:8
	ds_write_b64 v81, v[4:5] offset:536
	v_fma_f32 v30, v0, v26, -v30
	v_fmac_f32_e32 v31, v1, v26
	ds_read_b64 v[40:41], v80 offset:16
	ds_write_b64 v81, v[6:7] offset:1072
	ds_read_b64 v[38:39], v80 offset:24
	ds_write_b64 v81, v[30:31] offset:1608
	s_waitcnt lgkmcnt(0)
	s_barrier
	ds_read2_b64 v[4:7], v79 offset1:1
	ds_read2_b64 v[0:3], v79 offset0:2 offset1:3
	s_waitcnt lgkmcnt(0)
	s_barrier
	global_load_dwordx2 v[34:35], v[8:9], off
	global_load_dwordx2 v[32:33], v[10:11], off
	;; [unrolled: 1-line block ×3, first 2 shown]
	v_add_co_u32_e64 v8, s[8:9], s28, v14
	v_addc_co_u32_e64 v9, s[8:9], v15, v89, s[8:9]
	global_load_dwordx2 v[36:37], v[8:9], off
	ds_read_b64 v[44:45], v76
	ds_read_b64 v[50:51], v80 offset:128
	v_add_co_u32_e64 v8, s[8:9], s16, v14
	v_addc_co_u32_e64 v9, s[8:9], v15, v90, s[8:9]
	v_add_co_u32_e64 v10, s[8:9], s36, v14
	v_addc_co_u32_e64 v11, s[8:9], v15, v91, s[8:9]
	;; [unrolled: 2-line block ×3, first 2 shown]
	v_pk_add_f32 v[4:5], v[4:5], 0 op_sel_hi:[1,0]
	v_pk_add_f32 v[4:5], v[4:5], v[6:7]
	v_pk_add_f32 v[0:1], v[4:5], v[0:1]
	s_waitcnt vmcnt(3) lgkmcnt(1)
	v_mul_f32_e32 v46, v45, v35
	v_mul_f32_e32 v47, v45, v34
	s_waitcnt vmcnt(2)
	v_mul_f32_e32 v48, v45, v33
	v_mul_f32_e32 v49, v45, v32
	v_fma_f32 v46, v44, v34, -v46
	v_fmac_f32_e32 v47, v44, v35
	s_waitcnt vmcnt(1)
	v_mul_f32_e32 v52, v45, v31
	v_mul_f32_e32 v53, v45, v30
	v_fma_f32 v48, v44, v32, -v48
	v_fmac_f32_e32 v49, v44, v33
	ds_write_b64 v81, v[46:47]
	s_waitcnt vmcnt(0)
	v_mul_f32_e32 v54, v45, v37
	v_mul_f32_e32 v63, v44, v37
	v_fma_f32 v52, v44, v30, -v52
	v_fmac_f32_e32 v53, v44, v31
	ds_read_b64 v[58:59], v80 offset:136
	ds_write_b64 v81, v[48:49] offset:536
	v_fma_f32 v62, v44, v36, -v54
	v_fmac_f32_e32 v63, v45, v36
	ds_read_b64 v[54:55], v80 offset:144
	ds_write_b64 v81, v[52:53] offset:1072
	ds_read_b64 v[56:57], v80 offset:152
	ds_write_b64 v81, v[62:63] offset:1608
	s_waitcnt lgkmcnt(0)
	s_barrier
	ds_read2_b64 v[98:101], v79 offset1:1
	ds_read2_b64 v[102:105], v79 offset0:2 offset1:3
	s_waitcnt lgkmcnt(0)
	s_barrier
	global_load_dwordx2 v[52:53], v[8:9], off
	global_load_dwordx2 v[48:49], v[10:11], off
	;; [unrolled: 1-line block ×3, first 2 shown]
	v_add_co_u32_e64 v8, s[8:9], s30, v14
	v_addc_co_u32_e64 v9, s[8:9], v15, v93, s[8:9]
	global_load_dwordx2 v[44:45], v[8:9], off
	ds_read_b64 v[8:9], v76
	ds_read_b64 v[70:71], v80 offset:256
	v_add_co_u32_e64 v62, s[8:9], s35, v14
	v_addc_co_u32_e64 v63, s[8:9], v15, v94, s[8:9]
	v_add_co_u32_e64 v114, s[8:9], s34, v14
	v_addc_co_u32_e64 v115, s[8:9], v15, v95, s[8:9]
	;; [unrolled: 2-line block ×3, first 2 shown]
	s_waitcnt vmcnt(3) lgkmcnt(1)
	v_mul_f32_e32 v10, v9, v53
	v_mul_f32_e32 v11, v9, v52
	s_waitcnt vmcnt(2)
	v_mul_f32_e32 v60, v9, v49
	v_mul_f32_e32 v61, v9, v48
	s_waitcnt vmcnt(1)
	v_mul_f32_e32 v64, v9, v47
	v_mul_f32_e32 v65, v9, v46
	v_fma_f32 v10, v8, v52, -v10
	s_waitcnt vmcnt(0)
	v_mul_f32_e32 v66, v9, v45
	v_mul_f32_e32 v67, v8, v45
	v_fma_f32 v60, v8, v48, -v60
	v_fmac_f32_e32 v11, v8, v53
	v_fmac_f32_e32 v61, v8, v49
	v_fma_f32 v64, v8, v46, -v64
	v_fma_f32 v66, v8, v44, -v66
	v_fmac_f32_e32 v65, v8, v47
	v_fmac_f32_e32 v67, v9, v44
	ds_write2_b64 v81, v[10:11], v[60:61] offset1:67
	ds_write2_b64 v81, v[64:65], v[66:67] offset0:134 offset1:201
	ds_read2_b64 v[8:11], v80 offset0:33 offset1:34
	ds_read_b64 v[68:69], v80 offset:280
	s_waitcnt lgkmcnt(0)
	s_barrier
	ds_read2_b64 v[106:109], v79 offset1:1
	ds_read2_b64 v[110:113], v79 offset0:2 offset1:3
	s_waitcnt lgkmcnt(0)
	s_barrier
	global_load_dwordx2 v[66:67], v[62:63], off
	global_load_dwordx2 v[64:65], v[114:115], off
	;; [unrolled: 1-line block ×3, first 2 shown]
	v_add_co_u32_e64 v62, s[8:9], s33, v14
	v_addc_co_u32_e64 v63, s[8:9], v15, v97, s[8:9]
	global_load_dwordx2 v[62:63], v[62:63], off
	v_pk_add_f32 v[114:115], v[0:1], v[2:3]
	v_pk_add_f32 v[0:1], v[98:99], 0 op_sel_hi:[1,0]
	v_pk_add_f32 v[0:1], v[0:1], v[100:101]
	v_pk_add_f32 v[0:1], v[0:1], v[102:103]
	;; [unrolled: 1-line block ×3, first 2 shown]
	ds_read_b64 v[2:3], v76
	ds_read_b64 v[0:1], v80 offset:384
	v_pk_add_f32 v[4:5], v[106:107], 0 op_sel_hi:[1,0]
	v_pk_add_f32 v[4:5], v[4:5], v[108:109]
	v_pk_add_f32 v[4:5], v[4:5], v[110:111]
	;; [unrolled: 1-line block ×3, first 2 shown]
	s_waitcnt vmcnt(3) lgkmcnt(1)
	v_mul_f32_e32 v4, v3, v67
	v_mul_f32_e32 v5, v3, v66
	s_waitcnt vmcnt(2)
	v_mul_f32_e32 v6, v3, v65
	v_mul_f32_e32 v99, v3, v64
	v_fma_f32 v4, v2, v66, -v4
	v_fmac_f32_e32 v5, v2, v67
	s_waitcnt vmcnt(1)
	v_mul_f32_e32 v7, v3, v61
	v_mul_f32_e32 v101, v3, v60
	v_fma_f32 v98, v2, v64, -v6
	v_fmac_f32_e32 v99, v2, v65
	ds_write_b64 v81, v[4:5]
	s_waitcnt vmcnt(0)
	v_mul_f32_e32 v102, v3, v63
	v_mul_f32_e32 v103, v2, v63
	v_fma_f32 v100, v2, v60, -v7
	v_fmac_f32_e32 v101, v2, v61
	ds_read_b64 v[6:7], v80 offset:392
	ds_write_b64 v81, v[98:99] offset:536
	v_fma_f32 v102, v2, v62, -v102
	v_fmac_f32_e32 v103, v3, v62
	ds_read_b64 v[4:5], v80 offset:400
	ds_write_b64 v81, v[100:101] offset:1072
	ds_read_b64 v[2:3], v80 offset:408
	ds_write_b64 v81, v[102:103] offset:1608
	s_waitcnt lgkmcnt(0)
	s_barrier
	ds_read2_b64 v[98:101], v79 offset1:1
	ds_read2_b64 v[102:105], v79 offset0:2 offset1:3
	s_waitcnt lgkmcnt(0)
	s_barrier
	v_pk_add_f32 v[98:99], v[98:99], 0 op_sel_hi:[1,0]
	v_pk_add_f32 v[98:99], v[98:99], v[100:101]
	v_pk_add_f32 v[98:99], v[98:99], v[102:103]
	;; [unrolled: 1-line block ×3, first 2 shown]
	ds_write2_b64 v82, v[114:115], v[116:117] offset1:16
	ds_write2_b64 v82, v[106:107], v[98:99] offset0:32 offset1:48
	s_waitcnt lgkmcnt(0)
	s_barrier
	s_and_saveexec_b64 s[22:23], s[4:5]
	s_cbranch_execz .LBB119_90
; %bb.94:                               ;   in Loop: Header=BB119_91 Depth=1
	ds_read_b64 v[106:107], v77
	ds_read2_b64 v[98:101], v77 offset0:1 offset1:2
	ds_read2_b64 v[102:105], v77 offset0:3 offset1:4
	v_lshlrev_b64 v[108:109], 3, v[12:13]
	v_mov_b32_e32 v111, s27
	v_add_co_u32_e64 v110, s[8:9], s7, v108
	s_waitcnt lgkmcnt(1)
	v_add_f32_e32 v98, v98, v106
	v_add_f32_e32 v99, v99, v107
	;; [unrolled: 1-line block ×4, first 2 shown]
	ds_read2_b64 v[98:101], v77 offset0:5 offset1:6
	s_waitcnt lgkmcnt(1)
	v_add_f32_e32 v102, v106, v102
	v_add_f32_e32 v103, v107, v103
	;; [unrolled: 1-line block ×4, first 2 shown]
	ds_read2_b64 v[102:105], v77 offset0:7 offset1:8
	v_addc_co_u32_e64 v111, s[8:9], v111, v109, s[8:9]
	s_waitcnt lgkmcnt(1)
	v_pk_add_f32 v[98:99], v[106:107], v[98:99]
	ds_read2_b64 v[106:109], v77 offset0:9 offset1:10
	v_pk_add_f32 v[98:99], v[98:99], v[100:101]
	s_waitcnt lgkmcnt(1)
	v_pk_add_f32 v[98:99], v[98:99], v[102:103]
	v_pk_add_f32 v[102:103], v[98:99], v[104:105]
	ds_read2_b64 v[98:101], v77 offset0:11 offset1:12
	s_waitcnt lgkmcnt(1)
	v_pk_add_f32 v[106:107], v[102:103], v[106:107]
	ds_read2_b64 v[102:105], v77 offset0:13 offset1:14
	v_pk_add_f32 v[106:107], v[106:107], v[108:109]
	ds_read_b64 v[108:109], v78
	s_waitcnt lgkmcnt(2)
	v_pk_add_f32 v[98:99], v[106:107], v[98:99]
	v_pk_add_f32 v[98:99], v[98:99], v[100:101]
	s_waitcnt lgkmcnt(1)
	v_pk_add_f32 v[98:99], v[98:99], v[102:103]
	v_pk_add_f32 v[98:99], v[98:99], v[104:105]
	s_waitcnt lgkmcnt(0)
	v_pk_add_f32 v[98:99], v[98:99], v[108:109]
	global_store_dwordx2 v[110:111], v[98:99], off
	s_branch .LBB119_90
.LBB119_95:
	s_movk_i32 s2, 0x218
	s_or_b64 s[0:1], s[0:1], vcc
	v_mad_u32_u24 v0, v17, s2, v72
	s_xor_b64 s[0:1], s[0:1], -1
	ds_write_b64 v0, v[18:19]
	s_waitcnt lgkmcnt(0)
	s_barrier
	s_and_saveexec_b64 s[2:3], s[0:1]
	s_cbranch_execz .LBB119_97
; %bb.96:
	ds_read2_b64 v[0:3], v72 offset1:67
	ds_read2_b64 v[4:7], v72 offset0:134 offset1:201
	v_ashrrev_i32_e32 v17, 31, v16
	v_lshlrev_b64 v[8:9], 3, v[16:17]
	v_mov_b32_e32 v10, s27
	s_waitcnt lgkmcnt(1)
	v_pk_add_f32 v[0:1], v[2:3], v[0:1]
	v_add_co_u32_e32 v8, vcc, s7, v8
	s_waitcnt lgkmcnt(0)
	v_pk_add_f32 v[0:1], v[0:1], v[4:5]
	v_addc_co_u32_e32 v9, vcc, v10, v9, vcc
	v_pk_add_f32 v[0:1], v[0:1], v[6:7]
	global_store_dwordx2 v[8:9], v[0:1], off
.LBB119_97:
	s_endpgm
	.section	.rodata,"a",@progbits
	.p2align	6, 0x0
	.amdhsa_kernel _ZL26rocblas_hemvn_kernel_lowerILb0ELi64ELi4ELi33ELi32ELi16EiPK19rocblas_complex_numIfES3_PS1_EviT6_lT7_lT5_lS6_lS7_lS5_lT8_i
		.amdhsa_group_segment_fixed_size 9600
		.amdhsa_private_segment_fixed_size 0
		.amdhsa_kernarg_size 376
		.amdhsa_user_sgpr_count 6
		.amdhsa_user_sgpr_private_segment_buffer 1
		.amdhsa_user_sgpr_dispatch_ptr 0
		.amdhsa_user_sgpr_queue_ptr 0
		.amdhsa_user_sgpr_kernarg_segment_ptr 1
		.amdhsa_user_sgpr_dispatch_id 0
		.amdhsa_user_sgpr_flat_scratch_init 0
		.amdhsa_user_sgpr_kernarg_preload_length 0
		.amdhsa_user_sgpr_kernarg_preload_offset 0
		.amdhsa_user_sgpr_private_segment_size 0
		.amdhsa_uses_dynamic_stack 0
		.amdhsa_system_sgpr_private_segment_wavefront_offset 0
		.amdhsa_system_sgpr_workgroup_id_x 1
		.amdhsa_system_sgpr_workgroup_id_y 0
		.amdhsa_system_sgpr_workgroup_id_z 1
		.amdhsa_system_sgpr_workgroup_info 0
		.amdhsa_system_vgpr_workitem_id 1
		.amdhsa_next_free_vgpr 118
		.amdhsa_next_free_sgpr 46
		.amdhsa_accum_offset 120
		.amdhsa_reserve_vcc 1
		.amdhsa_reserve_flat_scratch 0
		.amdhsa_float_round_mode_32 0
		.amdhsa_float_round_mode_16_64 0
		.amdhsa_float_denorm_mode_32 3
		.amdhsa_float_denorm_mode_16_64 3
		.amdhsa_dx10_clamp 1
		.amdhsa_ieee_mode 1
		.amdhsa_fp16_overflow 0
		.amdhsa_tg_split 0
		.amdhsa_exception_fp_ieee_invalid_op 0
		.amdhsa_exception_fp_denorm_src 0
		.amdhsa_exception_fp_ieee_div_zero 0
		.amdhsa_exception_fp_ieee_overflow 0
		.amdhsa_exception_fp_ieee_underflow 0
		.amdhsa_exception_fp_ieee_inexact 0
		.amdhsa_exception_int_div_zero 0
	.end_amdhsa_kernel
	.section	.text._ZL26rocblas_hemvn_kernel_lowerILb0ELi64ELi4ELi33ELi32ELi16EiPK19rocblas_complex_numIfES3_PS1_EviT6_lT7_lT5_lS6_lS7_lS5_lT8_i,"axG",@progbits,_ZL26rocblas_hemvn_kernel_lowerILb0ELi64ELi4ELi33ELi32ELi16EiPK19rocblas_complex_numIfES3_PS1_EviT6_lT7_lT5_lS6_lS7_lS5_lT8_i,comdat
.Lfunc_end119:
	.size	_ZL26rocblas_hemvn_kernel_lowerILb0ELi64ELi4ELi33ELi32ELi16EiPK19rocblas_complex_numIfES3_PS1_EviT6_lT7_lT5_lS6_lS7_lS5_lT8_i, .Lfunc_end119-_ZL26rocblas_hemvn_kernel_lowerILb0ELi64ELi4ELi33ELi32ELi16EiPK19rocblas_complex_numIfES3_PS1_EviT6_lT7_lT5_lS6_lS7_lS5_lT8_i
                                        ; -- End function
	.section	.AMDGPU.csdata,"",@progbits
; Kernel info:
; codeLenInByte = 7712
; NumSgprs: 50
; NumVgprs: 118
; NumAgprs: 0
; TotalNumVgprs: 118
; ScratchSize: 0
; MemoryBound: 1
; FloatMode: 240
; IeeeMode: 1
; LDSByteSize: 9600 bytes/workgroup (compile time only)
; SGPRBlocks: 6
; VGPRBlocks: 14
; NumSGPRsForWavesPerEU: 50
; NumVGPRsForWavesPerEU: 118
; AccumOffset: 120
; Occupancy: 4
; WaveLimiterHint : 1
; COMPUTE_PGM_RSRC2:SCRATCH_EN: 0
; COMPUTE_PGM_RSRC2:USER_SGPR: 6
; COMPUTE_PGM_RSRC2:TRAP_HANDLER: 0
; COMPUTE_PGM_RSRC2:TGID_X_EN: 1
; COMPUTE_PGM_RSRC2:TGID_Y_EN: 0
; COMPUTE_PGM_RSRC2:TGID_Z_EN: 1
; COMPUTE_PGM_RSRC2:TIDIG_COMP_CNT: 1
; COMPUTE_PGM_RSRC3_GFX90A:ACCUM_OFFSET: 29
; COMPUTE_PGM_RSRC3_GFX90A:TG_SPLIT: 0
	.section	.text._ZL26rocblas_hemvn_kernel_lowerILb0ELi64ELi4ELi33ELi32ELi16El19rocblas_complex_numIfEPKS1_PS1_EviT6_lT7_lT5_lS6_lS7_lS5_lT8_i,"axG",@progbits,_ZL26rocblas_hemvn_kernel_lowerILb0ELi64ELi4ELi33ELi32ELi16El19rocblas_complex_numIfEPKS1_PS1_EviT6_lT7_lT5_lS6_lS7_lS5_lT8_i,comdat
	.globl	_ZL26rocblas_hemvn_kernel_lowerILb0ELi64ELi4ELi33ELi32ELi16El19rocblas_complex_numIfEPKS1_PS1_EviT6_lT7_lT5_lS6_lS7_lS5_lT8_i ; -- Begin function _ZL26rocblas_hemvn_kernel_lowerILb0ELi64ELi4ELi33ELi32ELi16El19rocblas_complex_numIfEPKS1_PS1_EviT6_lT7_lT5_lS6_lS7_lS5_lT8_i
	.p2align	8
	.type	_ZL26rocblas_hemvn_kernel_lowerILb0ELi64ELi4ELi33ELi32ELi16El19rocblas_complex_numIfEPKS1_PS1_EviT6_lT7_lT5_lS6_lS7_lS5_lT8_i,@function
_ZL26rocblas_hemvn_kernel_lowerILb0ELi64ELi4ELi33ELi32ELi16El19rocblas_complex_numIfEPKS1_PS1_EviT6_lT7_lT5_lS6_lS7_lS5_lT8_i: ; @_ZL26rocblas_hemvn_kernel_lowerILb0ELi64ELi4ELi33ELi32ELi16El19rocblas_complex_numIfEPKS1_PS1_EviT6_lT7_lT5_lS6_lS7_lS5_lT8_i
; %bb.0:
	s_load_dwordx2 s[2:3], s[4:5], 0x84
	s_add_u32 s0, s4, 0x78
	s_addc_u32 s1, s5, 0
	s_waitcnt lgkmcnt(0)
	s_lshr_b32 s8, s2, 16
	s_and_b32 s2, s2, 0xffff
	s_and_b32 s3, s3, 0xffff
	s_mul_i32 s2, s8, s2
	s_mul_i32 s2, s2, s3
	s_cmpk_lg_i32 s2, 0x100
	s_cbranch_scc1 .LBB120_97
; %bb.1:
	s_load_dwordx2 s[2:3], s[4:5], 0x4
	s_mov_b64 s[8:9], -1
	s_waitcnt lgkmcnt(0)
	s_or_b32 s2, s2, s3
	s_bitset0_b32 s2, 31
	s_cmp_lg_u32 s2, 0
	s_cselect_b64 s[2:3], -1, 0
	s_and_b64 vcc, exec, s[2:3]
	s_cbranch_vccnz .LBB120_3
; %bb.2:
	s_load_dwordx2 s[8:9], s[4:5], 0x58
	s_waitcnt lgkmcnt(0)
	v_cmp_neq_f32_e64 s[10:11], s8, 1.0
	v_cmp_neq_f32_e64 s[8:9], s9, 0
	s_or_b64 s[8:9], s[10:11], s[8:9]
.LBB120_3:
	s_andn2_b64 vcc, exec, s[8:9]
	s_cbranch_vccnz .LBB120_97
; %bb.4:
	s_andn2_b64 vcc, exec, s[2:3]
	s_cbranch_vccnz .LBB120_97
; %bb.5:
	s_load_dwordx16 s[36:51], s[4:5], 0x18
	s_load_dword s52, s[0:1], 0x0
	s_load_dword s33, s[4:5], 0x0
	v_and_b32_e32 v26, 0x3ff, v0
	v_bfe_u32 v72, v0, 10, 10
	s_waitcnt lgkmcnt(0)
	s_mul_i32 s1, s7, s51
	s_mul_hi_u32 s2, s7, s50
	s_mul_i32 s0, s7, s50
	s_add_i32 s1, s2, s1
	s_lshl_b64 s[0:1], s[0:1], 3
	s_add_u32 s2, s44, s0
	s_addc_u32 s3, s45, s1
	s_lshl_b64 s[0:1], s[46:47], 3
	s_add_u32 s2, s2, s0
	s_addc_u32 s3, s3, s1
	s_ashr_i32 s44, s33, 31
	s_lshr_b32 s1, s44, 26
	s_add_i32 s1, s33, s1
	s_lshl_b32 s26, s6, 6
	s_andn2_b32 s1, s1, 63
	s_add_i32 s0, s52, -1
	s_sub_i32 s1, s33, s1
	v_add_u32_e32 v16, s26, v26
	s_cmp_eq_u32 s6, s0
	v_ashrrev_i32_e32 v17, 31, v16
	s_cselect_b32 s24, s1, 0
	v_mul_lo_u32 v2, v17, s48
	v_mul_lo_u32 v3, v16, s49
	v_mad_u64_u32 v[0:1], s[0:1], v16, s48, 0
	v_add3_u32 v1, v1, v3, v2
	v_lshlrev_b64 v[0:1], 3, v[0:1]
	v_mov_b32_e32 v2, s3
	v_add_co_u32_e32 v20, vcc, s2, v0
	v_addc_co_u32_e32 v21, vcc, v2, v1, vcc
	v_cmp_ne_u32_e64 s[0:1], 0, v72
	v_cmp_eq_u32_e64 s[2:3], 0, v72
	s_and_saveexec_b64 s[8:9], s[2:3]
	s_cbranch_execz .LBB120_10
; %bb.6:
	s_cmp_lg_u32 s24, 0
	s_cselect_b64 s[10:11], -1, 0
	v_cmp_le_i32_e32 vcc, s24, v26
	v_mov_b32_e32 v0, 0x2380
	s_and_b64 s[10:11], s[10:11], vcc
	v_lshl_add_u32 v0, v26, 3, v0
	s_and_saveexec_b64 s[12:13], s[10:11]
	s_xor_b64 s[10:11], exec, s[12:13]
	s_cbranch_execz .LBB120_8
; %bb.7:
	v_mov_b32_e32 v2, 0
	v_mov_b32_e32 v3, v2
	ds_write_b64 v0, v[2:3]
                                        ; implicit-def: $vgpr0
.LBB120_8:
	s_andn2_saveexec_b64 s[10:11], s[10:11]
	s_cbranch_execz .LBB120_10
; %bb.9:
	global_load_dwordx2 v[2:3], v[20:21], off
	s_waitcnt vmcnt(0)
	ds_write_b64 v0, v[2:3]
.LBB120_10:
	s_or_b64 exec, exec, s[8:9]
	s_mul_i32 s8, s7, s43
	s_mul_hi_u32 s9, s7, s42
	s_add_i32 s9, s9, s8
	s_mul_i32 s8, s7, s42
	s_lshl_b64 s[8:9], s[8:9], 3
	s_add_u32 s10, s36, s8
	s_addc_u32 s11, s37, s9
	s_lshl_b64 s[8:9], s[38:39], 3
	s_add_u32 s10, s10, s8
	s_addc_u32 s11, s11, s9
	s_ashr_i32 s27, s26, 31
	v_lshl_add_u32 v27, v72, 6, v26
	s_lshl_b64 s[8:9], s[26:27], 3
	v_and_b32_e32 v0, 31, v26
	v_lshrrev_b32_e32 v8, 5, v27
	s_add_u32 s10, s10, s8
	v_mov_b32_e32 v1, 0
	s_addc_u32 s11, s11, s9
	v_mad_u64_u32 v[2:3], s[8:9], v8, s40, v[0:1]
	v_mov_b32_e32 v4, v3
	v_mad_u64_u32 v[4:5], s[8:9], v8, s41, v[4:5]
	s_mul_i32 s8, s26, s41
	s_mul_hi_u32 s9, s26, s40
	s_add_i32 s8, s9, s8
	s_mul_i32 s9, s27, s40
	s_add_i32 s9, s8, s9
	s_mul_i32 s8, s26, s40
	s_lshl_b64 s[28:29], s[8:9], 3
	v_mov_b32_e32 v3, v4
	s_add_u32 s8, s28, s10
	v_lshlrev_b64 v[22:23], 3, v[2:3]
	s_addc_u32 s9, s29, s11
	v_mov_b32_e32 v1, s9
	v_add_co_u32_e32 v2, vcc, s8, v22
	s_cmp_lg_u32 s24, 0
	v_addc_co_u32_e32 v3, vcc, v1, v23, vcc
	s_cselect_b64 s[30:31], -1, 0
	s_cmp_eq_u32 s24, 0
	s_cselect_b64 s[34:35], -1, 0
	s_and_b64 vcc, exec, s[30:31]
	s_cbranch_vccnz .LBB120_12
; %bb.11:
	s_lshl_b64 s[8:9], s[40:41], 6
	v_mov_b32_e32 v1, s9
	v_add_co_u32_e32 v4, vcc, s8, v2
	v_addc_co_u32_e32 v5, vcc, v3, v1, vcc
	global_load_dwordx2 v[6:7], v[4:5], off
	global_load_dwordx2 v[12:13], v[2:3], off
	v_add_co_u32_e32 v4, vcc, s8, v4
	v_addc_co_u32_e32 v5, vcc, v5, v1, vcc
	v_mov_b32_e32 v1, 0xc0
	v_mad_u64_u32 v[10:11], s[8:9], s40, v1, v[2:3]
	s_mul_i32 s8, s41, 0xc0
	v_add_u32_e32 v11, s8, v11
	global_load_dwordx2 v[14:15], v[10:11], off
	global_load_dwordx2 v[18:19], v[4:5], off
	v_mul_u32_u24_e32 v1, 33, v8
	v_add_lshl_u32 v1, v1, v0, 3
	s_waitcnt vmcnt(2)
	ds_write_b64 v1, v[12:13]
	ds_write_b64 v1, v[6:7] offset:2112
	s_waitcnt vmcnt(1)
	ds_write_b64 v1, v[14:15] offset:6336
	s_waitcnt vmcnt(0)
	ds_write_b64 v1, v[18:19] offset:4224
	s_cbranch_execz .LBB120_13
	s_branch .LBB120_28
.LBB120_12:
.LBB120_13:
	v_lshlrev_b32_e32 v1, 3, v0
	v_sub_co_u32_e32 v4, vcc, v2, v1
	s_ashr_i32 s25, s24, 31
	v_subbrev_co_u32_e32 v5, vcc, 0, v3, vcc
	s_lshl_b64 s[10:11], s[24:25], 3
	v_mov_b32_e32 v6, s11
	v_add_co_u32_e32 v4, vcc, s10, v4
	v_addc_co_u32_e32 v5, vcc, v5, v6, vcc
	v_add_co_u32_e32 v4, vcc, -8, v4
	v_addc_co_u32_e32 v5, vcc, -1, v5, vcc
	v_cmp_gt_i32_e32 vcc, s24, v0
	v_mov_b32_e32 v6, 0
	v_cndmask_b32_e32 v5, v5, v3, vcc
	v_cndmask_b32_e32 v4, v4, v2, vcc
	v_cmp_gt_i32_e64 s[8:9], s24, v8
	v_mov_b32_e32 v7, v6
	s_and_saveexec_b64 s[12:13], s[8:9]
	s_cbranch_execz .LBB120_15
; %bb.14:
	global_load_dwordx2 v[6:7], v[4:5], off
.LBB120_15:
	s_or_b64 exec, exec, s[12:13]
	v_mul_u32_u24_e32 v9, 33, v8
	v_add_lshl_u32 v9, v9, v0, 3
	s_waitcnt vmcnt(0)
	ds_write_b64 v9, v[6:7]
	v_add_u32_e32 v6, 8, v8
	v_cmp_le_i32_e64 s[8:9], s24, v6
	s_and_saveexec_b64 s[12:13], s[8:9]
	s_xor_b64 s[8:9], exec, s[12:13]
	s_cbranch_execz .LBB120_17
; %bb.16:
	v_mul_u32_u24_e32 v6, 33, v6
	v_add_lshl_u32 v10, v6, v0, 3
	v_mov_b32_e32 v6, 0
	v_mov_b32_e32 v7, v6
	ds_write_b64 v10, v[6:7]
.LBB120_17:
	s_andn2_saveexec_b64 s[12:13], s[8:9]
	s_cbranch_execz .LBB120_19
; %bb.18:
	s_lshl_b64 s[8:9], s[40:41], 6
	v_mov_b32_e32 v7, s9
	v_add_co_u32_e64 v6, s[8:9], s8, v4
	v_addc_co_u32_e64 v7, s[8:9], v5, v7, s[8:9]
	global_load_dwordx2 v[6:7], v[6:7], off
	s_waitcnt vmcnt(0)
	ds_write_b64 v9, v[6:7] offset:2112
.LBB120_19:
	s_or_b64 exec, exec, s[12:13]
	v_add_u32_e32 v6, 16, v8
	v_cmp_le_i32_e64 s[8:9], s24, v6
	s_and_saveexec_b64 s[12:13], s[8:9]
	s_xor_b64 s[8:9], exec, s[12:13]
	s_cbranch_execz .LBB120_21
; %bb.20:
	v_mov_b32_e32 v6, 0
	v_mov_b32_e32 v7, v6
	ds_write_b64 v9, v[6:7] offset:4224
.LBB120_21:
	s_andn2_saveexec_b64 s[12:13], s[8:9]
	s_cbranch_execz .LBB120_23
; %bb.22:
	s_lshl_b64 s[8:9], s[40:41], 7
	v_mov_b32_e32 v7, s9
	v_add_co_u32_e64 v6, s[8:9], s8, v4
	v_addc_co_u32_e64 v7, s[8:9], v5, v7, s[8:9]
	global_load_dwordx2 v[6:7], v[6:7], off
	s_waitcnt vmcnt(0)
	ds_write_b64 v9, v[6:7] offset:4224
.LBB120_23:
	s_or_b64 exec, exec, s[12:13]
	v_add_u32_e32 v6, 24, v8
	v_cmp_le_i32_e64 s[8:9], s24, v6
	s_and_saveexec_b64 s[12:13], s[8:9]
	s_xor_b64 s[8:9], exec, s[12:13]
	s_cbranch_execz .LBB120_25
; %bb.24:
	v_mov_b32_e32 v6, 0
	v_mov_b32_e32 v7, v6
	ds_write_b64 v9, v[6:7] offset:6336
                                        ; implicit-def: $vgpr9
.LBB120_25:
	s_andn2_saveexec_b64 s[8:9], s[8:9]
	s_cbranch_execz .LBB120_27
; %bb.26:
	v_mov_b32_e32 v6, 0xc0
	v_mad_u64_u32 v[6:7], s[12:13], s40, v6, v[4:5]
	s_mul_i32 s12, s41, 0xc0
	v_add_u32_e32 v7, s12, v7
	global_load_dwordx2 v[6:7], v[6:7], off
	s_waitcnt vmcnt(0)
	ds_write_b64 v9, v[6:7] offset:6336
.LBB120_27:
	s_or_b64 exec, exec, s[8:9]
	v_add_co_u32_e64 v1, s[8:9], v4, v1
	v_addc_co_u32_e64 v4, s[8:9], 0, v5, s[8:9]
	v_mov_b32_e32 v5, s11
	v_subrev_co_u32_e64 v1, s[8:9], s10, v1
	v_subb_co_u32_e64 v4, s[8:9], v4, v5, s[8:9]
	v_add_co_u32_e64 v1, s[8:9], 8, v1
	v_addc_co_u32_e64 v4, s[8:9], 0, v4, s[8:9]
	v_cndmask_b32_e32 v3, v4, v3, vcc
	v_cndmask_b32_e32 v2, v1, v2, vcc
.LBB120_28:
	v_lshlrev_b32_e32 v1, 2, v8
	v_mul_u32_u24_e32 v28, 33, v0
	v_cmp_lt_u32_e64 s[8:9], v1, v0
	v_add_lshl_u32 v12, v1, v28, 3
	s_waitcnt lgkmcnt(0)
	s_barrier
	s_and_saveexec_b64 s[10:11], s[8:9]
	s_cbranch_execz .LBB120_30
; %bb.29:
	v_mul_u32_u24_e32 v4, 0x84, v8
	v_add_lshl_u32 v4, v4, v0, 3
	ds_read_b64 v[4:5], v4
	s_waitcnt lgkmcnt(0)
	ds_write_b64 v12, v[4:5]
.LBB120_30:
	s_or_b64 exec, exec, s[10:11]
	v_or_b32_e32 v4, 1, v1
	v_cmp_lt_u32_e64 s[10:11], v4, v0
	s_and_saveexec_b64 s[12:13], s[10:11]
	s_cbranch_execz .LBB120_32
; %bb.31:
	v_mul_u32_u24_e32 v4, 33, v4
	v_add_lshl_u32 v4, v4, v0, 3
	ds_read_b64 v[4:5], v4
	s_waitcnt lgkmcnt(0)
	ds_write_b64 v12, v[4:5] offset:8
.LBB120_32:
	s_or_b64 exec, exec, s[12:13]
	v_or_b32_e32 v4, 2, v1
	v_cmp_lt_u32_e64 s[12:13], v4, v0
	s_and_saveexec_b64 s[14:15], s[12:13]
	s_cbranch_execz .LBB120_34
; %bb.33:
	v_mul_u32_u24_e32 v4, 33, v4
	v_add_lshl_u32 v4, v4, v0, 3
	ds_read_b64 v[4:5], v4
	s_waitcnt lgkmcnt(0)
	ds_write_b64 v12, v[4:5] offset:16
.LBB120_34:
	s_or_b64 exec, exec, s[14:15]
	v_or_b32_e32 v4, 3, v1
	v_cmp_lt_u32_e64 s[14:15], v4, v0
	v_mad_u32_u24 v4, v4, 33, v0
	v_lshlrev_b32_e32 v9, 3, v4
	s_and_saveexec_b64 s[16:17], s[14:15]
	s_cbranch_execz .LBB120_36
; %bb.35:
	ds_read_b64 v[4:5], v9
	s_waitcnt lgkmcnt(0)
	ds_write_b64 v12, v[4:5] offset:24
.LBB120_36:
	s_or_b64 exec, exec, s[16:17]
	v_mul_u32_u24_e32 v4, 0x84, v8
	v_add_lshl_u32 v11, v4, v0, 3
	s_waitcnt lgkmcnt(0)
	s_barrier
	v_lshlrev_b32_e32 v13, 3, v1
	v_add_u32_e32 v10, 0xfffffdf0, v9
	ds_read_b64 v[14:15], v11
	ds_read_b128 v[4:7], v13 offset:9088
	ds_read2_b64 v[30:33], v10 offset1:33
	ds_read_b64 v[18:19], v9
	ds_read_b128 v[34:37], v13 offset:9104
	s_mov_b32 s16, 0
	s_mov_b32 s17, s16
	s_waitcnt lgkmcnt(3)
	v_pk_mul_f32 v[24:25], v[4:5], v[14:15] op_sel:[0,1]
	v_pk_fma_f32 v[38:39], v[4:5], v[14:15], v[24:25] op_sel:[0,0,1] op_sel_hi:[1,1,0] neg_lo:[0,0,1] neg_hi:[0,0,1]
	v_pk_fma_f32 v[4:5], v[4:5], v[14:15], v[24:25] op_sel:[0,0,1] op_sel_hi:[1,0,0]
	s_waitcnt lgkmcnt(2)
	v_pk_mul_f32 v[14:15], v[6:7], v[30:31] op_sel:[0,1]
	v_pk_fma_f32 v[24:25], v[6:7], v[30:31], v[14:15] op_sel:[0,0,1] op_sel_hi:[1,1,0] neg_lo:[0,0,1] neg_hi:[0,0,1]
	v_pk_fma_f32 v[6:7], v[6:7], v[30:31], v[14:15] op_sel:[0,0,1] op_sel_hi:[1,0,0]
	v_mov_b32_e32 v39, v5
	v_mov_b32_e32 v25, v7
	s_waitcnt lgkmcnt(0)
	v_pk_mul_f32 v[6:7], v[34:35], v[32:33] op_sel:[0,1]
	v_pk_add_f32 v[4:5], v[38:39], 0 op_sel_hi:[1,0]
	v_pk_fma_f32 v[14:15], v[34:35], v[32:33], v[6:7] op_sel:[0,0,1] op_sel_hi:[1,1,0] neg_lo:[0,0,1] neg_hi:[0,0,1]
	v_pk_fma_f32 v[6:7], v[34:35], v[32:33], v[6:7] op_sel:[0,0,1] op_sel_hi:[1,0,0]
	v_pk_add_f32 v[4:5], v[4:5], v[24:25]
	v_mov_b32_e32 v15, v7
	v_pk_mul_f32 v[6:7], v[36:37], v[18:19] op_sel:[0,1]
	v_pk_add_f32 v[4:5], v[4:5], v[14:15]
	v_pk_fma_f32 v[14:15], v[36:37], v[18:19], v[6:7] op_sel:[0,0,1] op_sel_hi:[1,1,0] neg_lo:[0,0,1] neg_hi:[0,0,1]
	v_pk_fma_f32 v[6:7], v[36:37], v[18:19], v[6:7] op_sel:[0,0,1] op_sel_hi:[1,0,0]
	v_mov_b32_e32 v15, v7
	v_add_lshl_u32 v29, v8, v28, 3
	v_pk_add_f32 v[4:5], v[4:5], v[14:15]
	v_cmp_gt_u32_e64 s[20:21], 32, v27
	v_pk_mov_b32 v[18:19], s[16:17], s[16:17] op_sel:[0,1]
	s_barrier
	ds_write_b64 v29, v[4:5]
	s_waitcnt lgkmcnt(0)
	s_barrier
	s_and_saveexec_b64 s[16:17], s[20:21]
	s_cbranch_execz .LBB120_38
; %bb.37:
	v_lshlrev_b32_e32 v1, 3, v28
	ds_read2_b64 v[4:7], v1 offset1:7
	ds_read2_b64 v[30:33], v1 offset0:1 offset1:2
	ds_read2_b64 v[34:37], v1 offset0:3 offset1:4
	s_waitcnt lgkmcnt(1)
	v_add_f32_e32 v4, v30, v4
	v_add_f32_e32 v5, v31, v5
	;; [unrolled: 1-line block ×4, first 2 shown]
	ds_read2_b64 v[30:33], v1 offset0:5 offset1:6
	s_waitcnt lgkmcnt(1)
	v_add_f32_e32 v1, v4, v34
	v_add_f32_e32 v4, v5, v35
	;; [unrolled: 1-line block ×4, first 2 shown]
	s_waitcnt lgkmcnt(0)
	v_add_f32_e32 v1, v1, v30
	v_add_f32_e32 v5, v4, v31
	;; [unrolled: 1-line block ×4, first 2 shown]
	v_pk_add_f32 v[18:19], v[4:5], v[6:7]
.LBB120_38:
	s_or_b64 exec, exec, s[16:17]
	s_lshl_b64 s[22:23], s[40:41], 8
	v_mov_b32_e32 v1, s23
	v_add_co_u32_e32 v4, vcc, s22, v2
	v_addc_co_u32_e32 v5, vcc, v3, v1, vcc
	v_add_co_u32_e32 v2, vcc, 0x100, v4
	v_cndmask_b32_e64 v1, 0, 1, s[34:35]
	s_mov_b64 s[18:19], vcc
	v_cmp_ne_u32_e64 s[16:17], 1, v1
	s_andn2_b64 vcc, exec, s[34:35]
	v_addc_co_u32_e64 v1, s[18:19], 0, v5, s[18:19]
	s_barrier
	s_cbranch_vccnz .LBB120_40
; %bb.39:
	s_lshl_b64 s[18:19], s[40:41], 6
	v_mov_b32_e32 v3, s19
	v_add_co_u32_e32 v6, vcc, s18, v4
	v_addc_co_u32_e32 v7, vcc, v5, v3, vcc
	v_add_co_u32_e32 v14, vcc, s18, v6
	v_addc_co_u32_e32 v15, vcc, v7, v3, vcc
	v_mov_b32_e32 v3, 0xc0
	v_mad_u64_u32 v[24:25], s[18:19], s40, v3, v[4:5]
	s_mul_i32 s18, s41, 0xc0
	v_add_u32_e32 v25, s18, v25
	global_load_dwordx2 v[30:31], v[4:5], off offset:256
	global_load_dwordx2 v[32:33], v[6:7], off offset:256
	;; [unrolled: 1-line block ×4, first 2 shown]
	v_mul_u32_u24_e32 v3, 33, v8
	v_add_lshl_u32 v3, v3, v0, 3
	s_waitcnt vmcnt(3)
	ds_write_b64 v3, v[30:31]
	s_waitcnt vmcnt(2)
	ds_write_b64 v3, v[32:33] offset:2112
	s_waitcnt vmcnt(1)
	ds_write_b64 v3, v[34:35] offset:4224
	;; [unrolled: 2-line block ×3, first 2 shown]
	s_cbranch_execz .LBB120_41
	s_branch .LBB120_56
.LBB120_40:
.LBB120_41:
	v_lshlrev_b32_e32 v3, 3, v0
	v_sub_co_u32_e32 v5, vcc, v2, v3
	s_ashr_i32 s25, s24, 31
	v_subbrev_co_u32_e32 v6, vcc, 0, v1, vcc
	s_lshl_b64 s[34:35], s[24:25], 3
	v_mov_b32_e32 v7, s35
	v_add_co_u32_e32 v5, vcc, s34, v5
	v_addc_co_u32_e32 v6, vcc, v6, v7, vcc
	v_or_b32_e32 v4, 32, v0
	v_add_co_u32_e32 v7, vcc, 0xfffffef8, v5
	v_addc_co_u32_e32 v5, vcc, -1, v6, vcc
	v_cmp_gt_i32_e64 s[18:19], s24, v4
	s_sub_i32 s25, s24, 32
	v_mov_b32_e32 v6, 0
	v_cndmask_b32_e64 v5, v5, v1, s[18:19]
	v_cndmask_b32_e64 v4, v7, v2, s[18:19]
	v_cmp_gt_i32_e32 vcc, s25, v8
	v_mov_b32_e32 v7, v6
	s_and_saveexec_b64 s[36:37], vcc
	s_cbranch_execz .LBB120_43
; %bb.42:
	global_load_dwordx2 v[6:7], v[4:5], off
.LBB120_43:
	s_or_b64 exec, exec, s[36:37]
	v_mul_u32_u24_e32 v14, 33, v8
	v_add_lshl_u32 v14, v14, v0, 3
	s_waitcnt vmcnt(0)
	ds_write_b64 v14, v[6:7]
	v_add_u32_e32 v6, 8, v8
	v_cmp_le_i32_e32 vcc, s25, v6
	s_and_saveexec_b64 s[36:37], vcc
	s_xor_b64 s[36:37], exec, s[36:37]
	s_cbranch_execz .LBB120_45
; %bb.44:
	v_mul_u32_u24_e32 v6, 33, v6
	v_add_lshl_u32 v15, v6, v0, 3
	v_mov_b32_e32 v6, 0
	v_mov_b32_e32 v7, v6
	ds_write_b64 v15, v[6:7]
.LBB120_45:
	s_andn2_saveexec_b64 s[36:37], s[36:37]
	s_cbranch_execz .LBB120_47
; %bb.46:
	s_lshl_b64 s[38:39], s[40:41], 6
	v_mov_b32_e32 v7, s39
	v_add_co_u32_e32 v6, vcc, s38, v4
	v_addc_co_u32_e32 v7, vcc, v5, v7, vcc
	global_load_dwordx2 v[6:7], v[6:7], off
	s_waitcnt vmcnt(0)
	ds_write_b64 v14, v[6:7] offset:2112
.LBB120_47:
	s_or_b64 exec, exec, s[36:37]
	v_add_u32_e32 v6, 16, v8
	v_cmp_le_i32_e32 vcc, s25, v6
	s_and_saveexec_b64 s[36:37], vcc
	s_xor_b64 s[36:37], exec, s[36:37]
	s_cbranch_execz .LBB120_49
; %bb.48:
	v_mov_b32_e32 v6, 0
	v_mov_b32_e32 v7, v6
	ds_write_b64 v14, v[6:7] offset:4224
.LBB120_49:
	s_andn2_saveexec_b64 s[36:37], s[36:37]
	s_cbranch_execz .LBB120_51
; %bb.50:
	s_lshl_b64 s[38:39], s[40:41], 7
	v_mov_b32_e32 v7, s39
	v_add_co_u32_e32 v6, vcc, s38, v4
	v_addc_co_u32_e32 v7, vcc, v5, v7, vcc
	global_load_dwordx2 v[6:7], v[6:7], off
	s_waitcnt vmcnt(0)
	ds_write_b64 v14, v[6:7] offset:4224
.LBB120_51:
	s_or_b64 exec, exec, s[36:37]
	v_add_u32_e32 v6, 24, v8
	v_cmp_le_i32_e32 vcc, s25, v6
	s_and_saveexec_b64 s[36:37], vcc
	s_xor_b64 s[36:37], exec, s[36:37]
	s_cbranch_execz .LBB120_53
; %bb.52:
	v_mov_b32_e32 v6, 0
	v_mov_b32_e32 v7, v6
	ds_write_b64 v14, v[6:7] offset:6336
                                        ; implicit-def: $vgpr14
.LBB120_53:
	s_andn2_saveexec_b64 s[36:37], s[36:37]
	s_cbranch_execz .LBB120_55
; %bb.54:
	v_mov_b32_e32 v6, 0xc0
	v_mad_u64_u32 v[6:7], s[38:39], s40, v6, v[4:5]
	s_mul_i32 s25, s41, 0xc0
	v_add_u32_e32 v7, s25, v7
	global_load_dwordx2 v[6:7], v[6:7], off
	s_waitcnt vmcnt(0)
	ds_write_b64 v14, v[6:7] offset:6336
.LBB120_55:
	s_or_b64 exec, exec, s[36:37]
	v_add_co_u32_e32 v3, vcc, v4, v3
	v_addc_co_u32_e32 v4, vcc, 0, v5, vcc
	v_mov_b32_e32 v5, s35
	v_subrev_co_u32_e32 v3, vcc, s34, v3
	v_subb_co_u32_e32 v4, vcc, v4, v5, vcc
	v_add_co_u32_e32 v3, vcc, 0x108, v3
	v_addc_co_u32_e32 v4, vcc, 0, v4, vcc
	v_cndmask_b32_e64 v1, v4, v1, s[18:19]
	v_cndmask_b32_e64 v2, v3, v2, s[18:19]
.LBB120_56:
	v_add_u32_e32 v6, 0x2380, v13
	s_lshl_b64 s[18:19], s[40:41], 5
	s_waitcnt lgkmcnt(0)
	s_barrier
	s_and_saveexec_b64 s[34:35], s[8:9]
	s_cbranch_execnz .LBB120_65
; %bb.57:
	s_or_b64 exec, exec, s[34:35]
	s_and_saveexec_b64 s[8:9], s[10:11]
	s_cbranch_execnz .LBB120_66
.LBB120_58:
	s_or_b64 exec, exec, s[8:9]
	s_and_saveexec_b64 s[8:9], s[12:13]
	s_cbranch_execnz .LBB120_67
.LBB120_59:
	s_or_b64 exec, exec, s[8:9]
	s_and_saveexec_b64 s[8:9], s[14:15]
	s_cbranch_execz .LBB120_61
.LBB120_60:
	ds_read_b64 v[4:5], v9
	s_waitcnt lgkmcnt(0)
	ds_write_b64 v12, v[4:5] offset:24
.LBB120_61:
	s_or_b64 exec, exec, s[8:9]
	s_waitcnt lgkmcnt(0)
	s_barrier
	ds_read_b64 v[4:5], v11
	ds_read_b128 v[30:33], v6 offset:256
	ds_read2_b64 v[34:37], v10 offset1:33
	ds_read_b64 v[10:11], v9
	ds_read_b128 v[38:41], v6 offset:272
	v_cmp_eq_u32_e64 s[8:9], 1, v8
	s_waitcnt lgkmcnt(3)
	v_pk_mul_f32 v[14:15], v[30:31], v[4:5] op_sel:[0,1]
	v_pk_fma_f32 v[24:25], v[30:31], v[4:5], v[14:15] op_sel:[0,0,1] op_sel_hi:[1,1,0] neg_lo:[0,0,1] neg_hi:[0,0,1]
	v_pk_fma_f32 v[4:5], v[30:31], v[4:5], v[14:15] op_sel:[0,0,1] op_sel_hi:[1,0,0]
	v_mov_b32_e32 v25, v5
	s_waitcnt lgkmcnt(2)
	v_pk_mul_f32 v[14:15], v[32:33], v[34:35] op_sel:[0,1]
	v_pk_add_f32 v[4:5], v[24:25], 0 op_sel_hi:[1,0]
	v_pk_fma_f32 v[24:25], v[32:33], v[34:35], v[14:15] op_sel:[0,0,1] op_sel_hi:[1,1,0] neg_lo:[0,0,1] neg_hi:[0,0,1]
	v_pk_fma_f32 v[14:15], v[32:33], v[34:35], v[14:15] op_sel:[0,0,1] op_sel_hi:[1,0,0]
	v_mov_b32_e32 v25, v15
	s_waitcnt lgkmcnt(0)
	v_pk_mul_f32 v[14:15], v[38:39], v[36:37] op_sel:[0,1]
	v_pk_add_f32 v[4:5], v[4:5], v[24:25]
	v_pk_fma_f32 v[24:25], v[38:39], v[36:37], v[14:15] op_sel:[0,0,1] op_sel_hi:[1,1,0] neg_lo:[0,0,1] neg_hi:[0,0,1]
	v_pk_fma_f32 v[14:15], v[38:39], v[36:37], v[14:15] op_sel:[0,0,1] op_sel_hi:[1,0,0]
	v_mov_b32_e32 v25, v15
	v_pk_mul_f32 v[14:15], v[40:41], v[10:11] op_sel:[0,1]
	v_pk_add_f32 v[4:5], v[4:5], v[24:25]
	v_pk_fma_f32 v[24:25], v[40:41], v[10:11], v[14:15] op_sel:[0,0,1] op_sel_hi:[1,1,0] neg_lo:[0,0,1] neg_hi:[0,0,1]
	v_pk_fma_f32 v[10:11], v[40:41], v[10:11], v[14:15] op_sel:[0,0,1] op_sel_hi:[1,0,0]
	v_mov_b32_e32 v25, v11
	v_pk_add_f32 v[4:5], v[4:5], v[24:25]
	s_barrier
	ds_write_b64 v29, v[4:5]
	s_waitcnt lgkmcnt(0)
	s_barrier
	s_and_saveexec_b64 s[10:11], s[8:9]
	s_cbranch_execz .LBB120_63
; %bb.62:
	v_lshlrev_b32_e32 v3, 3, v28
	ds_read2_b64 v[30:33], v3 offset1:7
	ds_read2_b64 v[34:37], v3 offset0:1 offset1:2
	ds_read2_b64 v[38:41], v3 offset0:3 offset1:4
	s_waitcnt lgkmcnt(1)
	v_add_f32_e32 v4, v34, v30
	v_add_f32_e32 v5, v35, v31
	;; [unrolled: 1-line block ×4, first 2 shown]
	ds_read2_b64 v[34:37], v3 offset0:5 offset1:6
	s_waitcnt lgkmcnt(1)
	v_add_f32_e32 v3, v4, v38
	v_add_f32_e32 v4, v5, v39
	;; [unrolled: 1-line block ×4, first 2 shown]
	s_waitcnt lgkmcnt(0)
	v_add_f32_e32 v4, v3, v34
	v_add_f32_e32 v5, v5, v35
	v_pk_add_f32 v[4:5], v[4:5], v[36:37]
	v_pk_add_f32 v[18:19], v[4:5], v[32:33]
.LBB120_63:
	s_or_b64 exec, exec, s[10:11]
	s_lshl_b64 s[10:11], s[18:19], 3
	v_mov_b32_e32 v3, s11
	v_subrev_co_u32_e64 v24, s[10:11], s10, v2
	s_and_b64 vcc, exec, s[16:17]
	v_subb_co_u32_e64 v25, s[10:11], v1, v3, s[10:11]
	s_barrier
	s_cbranch_vccnz .LBB120_68
; %bb.64:
	s_lshl_b64 s[10:11], s[40:41], 6
	v_mov_b32_e32 v1, s11
	v_add_co_u32_e32 v2, vcc, s10, v24
	v_addc_co_u32_e32 v3, vcc, v25, v1, vcc
	v_add_co_u32_e32 v4, vcc, s10, v2
	v_addc_co_u32_e32 v5, vcc, v3, v1, vcc
	v_mov_b32_e32 v1, 0xc0
	v_mad_u64_u32 v[10:11], s[10:11], s40, v1, v[24:25]
	s_mul_i32 s10, s41, 0xc0
	v_add_u32_e32 v11, s10, v11
	global_load_dwordx2 v[14:15], v[24:25], off
	global_load_dwordx2 v[30:31], v[2:3], off
	;; [unrolled: 1-line block ×4, first 2 shown]
	v_mad_u32_u24 v1, v8, 33, v0
	v_add_u32_e32 v4, 8, v8
	v_add_u32_e32 v5, 16, v8
	;; [unrolled: 1-line block ×3, first 2 shown]
	v_lshlrev_b32_e32 v7, 3, v1
	v_add_u32_e32 v2, 0x108, v1
	v_add_u32_e32 v3, 0x210, v1
	;; [unrolled: 1-line block ×3, first 2 shown]
	s_waitcnt vmcnt(3)
	ds_write_b64 v7, v[14:15]
	s_waitcnt vmcnt(2)
	ds_write_b64 v7, v[30:31] offset:2112
	s_waitcnt vmcnt(1)
	ds_write_b64 v7, v[32:33] offset:4224
	;; [unrolled: 2-line block ×3, first 2 shown]
	s_cbranch_execz .LBB120_69
	s_branch .LBB120_84
.LBB120_65:
	ds_read_b64 v[4:5], v11
	s_waitcnt lgkmcnt(0)
	ds_write_b64 v12, v[4:5]
	s_or_b64 exec, exec, s[34:35]
	s_and_saveexec_b64 s[8:9], s[10:11]
	s_cbranch_execz .LBB120_58
.LBB120_66:
	ds_read_b64 v[4:5], v10
	s_waitcnt lgkmcnt(0)
	ds_write_b64 v12, v[4:5] offset:8
	s_or_b64 exec, exec, s[8:9]
	s_and_saveexec_b64 s[8:9], s[12:13]
	s_cbranch_execz .LBB120_59
.LBB120_67:
	ds_read_b64 v[4:5], v10 offset:264
	s_waitcnt lgkmcnt(0)
	ds_write_b64 v12, v[4:5] offset:16
	s_or_b64 exec, exec, s[8:9]
	s_and_saveexec_b64 s[8:9], s[14:15]
	s_cbranch_execnz .LBB120_60
	s_branch .LBB120_61
.LBB120_68:
                                        ; implicit-def: $vgpr1
                                        ; implicit-def: $vgpr4
                                        ; implicit-def: $vgpr2
                                        ; implicit-def: $vgpr5
                                        ; implicit-def: $vgpr3
                                        ; implicit-def: $vgpr9
                                        ; implicit-def: $vgpr10
.LBB120_69:
	v_lshlrev_b32_e32 v7, 3, v0
	v_sub_co_u32_e32 v2, vcc, v24, v7
	s_ashr_i32 s25, s24, 31
	v_subbrev_co_u32_e32 v3, vcc, 0, v25, vcc
	s_lshl_b64 s[12:13], s[24:25], 3
	v_mov_b32_e32 v4, s13
	v_add_co_u32_e32 v2, vcc, s12, v2
	v_addc_co_u32_e32 v3, vcc, v3, v4, vcc
	v_or_b32_e32 v1, 32, v0
	v_add_co_u32_e32 v2, vcc, 0xfffffef8, v2
	v_addc_co_u32_e32 v3, vcc, -1, v3, vcc
	v_cmp_gt_i32_e64 s[10:11], s24, v1
	v_mov_b32_e32 v4, 0
	v_cndmask_b32_e64 v3, v3, v25, s[10:11]
	v_cndmask_b32_e64 v2, v2, v24, s[10:11]
	v_cmp_gt_i32_e32 vcc, s24, v8
	v_mov_b32_e32 v5, v4
	s_and_saveexec_b64 s[14:15], vcc
	s_cbranch_execz .LBB120_71
; %bb.70:
	global_load_dwordx2 v[4:5], v[2:3], off
.LBB120_71:
	s_or_b64 exec, exec, s[14:15]
	v_mad_u32_u24 v1, v8, 33, v0
	v_lshlrev_b32_e32 v11, 3, v1
	s_waitcnt vmcnt(0)
	ds_write_b64 v11, v[4:5]
	v_add_u32_e32 v4, 8, v8
	v_cmp_le_i32_e32 vcc, s24, v4
	s_and_saveexec_b64 s[14:15], vcc
	s_xor_b64 s[14:15], exec, s[14:15]
	s_cbranch_execz .LBB120_73
; %bb.72:
	v_mul_u32_u24_e32 v5, 33, v4
	v_mov_b32_e32 v14, 0
	v_add_lshl_u32 v5, v5, v0, 3
	v_mov_b32_e32 v15, v14
	ds_write_b64 v5, v[14:15]
.LBB120_73:
	s_andn2_saveexec_b64 s[14:15], s[14:15]
	s_cbranch_execz .LBB120_75
; %bb.74:
	s_lshl_b64 s[16:17], s[40:41], 6
	v_mov_b32_e32 v5, s17
	v_add_co_u32_e32 v14, vcc, s16, v2
	v_addc_co_u32_e32 v15, vcc, v3, v5, vcc
	global_load_dwordx2 v[14:15], v[14:15], off
	s_waitcnt vmcnt(0)
	ds_write_b64 v11, v[14:15] offset:2112
.LBB120_75:
	s_or_b64 exec, exec, s[14:15]
	v_add_u32_e32 v5, 16, v8
	v_cmp_le_i32_e32 vcc, s24, v5
	s_and_saveexec_b64 s[14:15], vcc
	s_xor_b64 s[14:15], exec, s[14:15]
	s_cbranch_execz .LBB120_77
; %bb.76:
	v_mul_u32_u24_e32 v9, 33, v5
	v_mov_b32_e32 v14, 0
	v_add_lshl_u32 v0, v9, v0, 3
	v_mov_b32_e32 v15, v14
	ds_write_b64 v0, v[14:15]
.LBB120_77:
	s_andn2_saveexec_b64 s[14:15], s[14:15]
	s_cbranch_execz .LBB120_79
; %bb.78:
	s_lshl_b64 s[16:17], s[40:41], 7
	v_mov_b32_e32 v0, s17
	v_add_co_u32_e32 v14, vcc, s16, v2
	v_addc_co_u32_e32 v15, vcc, v3, v0, vcc
	global_load_dwordx2 v[14:15], v[14:15], off
	s_waitcnt vmcnt(0)
	ds_write_b64 v11, v[14:15] offset:4224
.LBB120_79:
	s_or_b64 exec, exec, s[14:15]
	v_add_u32_e32 v9, 24, v8
	v_cmp_le_i32_e32 vcc, s24, v9
                                        ; implicit-def: $vgpr10
	s_and_saveexec_b64 s[14:15], vcc
	s_xor_b64 s[14:15], exec, s[14:15]
	s_cbranch_execz .LBB120_81
; %bb.80:
	v_mov_b32_e32 v14, 0
	v_add_u32_e32 v10, 0x318, v1
	v_mov_b32_e32 v15, v14
	ds_write_b64 v11, v[14:15] offset:6336
                                        ; implicit-def: $vgpr11
.LBB120_81:
	s_andn2_saveexec_b64 s[14:15], s[14:15]
	s_cbranch_execz .LBB120_83
; %bb.82:
	v_mov_b32_e32 v0, 0xc0
	v_mad_u64_u32 v[14:15], s[16:17], s40, v0, v[2:3]
	s_mul_i32 s16, s41, 0xc0
	v_add_u32_e32 v15, s16, v15
	global_load_dwordx2 v[14:15], v[14:15], off
	v_add_u32_e32 v10, 0x318, v1
	s_waitcnt vmcnt(0)
	ds_write_b64 v11, v[14:15] offset:6336
.LBB120_83:
	s_or_b64 exec, exec, s[14:15]
	v_add_co_u32_e32 v0, vcc, v2, v7
	v_addc_co_u32_e32 v2, vcc, 0, v3, vcc
	v_mov_b32_e32 v3, s13
	v_subrev_co_u32_e32 v0, vcc, s12, v0
	v_subb_co_u32_e32 v2, vcc, v2, v3, vcc
	v_add_co_u32_e32 v0, vcc, 0x108, v0
	v_addc_co_u32_e32 v2, vcc, 0, v2, vcc
	v_cndmask_b32_e64 v25, v2, v25, s[10:11]
	v_cndmask_b32_e64 v24, v0, v24, s[10:11]
	v_add_u32_e32 v2, 0x108, v1
	v_add_u32_e32 v3, 0x210, v1
.LBB120_84:
	v_lshlrev_b32_e32 v0, 3, v1
	s_waitcnt lgkmcnt(0)
	s_barrier
	ds_read_b64 v[30:31], v0
	v_lshlrev_b32_e32 v7, 3, v8
	v_lshlrev_b32_e32 v13, 3, v2
	v_lshlrev_b32_e32 v4, 3, v4
	v_lshlrev_b32_e32 v0, 3, v3
	v_lshlrev_b32_e32 v44, 3, v5
	v_lshlrev_b32_e32 v42, 3, v10
	v_lshlrev_b32_e32 v40, 3, v9
	ds_read_b64 v[32:33], v0
	ds_read2_b64 v[8:11], v12 offset1:1
	ds_read2_b64 v[0:3], v12 offset0:2 offset1:3
	ds_read_b64 v[34:35], v4 offset:9088
	ds_read_b64 v[36:37], v13
	ds_read_b64 v[38:39], v7 offset:9088
	ds_read_b128 v[12:15], v6 offset:256
	ds_read_b128 v[4:7], v6 offset:272
	ds_read_b64 v[40:41], v40 offset:9088
	ds_read_b64 v[42:43], v42
	ds_read_b64 v[44:45], v44 offset:9088
	s_waitcnt lgkmcnt(5)
	v_pk_mul_f32 v[46:47], v[38:39], v[30:31] op_sel:[0,1]
	v_pk_fma_f32 v[48:49], v[38:39], v[30:31], v[46:47] op_sel:[0,0,1] op_sel_hi:[1,1,0] neg_lo:[0,0,1] neg_hi:[0,0,1]
	v_pk_fma_f32 v[30:31], v[38:39], v[30:31], v[46:47] op_sel:[0,0,1] op_sel_hi:[1,0,0]
	v_pk_mul_f32 v[38:39], v[34:35], v[36:37] op_sel:[0,1]
	v_pk_fma_f32 v[46:47], v[34:35], v[36:37], v[38:39] op_sel:[0,0,1] op_sel_hi:[1,1,0] neg_lo:[0,0,1] neg_hi:[0,0,1]
	v_pk_fma_f32 v[34:35], v[34:35], v[36:37], v[38:39] op_sel:[0,0,1] op_sel_hi:[1,0,0]
	v_mov_b32_e32 v47, v35
	s_waitcnt lgkmcnt(0)
	v_pk_mul_f32 v[34:35], v[44:45], v[32:33] op_sel:[0,1]
	v_mov_b32_e32 v49, v31
	v_pk_fma_f32 v[36:37], v[44:45], v[32:33], v[34:35] op_sel:[0,0,1] op_sel_hi:[1,1,0] neg_lo:[0,0,1] neg_hi:[0,0,1]
	v_pk_fma_f32 v[32:33], v[44:45], v[32:33], v[34:35] op_sel:[0,0,1] op_sel_hi:[1,0,0]
	v_pk_add_f32 v[30:31], v[48:49], 0 op_sel_hi:[1,0]
	v_mov_b32_e32 v37, v33
	v_pk_mul_f32 v[32:33], v[40:41], v[42:43] op_sel:[0,1]
	v_pk_add_f32 v[30:31], v[30:31], v[46:47]
	v_pk_fma_f32 v[34:35], v[40:41], v[42:43], v[32:33] op_sel:[0,0,1] op_sel_hi:[1,1,0] neg_lo:[0,0,1] neg_hi:[0,0,1]
	v_pk_fma_f32 v[32:33], v[40:41], v[42:43], v[32:33] op_sel:[0,0,1] op_sel_hi:[1,0,0]
	v_pk_add_f32 v[30:31], v[30:31], v[36:37]
	v_mov_b32_e32 v35, v33
	v_pk_add_f32 v[30:31], v[30:31], v[34:35]
	s_barrier
	ds_write_b64 v29, v[30:31]
	s_waitcnt lgkmcnt(0)
	s_barrier
	s_and_saveexec_b64 s[10:11], s[8:9]
	s_cbranch_execz .LBB120_86
; %bb.85:
	v_lshlrev_b32_e32 v42, 3, v28
	ds_read2_b64 v[30:33], v42 offset1:1
	ds_read2_b64 v[34:37], v42 offset0:2 offset1:3
	ds_read2_b64 v[38:41], v42 offset0:4 offset1:5
	s_waitcnt lgkmcnt(2)
	v_pk_add_f32 v[18:19], v[18:19], v[30:31]
	v_pk_add_f32 v[18:19], v[18:19], v[32:33]
	ds_read2_b64 v[30:33], v42 offset0:6 offset1:7
	s_waitcnt lgkmcnt(2)
	v_pk_add_f32 v[18:19], v[18:19], v[34:35]
	v_pk_add_f32 v[18:19], v[18:19], v[36:37]
	s_waitcnt lgkmcnt(1)
	v_pk_add_f32 v[18:19], v[18:19], v[38:39]
	v_pk_add_f32 v[18:19], v[18:19], v[40:41]
	;; [unrolled: 3-line block ×3, first 2 shown]
.LBB120_86:
	s_or_b64 exec, exec, s[10:11]
	v_pk_mul_f32 v[30:31], v[12:13], v[8:9] op_sel:[0,1]
	v_pk_fma_f32 v[32:33], v[12:13], v[8:9], v[30:31] op_sel:[0,0,1] op_sel_hi:[1,1,0] neg_lo:[0,0,1] neg_hi:[0,0,1]
	v_pk_fma_f32 v[8:9], v[12:13], v[8:9], v[30:31] op_sel:[0,0,1] op_sel_hi:[1,0,0]
	v_mov_b32_e32 v12, v11
	v_pk_mul_f32 v[12:13], v[14:15], v[12:13] op_sel_hi:[1,0]
	v_pk_fma_f32 v[30:31], v[14:15], v[10:11], v[12:13] op_sel:[0,0,1] op_sel_hi:[1,1,0] neg_lo:[0,0,1] neg_hi:[0,0,1]
	v_pk_fma_f32 v[10:11], v[14:15], v[10:11], v[12:13] op_sel:[0,0,1] op_sel_hi:[1,0,0]
	v_mov_b32_e32 v33, v9
	v_mov_b32_e32 v31, v11
	v_pk_mul_f32 v[10:11], v[4:5], v[0:1] op_sel:[0,1]
	v_pk_add_f32 v[8:9], v[32:33], 0 op_sel_hi:[1,0]
	v_pk_fma_f32 v[12:13], v[4:5], v[0:1], v[10:11] op_sel:[0,0,1] op_sel_hi:[1,1,0] neg_lo:[0,0,1] neg_hi:[0,0,1]
	v_pk_fma_f32 v[0:1], v[4:5], v[0:1], v[10:11] op_sel:[0,0,1] op_sel_hi:[1,0,0]
	v_mov_b32_e32 v4, v3
	v_pk_add_f32 v[8:9], v[8:9], v[30:31]
	v_mov_b32_e32 v13, v1
	v_pk_mul_f32 v[4:5], v[6:7], v[4:5] op_sel_hi:[1,0]
	v_pk_add_f32 v[0:1], v[8:9], v[12:13]
	v_pk_fma_f32 v[8:9], v[6:7], v[2:3], v[4:5] op_sel:[0,0,1] op_sel_hi:[1,1,0] neg_lo:[0,0,1] neg_hi:[0,0,1]
	v_pk_fma_f32 v[2:3], v[6:7], v[2:3], v[4:5] op_sel:[0,0,1] op_sel_hi:[1,0,0]
	v_mov_b32_e32 v9, v3
	v_pk_add_f32 v[0:1], v[0:1], v[8:9]
	s_barrier
	ds_write_b64 v29, v[0:1]
	s_waitcnt lgkmcnt(0)
	s_barrier
	s_and_saveexec_b64 s[8:9], s[20:21]
	s_cbranch_execz .LBB120_88
; %bb.87:
	v_lshlrev_b32_e32 v14, 3, v28
	ds_read2_b64 v[0:3], v14 offset1:1
	ds_read2_b64 v[4:7], v14 offset0:2 offset1:3
	ds_read2_b64 v[8:11], v14 offset0:4 offset1:5
	s_waitcnt lgkmcnt(2)
	v_pk_add_f32 v[0:1], v[18:19], v[0:1]
	v_pk_add_f32 v[12:13], v[0:1], v[2:3]
	ds_read2_b64 v[0:3], v14 offset0:6 offset1:7
	s_waitcnt lgkmcnt(2)
	v_pk_add_f32 v[4:5], v[12:13], v[4:5]
	v_pk_add_f32 v[4:5], v[4:5], v[6:7]
	s_waitcnt lgkmcnt(1)
	v_pk_add_f32 v[4:5], v[4:5], v[8:9]
	v_pk_add_f32 v[4:5], v[4:5], v[10:11]
	s_waitcnt lgkmcnt(0)
	v_pk_add_f32 v[0:1], v[4:5], v[0:1]
	v_pk_add_f32 v[18:19], v[0:1], v[2:3]
.LBB120_88:
	s_or_b64 exec, exec, s[8:9]
	s_load_dwordx2 s[4:5], s[4:5], 0x68
	s_mul_hi_u32 s8, s33, s7
	s_mul_i32 s44, s44, s7
	s_add_i32 s8, s8, s44
	s_mul_i32 s7, s33, s7
	s_mul_i32 s8, s8, s52
	s_mul_hi_u32 s9, s7, s52
	s_add_i32 s9, s9, s8
	s_mul_i32 s8, s7, s52
	s_lshl_b64 s[8:9], s[8:9], 3
	s_waitcnt lgkmcnt(0)
	s_add_u32 s7, s4, s8
	s_mul_i32 s4, s6, s33
	s_addc_u32 s8, s5, s9
	s_ashr_i32 s5, s4, 31
	s_lshl_b64 s[4:5], s[4:5], 3
	s_add_u32 s7, s7, s4
	v_cmp_le_i32_e32 vcc, s24, v26
	s_addc_u32 s20, s8, s5
	s_and_b64 vcc, s[30:31], vcc
	s_cmp_lt_i32 s6, 1
	v_lshlrev_b32_e32 v73, 3, v26
	s_barrier
	s_cbranch_scc1 .LBB120_95
; %bb.89:
	s_mul_i32 s4, s26, s49
	s_mul_hi_u32 s5, s26, s48
	s_add_i32 s4, s5, s4
	s_mul_i32 s5, s27, s48
	s_add_i32 s5, s4, s5
	s_mul_i32 s4, s26, s48
	s_lshl_b64 s[4:5], s[4:5], 3
	v_mov_b32_e32 v0, s5
	v_subrev_co_u32_e64 v74, s[4:5], s4, v20
	v_subb_co_u32_e64 v75, s[4:5], v21, v0, s[4:5]
	v_mov_b32_e32 v0, s29
	v_subrev_co_u32_e64 v1, s[4:5], s28, v24
	v_subb_co_u32_e64 v0, s[4:5], v25, v0, s[4:5]
	v_lshlrev_b32_e32 v3, 2, v72
	v_sub_co_u32_e64 v6, s[4:5], v1, v22
	v_subb_co_u32_e64 v7, s[4:5], v0, v23, s[4:5]
	v_mad_u64_u32 v[0:1], s[4:5], v3, s40, 0
	v_mov_b32_e32 v2, v1
	v_mad_u64_u32 v[2:3], s[4:5], v3, s41, v[2:3]
	v_mov_b32_e32 v1, v2
	v_lshlrev_b64 v[0:1], 3, v[0:1]
	v_add_co_u32_e64 v0, s[4:5], v6, v0
	v_addc_co_u32_e64 v1, s[4:5], v7, v1, s[4:5]
	s_ashr_i32 s25, s24, 31
	s_lshl_b64 s[4:5], s[24:25], 3
	v_mov_b32_e32 v2, s5
	v_add_co_u32_e64 v3, s[4:5], s4, v0
	v_addc_co_u32_e64 v2, s[4:5], v1, v2, s[4:5]
	s_movk_i32 s4, 0xfef8
	v_add_co_u32_e64 v3, s[4:5], s4, v3
	v_addc_co_u32_e64 v2, s[4:5], -1, v2, s[4:5]
	v_add_co_u32_e64 v0, s[4:5], v0, v73
	v_addc_co_u32_e64 v1, s[4:5], 0, v1, s[4:5]
	s_movk_i32 s4, 0xff00
	v_add_co_u32_e64 v0, s[4:5], s4, v0
	v_addc_co_u32_e64 v1, s[4:5], -1, v1, s[4:5]
	v_cndmask_b32_e32 v14, v0, v3, vcc
	v_and_b32_e32 v0, 48, v26
	v_and_b32_e32 v4, 15, v26
	v_cndmask_b32_e32 v15, v1, v2, vcc
	v_lshlrev_b32_e32 v1, 3, v0
	s_movk_i32 s8, 0x218
	v_lshrrev_b32_e32 v5, 4, v27
	v_mad_u32_u24 v78, v4, s8, v1
	v_or_b32_e32 v1, 0x78, v73
	v_mad_u32_u24 v79, v4, s8, v1
	v_lshlrev_b32_e32 v1, 5, v5
	v_mad_u32_u24 v80, v4, s8, v1
	v_mov_b32_e32 v1, 0x2180
	v_lshl_add_u32 v81, v72, 5, v1
	s_movk_i32 s9, 0x860
	v_lshlrev_b32_e32 v1, 3, v5
	v_mad_u32_u24 v82, v72, s9, v73
	v_mad_u32_u24 v83, v4, s8, v1
	s_mul_i32 s8, s41, 24
	s_mul_hi_u32 s9, s40, 24
	s_add_i32 s8, s9, s8
	s_mul_i32 s9, s41, 0x90
	s_mul_hi_u32 s16, s40, 0x90
	s_add_i32 s9, s16, s9
	;; [unrolled: 3-line block ×10, first 2 shown]
	s_mul_i32 s16, s41, 0x88
	s_mul_hi_u32 s17, s40, 0x88
	s_lshl_b64 s[10:11], s[40:41], 3
	s_lshl_b64 s[14:15], s[40:41], 4
	s_add_i32 s44, s17, s16
	s_lshl_b64 s[16:17], s[40:41], 7
	v_mov_b32_e32 v13, 0
	v_add_u32_e32 v76, 0x2180, v73
	v_add_u32_e32 v77, 0x2380, v73
	v_cmp_gt_u32_e64 s[4:5], 64, v27
	s_lshl_b64 s[12:13], s[40:41], 9
	s_mul_i32 s21, s40, 24
	s_mul_i32 s24, s40, 0x90
	;; [unrolled: 1-line block ×11, first 2 shown]
	v_or_b32_e32 v84, v0, v4
	s_mov_b32 s35, 0
	v_mov_b32_e32 v85, s11
	v_mov_b32_e32 v86, s15
	;; [unrolled: 1-line block ×15, first 2 shown]
	s_branch .LBB120_91
.LBB120_90:                             ;   in Loop: Header=BB120_91 Depth=1
	s_or_b64 exec, exec, s[18:19]
	v_mul_f32_e32 v12, v29, v21
	v_fma_f32 v12, v28, v20, -v12
	v_add_f32_e32 v12, v18, v12
	v_mul_f32_e32 v18, v43, v23
	v_fma_f32 v18, v42, v22, -v18
	v_add_f32_e32 v12, v12, v18
	v_mul_f32_e32 v18, v41, v25
	v_fma_f32 v18, v40, v24, -v18
	v_mul_f32_e32 v20, v29, v20
	v_add_f32_e32 v12, v12, v18
	v_mul_f32_e32 v18, v39, v27
	v_mul_f32_e32 v22, v43, v22
	v_fma_f32 v18, v38, v26, -v18
	v_fmac_f32_e32 v20, v28, v21
	v_mul_f32_e32 v24, v41, v24
	v_add_f32_e32 v12, v12, v18
	v_add_f32_e32 v18, v19, v20
	v_fmac_f32_e32 v22, v42, v23
	v_mul_f32_e32 v26, v39, v26
	v_add_f32_e32 v18, v18, v22
	v_fmac_f32_e32 v24, v40, v25
	v_add_f32_e32 v18, v18, v24
	v_fmac_f32_e32 v26, v38, v27
	v_add_f32_e32 v19, v18, v26
	v_mul_f32_e32 v18, v51, v35
	v_fma_f32 v18, v50, v34, -v18
	v_add_f32_e32 v12, v12, v18
	v_mul_f32_e32 v18, v59, v33
	v_fma_f32 v18, v58, v32, -v18
	v_mul_f32_e32 v24, v51, v34
	v_add_f32_e32 v18, v12, v18
	v_mul_f32_e32 v12, v55, v31
	v_mul_f32_e32 v25, v59, v32
	v_fma_f32 v20, v54, v30, -v12
	v_mul_f32_e32 v12, v57, v37
	v_fmac_f32_e32 v24, v50, v35
	v_mul_f32_e32 v21, v55, v30
	v_fma_f32 v22, v56, v36, -v12
	v_add_f32_e32 v12, v19, v24
	v_fmac_f32_e32 v25, v58, v33
	v_mul_f32_e32 v23, v57, v36
	v_add_f32_e32 v19, v12, v25
	v_fmac_f32_e32 v21, v54, v31
	v_mov_b32_e32 v12, v53
	v_fmac_f32_e32 v23, v56, v37
	v_pk_add_f32 v[18:19], v[18:19], v[20:21]
	v_pk_mul_f32 v[20:21], v[70:71], v[12:13] op_sel_hi:[1,0]
	v_pk_add_f32 v[18:19], v[18:19], v[22:23]
	v_pk_fma_f32 v[22:23], v[70:71], v[52:53], v[20:21] op_sel:[0,0,1] op_sel_hi:[1,1,0] neg_lo:[0,0,1] neg_hi:[0,0,1]
	v_pk_fma_f32 v[20:21], v[70:71], v[52:53], v[20:21] op_sel:[0,0,1] op_sel_hi:[1,0,0]
	v_mov_b32_e32 v12, v49
	v_mov_b32_e32 v23, v21
	v_pk_mul_f32 v[20:21], v[8:9], v[12:13] op_sel_hi:[1,0]
	v_pk_add_f32 v[18:19], v[18:19], v[22:23]
	v_pk_fma_f32 v[22:23], v[8:9], v[48:49], v[20:21] op_sel:[0,0,1] op_sel_hi:[1,1,0] neg_lo:[0,0,1] neg_hi:[0,0,1]
	v_pk_fma_f32 v[8:9], v[8:9], v[48:49], v[20:21] op_sel:[0,0,1] op_sel_hi:[1,0,0]
	v_mov_b32_e32 v23, v9
	v_mov_b32_e32 v12, v47
	v_pk_add_f32 v[8:9], v[18:19], v[22:23]
	v_pk_mul_f32 v[18:19], v[10:11], v[12:13] op_sel_hi:[1,0]
	v_pk_fma_f32 v[20:21], v[10:11], v[46:47], v[18:19] op_sel:[0,0,1] op_sel_hi:[1,1,0] neg_lo:[0,0,1] neg_hi:[0,0,1]
	v_pk_fma_f32 v[10:11], v[10:11], v[46:47], v[18:19] op_sel:[0,0,1] op_sel_hi:[1,0,0]
	v_mov_b32_e32 v10, v45
	v_mov_b32_e32 v21, v11
	v_pk_mul_f32 v[10:11], v[68:69], v[10:11] op_sel_hi:[1,0]
	v_pk_fma_f32 v[18:19], v[68:69], v[44:45], v[10:11] op_sel:[0,0,1] op_sel_hi:[1,1,0] neg_lo:[0,0,1] neg_hi:[0,0,1]
	v_pk_fma_f32 v[10:11], v[68:69], v[44:45], v[10:11] op_sel:[0,0,1] op_sel_hi:[1,0,0]
	v_mov_b32_e32 v10, v67
	v_pk_add_f32 v[8:9], v[8:9], v[20:21]
	v_mov_b32_e32 v19, v11
	v_pk_mul_f32 v[10:11], v[0:1], v[10:11] op_sel_hi:[1,0]
	v_pk_add_f32 v[8:9], v[8:9], v[18:19]
	v_pk_fma_f32 v[18:19], v[0:1], v[66:67], v[10:11] op_sel:[0,0,1] op_sel_hi:[1,1,0] neg_lo:[0,0,1] neg_hi:[0,0,1]
	v_pk_fma_f32 v[0:1], v[0:1], v[66:67], v[10:11] op_sel:[0,0,1] op_sel_hi:[1,0,0]
	v_mov_b32_e32 v0, v65
	v_mov_b32_e32 v19, v1
	v_pk_mul_f32 v[0:1], v[6:7], v[0:1] op_sel_hi:[1,0]
	v_pk_fma_f32 v[10:11], v[6:7], v[64:65], v[0:1] op_sel:[0,0,1] op_sel_hi:[1,1,0] neg_lo:[0,0,1] neg_hi:[0,0,1]
	v_pk_fma_f32 v[0:1], v[6:7], v[64:65], v[0:1] op_sel:[0,0,1] op_sel_hi:[1,0,0]
	v_mov_b32_e32 v0, v61
	v_mov_b32_e32 v11, v1
	v_pk_mul_f32 v[0:1], v[4:5], v[0:1] op_sel_hi:[1,0]
	;; [unrolled: 5-line block ×3, first 2 shown]
	v_pk_fma_f32 v[4:5], v[2:3], v[62:63], v[0:1] op_sel:[0,0,1] op_sel_hi:[1,1,0] neg_lo:[0,0,1] neg_hi:[0,0,1]
	v_pk_fma_f32 v[0:1], v[2:3], v[62:63], v[0:1] op_sel:[0,0,1] op_sel_hi:[1,0,0]
	v_mov_b32_e32 v5, v1
	v_pk_add_f32 v[0:1], v[8:9], v[18:19]
	v_pk_add_f32 v[0:1], v[0:1], v[10:11]
	;; [unrolled: 1-line block ×4, first 2 shown]
	v_mov_b32_e32 v0, s13
	s_add_i32 s35, s35, 64
	s_add_i32 s6, s6, -1
	v_add_co_u32_e64 v14, s[8:9], s12, v14
	s_cmp_eq_u32 s6, 0
	v_addc_co_u32_e64 v15, s[8:9], v15, v0, s[8:9]
	s_barrier
	s_cbranch_scc1 .LBB120_95
.LBB120_91:                             ; =>This Inner Loop Header: Depth=1
	s_and_saveexec_b64 s[18:19], s[2:3]
	s_cbranch_execz .LBB120_93
; %bb.92:                               ;   in Loop: Header=BB120_91 Depth=1
	s_mul_i32 s8, s35, s49
	s_mul_hi_u32 s9, s35, s48
	s_add_i32 s9, s9, s8
	s_mul_i32 s8, s35, s48
	s_lshl_b64 s[8:9], s[8:9], 3
	v_mov_b32_e32 v1, s9
	v_add_co_u32_e64 v0, s[8:9], s8, v74
	v_addc_co_u32_e64 v1, s[8:9], v75, v1, s[8:9]
	global_load_dwordx2 v[0:1], v[0:1], off
	s_waitcnt vmcnt(0)
	ds_write_b64 v76, v[0:1]
.LBB120_93:                             ;   in Loop: Header=BB120_91 Depth=1
	s_or_b64 exec, exec, s[18:19]
	v_add_co_u32_e64 v0, s[8:9], s10, v14
	v_addc_co_u32_e64 v1, s[8:9], v15, v85, s[8:9]
	v_add_co_u32_e64 v2, s[8:9], s14, v14
	s_waitcnt lgkmcnt(0)
	s_barrier
	global_load_dwordx2 v[20:21], v[14:15], off
	v_addc_co_u32_e64 v3, s[8:9], v15, v86, s[8:9]
	global_load_dwordx2 v[22:23], v[0:1], off
	global_load_dwordx2 v[24:25], v[2:3], off
	v_add_co_u32_e64 v0, s[8:9], s21, v14
	v_addc_co_u32_e64 v1, s[8:9], v15, v87, s[8:9]
	global_load_dwordx2 v[26:27], v[0:1], off
	ds_read_b64 v[0:1], v77
	ds_read_b64 v[28:29], v81
	v_add_co_u32_e64 v8, s[8:9], s16, v14
	v_addc_co_u32_e64 v9, s[8:9], v15, v88, s[8:9]
	v_add_co_u32_e64 v10, s[8:9], s34, v14
	v_addc_co_u32_e64 v11, s[8:9], v15, v89, s[8:9]
	;; [unrolled: 2-line block ×3, first 2 shown]
	s_waitcnt vmcnt(3) lgkmcnt(1)
	v_mul_f32_e32 v2, v1, v21
	v_mul_f32_e32 v3, v1, v20
	v_fma_f32 v2, v0, v20, -v2
	v_fmac_f32_e32 v3, v0, v21
	s_waitcnt vmcnt(2)
	v_mul_f32_e32 v4, v1, v23
	v_mul_f32_e32 v5, v1, v22
	s_waitcnt vmcnt(1)
	v_mul_f32_e32 v6, v1, v25
	v_mul_f32_e32 v7, v1, v24
	ds_write_b64 v82, v[2:3]
	v_fma_f32 v4, v0, v22, -v4
	v_fmac_f32_e32 v5, v0, v23
	s_waitcnt vmcnt(0)
	v_mul_f32_e32 v12, v1, v27
	v_mul_f32_e32 v31, v0, v27
	v_fma_f32 v6, v0, v24, -v6
	v_fmac_f32_e32 v7, v0, v25
	ds_read_b64 v[42:43], v81 offset:8
	ds_write_b64 v82, v[4:5] offset:536
	v_fma_f32 v30, v0, v26, -v12
	v_fmac_f32_e32 v31, v1, v26
	ds_read_b64 v[40:41], v81 offset:16
	ds_write_b64 v82, v[6:7] offset:1072
	ds_read_b64 v[38:39], v81 offset:24
	ds_write_b64 v82, v[30:31] offset:1608
	s_waitcnt lgkmcnt(0)
	s_barrier
	ds_read2_b64 v[4:7], v80 offset1:1
	ds_read2_b64 v[0:3], v80 offset0:2 offset1:3
	s_waitcnt lgkmcnt(0)
	s_barrier
	global_load_dwordx2 v[34:35], v[8:9], off
	global_load_dwordx2 v[32:33], v[10:11], off
	;; [unrolled: 1-line block ×3, first 2 shown]
	v_add_co_u32_e64 v8, s[8:9], s25, v14
	v_addc_co_u32_e64 v9, s[8:9], v15, v91, s[8:9]
	global_load_dwordx2 v[36:37], v[8:9], off
	ds_read_b64 v[44:45], v77
	ds_read_b64 v[50:51], v81 offset:128
	v_add_co_u32_e64 v8, s[8:9], s22, v14
	v_addc_co_u32_e64 v9, s[8:9], v15, v92, s[8:9]
	v_add_co_u32_e64 v10, s[8:9], s33, v14
	v_addc_co_u32_e64 v11, s[8:9], v15, v93, s[8:9]
	;; [unrolled: 2-line block ×3, first 2 shown]
	v_pk_add_f32 v[4:5], v[4:5], 0 op_sel_hi:[1,0]
	v_pk_add_f32 v[4:5], v[4:5], v[6:7]
	v_pk_add_f32 v[0:1], v[4:5], v[0:1]
	s_waitcnt vmcnt(3) lgkmcnt(1)
	v_mul_f32_e32 v12, v45, v35
	v_mul_f32_e32 v47, v45, v34
	s_waitcnt vmcnt(2)
	v_mul_f32_e32 v48, v45, v33
	v_mul_f32_e32 v49, v45, v32
	v_fma_f32 v46, v44, v34, -v12
	v_fmac_f32_e32 v47, v44, v35
	s_waitcnt vmcnt(1)
	v_mul_f32_e32 v52, v45, v31
	v_mul_f32_e32 v53, v45, v30
	v_fma_f32 v48, v44, v32, -v48
	v_fmac_f32_e32 v49, v44, v33
	ds_write_b64 v82, v[46:47]
	s_waitcnt vmcnt(0)
	v_mul_f32_e32 v54, v45, v37
	v_mul_f32_e32 v63, v44, v37
	v_fma_f32 v52, v44, v30, -v52
	v_fmac_f32_e32 v53, v44, v31
	ds_read_b64 v[58:59], v81 offset:136
	ds_write_b64 v82, v[48:49] offset:536
	v_fma_f32 v62, v44, v36, -v54
	v_fmac_f32_e32 v63, v45, v36
	ds_read_b64 v[54:55], v81 offset:144
	ds_write_b64 v82, v[52:53] offset:1072
	ds_read_b64 v[56:57], v81 offset:152
	ds_write_b64 v82, v[62:63] offset:1608
	s_waitcnt lgkmcnt(0)
	s_barrier
	ds_read2_b64 v[100:103], v80 offset1:1
	ds_read2_b64 v[104:107], v80 offset0:2 offset1:3
	s_waitcnt lgkmcnt(0)
	s_barrier
	global_load_dwordx2 v[52:53], v[8:9], off
	global_load_dwordx2 v[48:49], v[10:11], off
	;; [unrolled: 1-line block ×3, first 2 shown]
	v_add_co_u32_e64 v8, s[8:9], s27, v14
	v_addc_co_u32_e64 v9, s[8:9], v15, v95, s[8:9]
	global_load_dwordx2 v[44:45], v[8:9], off
	ds_read_b64 v[8:9], v77
	ds_read_b64 v[70:71], v81 offset:256
	v_add_co_u32_e64 v62, s[8:9], s31, v14
	v_addc_co_u32_e64 v63, s[8:9], v15, v96, s[8:9]
	v_add_co_u32_e64 v116, s[8:9], s30, v14
	v_addc_co_u32_e64 v117, s[8:9], v15, v97, s[8:9]
	;; [unrolled: 2-line block ×3, first 2 shown]
	s_waitcnt vmcnt(3) lgkmcnt(1)
	v_mul_f32_e32 v10, v9, v53
	v_mul_f32_e32 v11, v9, v52
	s_waitcnt vmcnt(2)
	v_mul_f32_e32 v12, v9, v49
	v_mul_f32_e32 v61, v9, v48
	s_waitcnt vmcnt(1)
	v_mul_f32_e32 v64, v9, v47
	v_mul_f32_e32 v65, v9, v46
	v_fma_f32 v10, v8, v52, -v10
	s_waitcnt vmcnt(0)
	v_mul_f32_e32 v66, v9, v45
	v_mul_f32_e32 v67, v8, v45
	v_fma_f32 v60, v8, v48, -v12
	v_fmac_f32_e32 v11, v8, v53
	v_fmac_f32_e32 v61, v8, v49
	v_fma_f32 v64, v8, v46, -v64
	v_fma_f32 v66, v8, v44, -v66
	v_fmac_f32_e32 v65, v8, v47
	v_fmac_f32_e32 v67, v9, v44
	ds_write2_b64 v82, v[10:11], v[60:61] offset1:67
	ds_write2_b64 v82, v[64:65], v[66:67] offset0:134 offset1:201
	ds_read2_b64 v[8:11], v81 offset0:33 offset1:34
	ds_read_b64 v[68:69], v81 offset:280
	s_waitcnt lgkmcnt(0)
	s_barrier
	ds_read2_b64 v[108:111], v80 offset1:1
	ds_read2_b64 v[112:115], v80 offset0:2 offset1:3
	s_waitcnt lgkmcnt(0)
	s_barrier
	global_load_dwordx2 v[66:67], v[62:63], off
	global_load_dwordx2 v[64:65], v[116:117], off
	;; [unrolled: 1-line block ×3, first 2 shown]
	v_add_co_u32_e64 v62, s[8:9], s29, v14
	v_addc_co_u32_e64 v63, s[8:9], v15, v99, s[8:9]
	global_load_dwordx2 v[62:63], v[62:63], off
	v_pk_add_f32 v[116:117], v[0:1], v[2:3]
	v_pk_add_f32 v[0:1], v[100:101], 0 op_sel_hi:[1,0]
	v_pk_add_f32 v[0:1], v[0:1], v[102:103]
	v_pk_add_f32 v[0:1], v[0:1], v[104:105]
	;; [unrolled: 1-line block ×3, first 2 shown]
	ds_read_b64 v[2:3], v77
	ds_read_b64 v[0:1], v81 offset:384
	v_pk_add_f32 v[4:5], v[108:109], 0 op_sel_hi:[1,0]
	v_pk_add_f32 v[4:5], v[4:5], v[110:111]
	v_pk_add_f32 v[4:5], v[4:5], v[112:113]
	;; [unrolled: 1-line block ×3, first 2 shown]
	s_waitcnt vmcnt(3) lgkmcnt(1)
	v_mul_f32_e32 v4, v3, v67
	v_mul_f32_e32 v5, v3, v66
	s_waitcnt vmcnt(2)
	v_mul_f32_e32 v6, v3, v65
	v_mul_f32_e32 v101, v3, v64
	v_fma_f32 v4, v2, v66, -v4
	v_fmac_f32_e32 v5, v2, v67
	s_waitcnt vmcnt(1)
	v_mul_f32_e32 v7, v3, v61
	v_mul_f32_e32 v103, v3, v60
	v_fma_f32 v100, v2, v64, -v6
	v_fmac_f32_e32 v101, v2, v65
	ds_write_b64 v82, v[4:5]
	s_waitcnt vmcnt(0)
	v_mul_f32_e32 v12, v3, v63
	v_mul_f32_e32 v105, v2, v63
	v_fma_f32 v102, v2, v60, -v7
	v_fmac_f32_e32 v103, v2, v61
	ds_read_b64 v[6:7], v81 offset:392
	ds_write_b64 v82, v[100:101] offset:536
	v_fma_f32 v104, v2, v62, -v12
	v_fmac_f32_e32 v105, v3, v62
	ds_read_b64 v[4:5], v81 offset:400
	ds_write_b64 v82, v[102:103] offset:1072
	ds_read_b64 v[2:3], v81 offset:408
	ds_write_b64 v82, v[104:105] offset:1608
	s_waitcnt lgkmcnt(0)
	s_barrier
	ds_read2_b64 v[100:103], v80 offset1:1
	ds_read2_b64 v[104:107], v80 offset0:2 offset1:3
	s_waitcnt lgkmcnt(0)
	s_barrier
	v_pk_add_f32 v[100:101], v[100:101], 0 op_sel_hi:[1,0]
	v_pk_add_f32 v[100:101], v[100:101], v[102:103]
	v_pk_add_f32 v[100:101], v[100:101], v[104:105]
	;; [unrolled: 1-line block ×3, first 2 shown]
	ds_write2_b64 v83, v[116:117], v[118:119] offset1:16
	ds_write2_b64 v83, v[108:109], v[100:101] offset0:32 offset1:48
	s_waitcnt lgkmcnt(0)
	s_barrier
	s_and_saveexec_b64 s[18:19], s[4:5]
	s_cbranch_execz .LBB120_90
; %bb.94:                               ;   in Loop: Header=BB120_91 Depth=1
	ds_read_b64 v[108:109], v78
	ds_read2_b64 v[100:103], v78 offset0:1 offset1:2
	ds_read2_b64 v[104:107], v78 offset0:3 offset1:4
	s_waitcnt lgkmcnt(1)
	v_add_f32_e32 v12, v100, v108
	v_add_f32_e32 v100, v101, v109
	;; [unrolled: 1-line block ×4, first 2 shown]
	ds_read2_b64 v[100:103], v78 offset0:5 offset1:6
	s_waitcnt lgkmcnt(1)
	v_add_f32_e32 v12, v12, v104
	v_add_f32_e32 v104, v108, v105
	;; [unrolled: 1-line block ×4, first 2 shown]
	v_add_u32_e32 v12, s35, v84
	ds_read2_b64 v[104:107], v78 offset0:7 offset1:8
	v_lshlrev_b64 v[110:111], 3, v[12:13]
	v_mov_b32_e32 v12, s20
	v_add_co_u32_e64 v112, s[8:9], s7, v110
	v_addc_co_u32_e64 v113, s[8:9], v12, v111, s[8:9]
	s_waitcnt lgkmcnt(1)
	v_pk_add_f32 v[100:101], v[108:109], v[100:101]
	ds_read2_b64 v[108:111], v78 offset0:9 offset1:10
	v_pk_add_f32 v[100:101], v[100:101], v[102:103]
	s_waitcnt lgkmcnt(1)
	v_pk_add_f32 v[100:101], v[100:101], v[104:105]
	v_pk_add_f32 v[104:105], v[100:101], v[106:107]
	ds_read2_b64 v[100:103], v78 offset0:11 offset1:12
	s_waitcnt lgkmcnt(1)
	v_pk_add_f32 v[108:109], v[104:105], v[108:109]
	ds_read2_b64 v[104:107], v78 offset0:13 offset1:14
	v_pk_add_f32 v[108:109], v[108:109], v[110:111]
	ds_read_b64 v[110:111], v79
	s_waitcnt lgkmcnt(2)
	v_pk_add_f32 v[100:101], v[108:109], v[100:101]
	v_pk_add_f32 v[100:101], v[100:101], v[102:103]
	s_waitcnt lgkmcnt(1)
	v_pk_add_f32 v[100:101], v[100:101], v[104:105]
	v_pk_add_f32 v[100:101], v[100:101], v[106:107]
	s_waitcnt lgkmcnt(0)
	v_pk_add_f32 v[100:101], v[100:101], v[110:111]
	global_store_dwordx2 v[112:113], v[100:101], off
	s_branch .LBB120_90
.LBB120_95:
	s_movk_i32 s2, 0x218
	s_or_b64 s[0:1], s[0:1], vcc
	v_mad_u32_u24 v0, v72, s2, v73
	s_xor_b64 s[0:1], s[0:1], -1
	ds_write_b64 v0, v[18:19]
	s_waitcnt lgkmcnt(0)
	s_barrier
	s_and_saveexec_b64 s[2:3], s[0:1]
	s_cbranch_execz .LBB120_97
; %bb.96:
	ds_read2_b64 v[0:3], v73 offset1:67
	ds_read2_b64 v[4:7], v73 offset0:134 offset1:201
	v_lshlrev_b64 v[8:9], 3, v[16:17]
	v_mov_b32_e32 v10, s20
	v_add_co_u32_e32 v8, vcc, s7, v8
	s_waitcnt lgkmcnt(1)
	v_pk_add_f32 v[0:1], v[2:3], v[0:1]
	s_waitcnt lgkmcnt(0)
	v_pk_add_f32 v[0:1], v[0:1], v[4:5]
	v_addc_co_u32_e32 v9, vcc, v10, v9, vcc
	v_pk_add_f32 v[0:1], v[0:1], v[6:7]
	global_store_dwordx2 v[8:9], v[0:1], off
.LBB120_97:
	s_endpgm
	.section	.rodata,"a",@progbits
	.p2align	6, 0x0
	.amdhsa_kernel _ZL26rocblas_hemvn_kernel_lowerILb0ELi64ELi4ELi33ELi32ELi16El19rocblas_complex_numIfEPKS1_PS1_EviT6_lT7_lT5_lS6_lS7_lS5_lT8_i
		.amdhsa_group_segment_fixed_size 9600
		.amdhsa_private_segment_fixed_size 0
		.amdhsa_kernarg_size 376
		.amdhsa_user_sgpr_count 6
		.amdhsa_user_sgpr_private_segment_buffer 1
		.amdhsa_user_sgpr_dispatch_ptr 0
		.amdhsa_user_sgpr_queue_ptr 0
		.amdhsa_user_sgpr_kernarg_segment_ptr 1
		.amdhsa_user_sgpr_dispatch_id 0
		.amdhsa_user_sgpr_flat_scratch_init 0
		.amdhsa_user_sgpr_kernarg_preload_length 0
		.amdhsa_user_sgpr_kernarg_preload_offset 0
		.amdhsa_user_sgpr_private_segment_size 0
		.amdhsa_uses_dynamic_stack 0
		.amdhsa_system_sgpr_private_segment_wavefront_offset 0
		.amdhsa_system_sgpr_workgroup_id_x 1
		.amdhsa_system_sgpr_workgroup_id_y 0
		.amdhsa_system_sgpr_workgroup_id_z 1
		.amdhsa_system_sgpr_workgroup_info 0
		.amdhsa_system_vgpr_workitem_id 1
		.amdhsa_next_free_vgpr 120
		.amdhsa_next_free_sgpr 53
		.amdhsa_accum_offset 120
		.amdhsa_reserve_vcc 1
		.amdhsa_reserve_flat_scratch 0
		.amdhsa_float_round_mode_32 0
		.amdhsa_float_round_mode_16_64 0
		.amdhsa_float_denorm_mode_32 3
		.amdhsa_float_denorm_mode_16_64 3
		.amdhsa_dx10_clamp 1
		.amdhsa_ieee_mode 1
		.amdhsa_fp16_overflow 0
		.amdhsa_tg_split 0
		.amdhsa_exception_fp_ieee_invalid_op 0
		.amdhsa_exception_fp_denorm_src 0
		.amdhsa_exception_fp_ieee_div_zero 0
		.amdhsa_exception_fp_ieee_overflow 0
		.amdhsa_exception_fp_ieee_underflow 0
		.amdhsa_exception_fp_ieee_inexact 0
		.amdhsa_exception_int_div_zero 0
	.end_amdhsa_kernel
	.section	.text._ZL26rocblas_hemvn_kernel_lowerILb0ELi64ELi4ELi33ELi32ELi16El19rocblas_complex_numIfEPKS1_PS1_EviT6_lT7_lT5_lS6_lS7_lS5_lT8_i,"axG",@progbits,_ZL26rocblas_hemvn_kernel_lowerILb0ELi64ELi4ELi33ELi32ELi16El19rocblas_complex_numIfEPKS1_PS1_EviT6_lT7_lT5_lS6_lS7_lS5_lT8_i,comdat
.Lfunc_end120:
	.size	_ZL26rocblas_hemvn_kernel_lowerILb0ELi64ELi4ELi33ELi32ELi16El19rocblas_complex_numIfEPKS1_PS1_EviT6_lT7_lT5_lS6_lS7_lS5_lT8_i, .Lfunc_end120-_ZL26rocblas_hemvn_kernel_lowerILb0ELi64ELi4ELi33ELi32ELi16El19rocblas_complex_numIfEPKS1_PS1_EviT6_lT7_lT5_lS6_lS7_lS5_lT8_i
                                        ; -- End function
	.section	.AMDGPU.csdata,"",@progbits
; Kernel info:
; codeLenInByte = 7760
; NumSgprs: 57
; NumVgprs: 120
; NumAgprs: 0
; TotalNumVgprs: 120
; ScratchSize: 0
; MemoryBound: 1
; FloatMode: 240
; IeeeMode: 1
; LDSByteSize: 9600 bytes/workgroup (compile time only)
; SGPRBlocks: 7
; VGPRBlocks: 14
; NumSGPRsForWavesPerEU: 57
; NumVGPRsForWavesPerEU: 120
; AccumOffset: 120
; Occupancy: 4
; WaveLimiterHint : 0
; COMPUTE_PGM_RSRC2:SCRATCH_EN: 0
; COMPUTE_PGM_RSRC2:USER_SGPR: 6
; COMPUTE_PGM_RSRC2:TRAP_HANDLER: 0
; COMPUTE_PGM_RSRC2:TGID_X_EN: 1
; COMPUTE_PGM_RSRC2:TGID_Y_EN: 0
; COMPUTE_PGM_RSRC2:TGID_Z_EN: 1
; COMPUTE_PGM_RSRC2:TIDIG_COMP_CNT: 1
; COMPUTE_PGM_RSRC3_GFX90A:ACCUM_OFFSET: 29
; COMPUTE_PGM_RSRC3_GFX90A:TG_SPLIT: 0
	.section	.text._ZL26rocblas_hemvn_kernel_lowerILb0ELi64ELi4ELi33ELi32ELi16Ei19rocblas_complex_numIfEPKS1_PS1_EviT6_lT7_lT5_lS6_lS7_lS5_lT8_i,"axG",@progbits,_ZL26rocblas_hemvn_kernel_lowerILb0ELi64ELi4ELi33ELi32ELi16Ei19rocblas_complex_numIfEPKS1_PS1_EviT6_lT7_lT5_lS6_lS7_lS5_lT8_i,comdat
	.globl	_ZL26rocblas_hemvn_kernel_lowerILb0ELi64ELi4ELi33ELi32ELi16Ei19rocblas_complex_numIfEPKS1_PS1_EviT6_lT7_lT5_lS6_lS7_lS5_lT8_i ; -- Begin function _ZL26rocblas_hemvn_kernel_lowerILb0ELi64ELi4ELi33ELi32ELi16Ei19rocblas_complex_numIfEPKS1_PS1_EviT6_lT7_lT5_lS6_lS7_lS5_lT8_i
	.p2align	8
	.type	_ZL26rocblas_hemvn_kernel_lowerILb0ELi64ELi4ELi33ELi32ELi16Ei19rocblas_complex_numIfEPKS1_PS1_EviT6_lT7_lT5_lS6_lS7_lS5_lT8_i,@function
_ZL26rocblas_hemvn_kernel_lowerILb0ELi64ELi4ELi33ELi32ELi16Ei19rocblas_complex_numIfEPKS1_PS1_EviT6_lT7_lT5_lS6_lS7_lS5_lT8_i: ; @_ZL26rocblas_hemvn_kernel_lowerILb0ELi64ELi4ELi33ELi32ELi16Ei19rocblas_complex_numIfEPKS1_PS1_EviT6_lT7_lT5_lS6_lS7_lS5_lT8_i
; %bb.0:
	s_load_dwordx2 s[2:3], s[4:5], 0x84
	s_add_u32 s0, s4, 0x78
	s_addc_u32 s1, s5, 0
	s_waitcnt lgkmcnt(0)
	s_lshr_b32 s8, s2, 16
	s_and_b32 s2, s2, 0xffff
	s_and_b32 s3, s3, 0xffff
	s_mul_i32 s2, s8, s2
	s_mul_i32 s2, s2, s3
	s_cmpk_lg_i32 s2, 0x100
	s_cbranch_scc1 .LBB121_97
; %bb.1:
	s_load_dwordx2 s[2:3], s[4:5], 0x4
	s_mov_b64 s[8:9], -1
	s_waitcnt lgkmcnt(0)
	s_or_b32 s2, s2, s3
	s_bitset0_b32 s2, 31
	s_cmp_lg_u32 s2, 0
	s_cselect_b64 s[2:3], -1, 0
	s_and_b64 vcc, exec, s[2:3]
	s_cbranch_vccnz .LBB121_3
; %bb.2:
	s_load_dwordx2 s[8:9], s[4:5], 0x58
	s_waitcnt lgkmcnt(0)
	v_cmp_neq_f32_e64 s[10:11], s8, 1.0
	v_cmp_neq_f32_e64 s[8:9], s9, 0
	s_or_b64 s[8:9], s[10:11], s[8:9]
.LBB121_3:
	s_andn2_b64 vcc, exec, s[8:9]
	s_cbranch_vccnz .LBB121_97
; %bb.4:
	s_andn2_b64 vcc, exec, s[2:3]
	s_cbranch_vccnz .LBB121_97
; %bb.5:
	s_load_dwordx2 s[2:3], s[4:5], 0x50
	s_load_dwordx2 s[12:13], s[4:5], 0x40
	s_load_dword s33, s[4:5], 0x48
	s_load_dword s41, s[0:1], 0x0
	;; [unrolled: 1-line block ×3, first 2 shown]
	s_load_dwordx4 s[8:11], s[4:5], 0x30
	s_waitcnt lgkmcnt(0)
	s_mul_i32 s0, s7, s3
	s_mul_hi_u32 s1, s7, s2
	s_add_i32 s1, s1, s0
	s_mul_i32 s0, s7, s2
	s_lshl_b64 s[0:1], s[0:1], 3
	s_add_u32 s2, s10, s0
	s_addc_u32 s3, s11, s1
	s_lshl_b64 s[0:1], s[12:13], 3
	s_add_u32 s0, s2, s0
	s_addc_u32 s1, s3, s1
	v_and_b32_e32 v26, 0x3ff, v0
	s_lshl_b32 s26, s6, 6
	s_ashr_i32 s42, s40, 31
	s_lshr_b32 s3, s42, 26
	v_add_u32_e32 v16, s26, v26
	v_bfe_u32 v17, v0, 10, 10
	s_add_i32 s3, s40, s3
	v_mul_lo_u32 v0, v16, s33
	s_andn2_b32 s3, s3, 63
	v_ashrrev_i32_e32 v1, 31, v0
	s_add_i32 s2, s41, -1
	s_sub_i32 s3, s40, s3
	v_lshlrev_b64 v[0:1], 3, v[0:1]
	s_cmp_eq_u32 s6, s2
	v_mov_b32_e32 v2, s1
	v_add_co_u32_e32 v20, vcc, s0, v0
	s_cselect_b32 s24, s3, 0
	v_addc_co_u32_e32 v21, vcc, v2, v1, vcc
	v_cmp_ne_u32_e64 s[0:1], 0, v17
	v_cmp_eq_u32_e64 s[2:3], 0, v17
	s_and_saveexec_b64 s[10:11], s[2:3]
	s_cbranch_execz .LBB121_10
; %bb.6:
	s_cmp_lg_u32 s24, 0
	s_cselect_b64 s[12:13], -1, 0
	v_cmp_le_i32_e32 vcc, s24, v26
	v_mov_b32_e32 v0, 0x2380
	s_and_b64 s[12:13], s[12:13], vcc
	v_lshl_add_u32 v0, v26, 3, v0
	s_and_saveexec_b64 s[14:15], s[12:13]
	s_xor_b64 s[12:13], exec, s[14:15]
	s_cbranch_execz .LBB121_8
; %bb.7:
	v_mov_b32_e32 v2, 0
	v_mov_b32_e32 v3, v2
	ds_write_b64 v0, v[2:3]
                                        ; implicit-def: $vgpr0
.LBB121_8:
	s_andn2_saveexec_b64 s[12:13], s[12:13]
	s_cbranch_execz .LBB121_10
; %bb.9:
	global_load_dwordx2 v[2:3], v[20:21], off
	s_waitcnt vmcnt(0)
	ds_write_b64 v0, v[2:3]
.LBB121_10:
	s_or_b64 exec, exec, s[10:11]
	s_load_dwordx4 s[12:15], s[4:5], 0x18
	s_load_dword s22, s[4:5], 0x28
	s_mul_i32 s9, s7, s9
	s_mul_hi_u32 s10, s7, s8
	s_add_i32 s9, s10, s9
	s_mul_i32 s8, s7, s8
	s_lshl_b64 s[8:9], s[8:9], 3
	s_waitcnt lgkmcnt(0)
	s_add_u32 s10, s12, s8
	s_addc_u32 s11, s13, s9
	s_lshl_b64 s[8:9], s[14:15], 3
	s_add_u32 s10, s10, s8
	s_addc_u32 s11, s11, s9
	s_ashr_i32 s27, s26, 31
	v_lshl_add_u32 v27, v17, 6, v26
	s_lshl_b64 s[8:9], s[26:27], 3
	v_and_b32_e32 v0, 31, v26
	v_lshrrev_b32_e32 v8, 5, v27
	s_add_u32 s10, s10, s8
	s_addc_u32 s11, s11, s9
	v_mad_u64_u32 v[2:3], s[8:9], v8, s22, v[0:1]
	s_mul_i32 s8, s26, s22
	s_ashr_i32 s9, s8, 31
	s_lshl_b64 s[28:29], s[8:9], 3
	v_ashrrev_i32_e32 v3, 31, v2
	s_add_u32 s8, s28, s10
	v_lshlrev_b64 v[22:23], 3, v[2:3]
	s_addc_u32 s9, s29, s11
	v_mov_b32_e32 v1, s9
	v_add_co_u32_e32 v2, vcc, s8, v22
	s_cmp_lg_u32 s24, 0
	v_addc_co_u32_e32 v3, vcc, v1, v23, vcc
	s_cselect_b64 s[30:31], -1, 0
	s_cmp_eq_u32 s24, 0
	s_cselect_b64 s[34:35], -1, 0
	s_and_b64 vcc, exec, s[30:31]
	s_cbranch_vccnz .LBB121_12
; %bb.11:
	s_lshl_b32 s8, s22, 3
	s_ashr_i32 s9, s8, 31
	s_lshl_b64 s[8:9], s[8:9], 3
	v_mov_b32_e32 v1, s9
	v_add_co_u32_e32 v6, vcc, s8, v2
	s_ashr_i32 s23, s22, 31
	v_addc_co_u32_e32 v7, vcc, v3, v1, vcc
	s_lshl_b64 s[8:9], s[22:23], 6
	global_load_dwordx2 v[4:5], v[2:3], off
	global_load_dwordx2 v[10:11], v[6:7], off
	v_mov_b32_e32 v1, s9
	v_add_co_u32_e32 v6, vcc, s8, v6
	v_addc_co_u32_e32 v7, vcc, v7, v1, vcc
	global_load_dwordx2 v[12:13], v[6:7], off
	v_add_co_u32_e32 v6, vcc, s8, v6
	v_addc_co_u32_e32 v7, vcc, v7, v1, vcc
	global_load_dwordx2 v[6:7], v[6:7], off
	v_mul_u32_u24_e32 v1, 33, v8
	v_add_lshl_u32 v1, v1, v0, 3
	s_waitcnt vmcnt(3)
	ds_write_b64 v1, v[4:5]
	s_waitcnt vmcnt(2)
	ds_write_b64 v1, v[10:11] offset:2112
	s_waitcnt vmcnt(1)
	ds_write_b64 v1, v[12:13] offset:4224
	;; [unrolled: 2-line block ×3, first 2 shown]
	s_cbranch_execz .LBB121_13
	s_branch .LBB121_28
.LBB121_12:
.LBB121_13:
	v_lshlrev_b32_e32 v1, 3, v0
	v_sub_co_u32_e32 v4, vcc, v2, v1
	s_ashr_i32 s25, s24, 31
	v_subbrev_co_u32_e32 v5, vcc, 0, v3, vcc
	s_lshl_b64 s[10:11], s[24:25], 3
	v_mov_b32_e32 v6, s11
	v_add_co_u32_e32 v4, vcc, s10, v4
	v_addc_co_u32_e32 v5, vcc, v5, v6, vcc
	v_add_co_u32_e32 v4, vcc, -8, v4
	v_addc_co_u32_e32 v5, vcc, -1, v5, vcc
	v_cmp_gt_i32_e32 vcc, s24, v0
	v_mov_b32_e32 v6, 0
	v_cndmask_b32_e32 v5, v5, v3, vcc
	v_cndmask_b32_e32 v4, v4, v2, vcc
	v_cmp_gt_i32_e64 s[8:9], s24, v8
	v_mov_b32_e32 v7, v6
	s_and_saveexec_b64 s[12:13], s[8:9]
	s_cbranch_execz .LBB121_15
; %bb.14:
	global_load_dwordx2 v[6:7], v[4:5], off
.LBB121_15:
	s_or_b64 exec, exec, s[12:13]
	v_mul_u32_u24_e32 v9, 33, v8
	v_add_lshl_u32 v9, v9, v0, 3
	s_waitcnt vmcnt(0)
	ds_write_b64 v9, v[6:7]
	v_add_u32_e32 v6, 8, v8
	v_cmp_le_i32_e64 s[8:9], s24, v6
	s_and_saveexec_b64 s[12:13], s[8:9]
	s_xor_b64 s[8:9], exec, s[12:13]
	s_cbranch_execz .LBB121_17
; %bb.16:
	v_mul_u32_u24_e32 v6, 33, v6
	v_add_lshl_u32 v10, v6, v0, 3
	v_mov_b32_e32 v6, 0
	v_mov_b32_e32 v7, v6
	ds_write_b64 v10, v[6:7]
.LBB121_17:
	s_andn2_saveexec_b64 s[12:13], s[8:9]
	s_cbranch_execz .LBB121_19
; %bb.18:
	s_lshl_b32 s8, s22, 3
	s_ashr_i32 s9, s8, 31
	s_lshl_b64 s[8:9], s[8:9], 3
	v_mov_b32_e32 v7, s9
	v_add_co_u32_e64 v6, s[8:9], s8, v4
	v_addc_co_u32_e64 v7, s[8:9], v5, v7, s[8:9]
	global_load_dwordx2 v[6:7], v[6:7], off
	s_waitcnt vmcnt(0)
	ds_write_b64 v9, v[6:7] offset:2112
.LBB121_19:
	s_or_b64 exec, exec, s[12:13]
	v_add_u32_e32 v6, 16, v8
	v_cmp_le_i32_e64 s[8:9], s24, v6
	s_and_saveexec_b64 s[12:13], s[8:9]
	s_xor_b64 s[8:9], exec, s[12:13]
	s_cbranch_execz .LBB121_21
; %bb.20:
	v_mov_b32_e32 v6, 0
	v_mov_b32_e32 v7, v6
	ds_write_b64 v9, v[6:7] offset:4224
.LBB121_21:
	s_andn2_saveexec_b64 s[12:13], s[8:9]
	s_cbranch_execz .LBB121_23
; %bb.22:
	s_lshl_b32 s8, s22, 4
	s_ashr_i32 s9, s8, 31
	s_lshl_b64 s[8:9], s[8:9], 3
	v_mov_b32_e32 v7, s9
	v_add_co_u32_e64 v6, s[8:9], s8, v4
	v_addc_co_u32_e64 v7, s[8:9], v5, v7, s[8:9]
	global_load_dwordx2 v[6:7], v[6:7], off
	s_waitcnt vmcnt(0)
	ds_write_b64 v9, v[6:7] offset:4224
.LBB121_23:
	s_or_b64 exec, exec, s[12:13]
	v_add_u32_e32 v6, 24, v8
	v_cmp_le_i32_e64 s[8:9], s24, v6
	s_and_saveexec_b64 s[12:13], s[8:9]
	s_xor_b64 s[8:9], exec, s[12:13]
	s_cbranch_execz .LBB121_25
; %bb.24:
	v_mov_b32_e32 v6, 0
	v_mov_b32_e32 v7, v6
	ds_write_b64 v9, v[6:7] offset:6336
                                        ; implicit-def: $vgpr9
.LBB121_25:
	s_andn2_saveexec_b64 s[12:13], s[8:9]
	s_cbranch_execz .LBB121_27
; %bb.26:
	s_mul_i32 s8, s22, 24
	s_ashr_i32 s9, s8, 31
	s_lshl_b64 s[8:9], s[8:9], 3
	v_mov_b32_e32 v7, s9
	v_add_co_u32_e64 v6, s[8:9], s8, v4
	v_addc_co_u32_e64 v7, s[8:9], v5, v7, s[8:9]
	global_load_dwordx2 v[6:7], v[6:7], off
	s_waitcnt vmcnt(0)
	ds_write_b64 v9, v[6:7] offset:6336
.LBB121_27:
	s_or_b64 exec, exec, s[12:13]
	v_add_co_u32_e64 v1, s[8:9], v4, v1
	v_addc_co_u32_e64 v4, s[8:9], 0, v5, s[8:9]
	v_mov_b32_e32 v5, s11
	v_subrev_co_u32_e64 v1, s[8:9], s10, v1
	v_subb_co_u32_e64 v4, s[8:9], v4, v5, s[8:9]
	v_add_co_u32_e64 v1, s[8:9], 8, v1
	v_addc_co_u32_e64 v4, s[8:9], 0, v4, s[8:9]
	v_cndmask_b32_e32 v3, v4, v3, vcc
	v_cndmask_b32_e32 v2, v1, v2, vcc
.LBB121_28:
	v_lshlrev_b32_e32 v1, 2, v8
	v_mul_u32_u24_e32 v28, 33, v0
	v_cmp_lt_u32_e64 s[8:9], v1, v0
	v_add_lshl_u32 v12, v1, v28, 3
	s_waitcnt lgkmcnt(0)
	s_barrier
	s_and_saveexec_b64 s[10:11], s[8:9]
	s_cbranch_execz .LBB121_30
; %bb.29:
	v_mul_u32_u24_e32 v4, 0x84, v8
	v_add_lshl_u32 v4, v4, v0, 3
	ds_read_b64 v[4:5], v4
	s_waitcnt lgkmcnt(0)
	ds_write_b64 v12, v[4:5]
.LBB121_30:
	s_or_b64 exec, exec, s[10:11]
	v_or_b32_e32 v4, 1, v1
	v_cmp_lt_u32_e64 s[10:11], v4, v0
	s_and_saveexec_b64 s[12:13], s[10:11]
	s_cbranch_execz .LBB121_32
; %bb.31:
	v_mul_u32_u24_e32 v4, 33, v4
	v_add_lshl_u32 v4, v4, v0, 3
	ds_read_b64 v[4:5], v4
	s_waitcnt lgkmcnt(0)
	ds_write_b64 v12, v[4:5] offset:8
.LBB121_32:
	s_or_b64 exec, exec, s[12:13]
	v_or_b32_e32 v4, 2, v1
	v_cmp_lt_u32_e64 s[12:13], v4, v0
	s_and_saveexec_b64 s[14:15], s[12:13]
	s_cbranch_execz .LBB121_34
; %bb.33:
	v_mul_u32_u24_e32 v4, 33, v4
	v_add_lshl_u32 v4, v4, v0, 3
	ds_read_b64 v[4:5], v4
	s_waitcnt lgkmcnt(0)
	ds_write_b64 v12, v[4:5] offset:16
.LBB121_34:
	s_or_b64 exec, exec, s[14:15]
	v_or_b32_e32 v4, 3, v1
	v_cmp_lt_u32_e64 s[14:15], v4, v0
	v_mad_u32_u24 v4, v4, 33, v0
	v_lshlrev_b32_e32 v9, 3, v4
	s_and_saveexec_b64 s[16:17], s[14:15]
	s_cbranch_execz .LBB121_36
; %bb.35:
	ds_read_b64 v[4:5], v9
	s_waitcnt lgkmcnt(0)
	ds_write_b64 v12, v[4:5] offset:24
.LBB121_36:
	s_or_b64 exec, exec, s[16:17]
	v_mul_u32_u24_e32 v4, 0x84, v8
	v_add_lshl_u32 v11, v4, v0, 3
	s_waitcnt lgkmcnt(0)
	s_barrier
	v_lshlrev_b32_e32 v13, 3, v1
	v_add_u32_e32 v10, 0xfffffdf0, v9
	ds_read_b64 v[14:15], v11
	ds_read_b128 v[4:7], v13 offset:9088
	ds_read2_b64 v[30:33], v10 offset1:33
	ds_read_b64 v[18:19], v9
	ds_read_b128 v[34:37], v13 offset:9104
	s_mov_b32 s16, 0
	s_mov_b32 s17, s16
	s_waitcnt lgkmcnt(3)
	v_pk_mul_f32 v[24:25], v[4:5], v[14:15] op_sel:[0,1]
	v_pk_fma_f32 v[38:39], v[4:5], v[14:15], v[24:25] op_sel:[0,0,1] op_sel_hi:[1,1,0] neg_lo:[0,0,1] neg_hi:[0,0,1]
	v_pk_fma_f32 v[4:5], v[4:5], v[14:15], v[24:25] op_sel:[0,0,1] op_sel_hi:[1,0,0]
	s_waitcnt lgkmcnt(2)
	v_pk_mul_f32 v[14:15], v[6:7], v[30:31] op_sel:[0,1]
	v_pk_fma_f32 v[24:25], v[6:7], v[30:31], v[14:15] op_sel:[0,0,1] op_sel_hi:[1,1,0] neg_lo:[0,0,1] neg_hi:[0,0,1]
	v_pk_fma_f32 v[6:7], v[6:7], v[30:31], v[14:15] op_sel:[0,0,1] op_sel_hi:[1,0,0]
	v_mov_b32_e32 v39, v5
	v_mov_b32_e32 v25, v7
	s_waitcnt lgkmcnt(0)
	v_pk_mul_f32 v[6:7], v[34:35], v[32:33] op_sel:[0,1]
	v_pk_add_f32 v[4:5], v[38:39], 0 op_sel_hi:[1,0]
	v_pk_fma_f32 v[14:15], v[34:35], v[32:33], v[6:7] op_sel:[0,0,1] op_sel_hi:[1,1,0] neg_lo:[0,0,1] neg_hi:[0,0,1]
	v_pk_fma_f32 v[6:7], v[34:35], v[32:33], v[6:7] op_sel:[0,0,1] op_sel_hi:[1,0,0]
	v_pk_add_f32 v[4:5], v[4:5], v[24:25]
	v_mov_b32_e32 v15, v7
	v_pk_mul_f32 v[6:7], v[36:37], v[18:19] op_sel:[0,1]
	v_pk_add_f32 v[4:5], v[4:5], v[14:15]
	v_pk_fma_f32 v[14:15], v[36:37], v[18:19], v[6:7] op_sel:[0,0,1] op_sel_hi:[1,1,0] neg_lo:[0,0,1] neg_hi:[0,0,1]
	v_pk_fma_f32 v[6:7], v[36:37], v[18:19], v[6:7] op_sel:[0,0,1] op_sel_hi:[1,0,0]
	v_mov_b32_e32 v15, v7
	v_add_lshl_u32 v29, v8, v28, 3
	v_pk_add_f32 v[4:5], v[4:5], v[14:15]
	v_cmp_gt_u32_e64 s[20:21], 32, v27
	v_pk_mov_b32 v[18:19], s[16:17], s[16:17] op_sel:[0,1]
	s_barrier
	ds_write_b64 v29, v[4:5]
	s_waitcnt lgkmcnt(0)
	s_barrier
	s_and_saveexec_b64 s[16:17], s[20:21]
	s_cbranch_execz .LBB121_38
; %bb.37:
	v_lshlrev_b32_e32 v1, 3, v28
	ds_read2_b64 v[4:7], v1 offset1:7
	ds_read2_b64 v[30:33], v1 offset0:1 offset1:2
	ds_read2_b64 v[34:37], v1 offset0:3 offset1:4
	s_waitcnt lgkmcnt(1)
	v_add_f32_e32 v4, v30, v4
	v_add_f32_e32 v5, v31, v5
	;; [unrolled: 1-line block ×4, first 2 shown]
	ds_read2_b64 v[30:33], v1 offset0:5 offset1:6
	s_waitcnt lgkmcnt(1)
	v_add_f32_e32 v1, v4, v34
	v_add_f32_e32 v4, v5, v35
	;; [unrolled: 1-line block ×4, first 2 shown]
	s_waitcnt lgkmcnt(0)
	v_add_f32_e32 v1, v1, v30
	v_add_f32_e32 v5, v4, v31
	;; [unrolled: 1-line block ×4, first 2 shown]
	v_pk_add_f32 v[18:19], v[4:5], v[6:7]
.LBB121_38:
	s_or_b64 exec, exec, s[16:17]
	s_lshl_b32 s16, s22, 5
	s_ashr_i32 s17, s16, 31
	s_lshl_b64 s[36:37], s[16:17], 3
	v_mov_b32_e32 v1, s37
	v_add_co_u32_e32 v4, vcc, s36, v2
	v_addc_co_u32_e32 v5, vcc, v3, v1, vcc
	v_add_co_u32_e32 v2, vcc, 0x100, v4
	v_cndmask_b32_e64 v1, 0, 1, s[34:35]
	s_mov_b64 s[18:19], vcc
	v_cmp_ne_u32_e64 s[16:17], 1, v1
	s_andn2_b64 vcc, exec, s[34:35]
	v_addc_co_u32_e64 v1, s[18:19], 0, v5, s[18:19]
	s_barrier
	s_cbranch_vccnz .LBB121_40
; %bb.39:
	s_lshl_b32 s18, s22, 3
	s_ashr_i32 s19, s18, 31
	s_lshl_b64 s[18:19], s[18:19], 3
	v_mov_b32_e32 v3, s19
	v_add_co_u32_e32 v6, vcc, s18, v4
	s_ashr_i32 s23, s22, 31
	v_addc_co_u32_e32 v7, vcc, v5, v3, vcc
	s_lshl_b64 s[18:19], s[22:23], 6
	v_mov_b32_e32 v3, s19
	v_add_co_u32_e32 v14, vcc, s18, v6
	v_addc_co_u32_e32 v15, vcc, v7, v3, vcc
	v_add_co_u32_e32 v24, vcc, s18, v14
	v_addc_co_u32_e32 v25, vcc, v15, v3, vcc
	global_load_dwordx2 v[30:31], v[4:5], off offset:256
	global_load_dwordx2 v[32:33], v[6:7], off offset:256
	;; [unrolled: 1-line block ×4, first 2 shown]
	v_mul_u32_u24_e32 v3, 33, v8
	v_add_lshl_u32 v3, v3, v0, 3
	s_waitcnt vmcnt(3)
	ds_write_b64 v3, v[30:31]
	s_waitcnt vmcnt(2)
	ds_write_b64 v3, v[32:33] offset:2112
	s_waitcnt vmcnt(1)
	ds_write_b64 v3, v[34:35] offset:4224
	;; [unrolled: 2-line block ×3, first 2 shown]
	s_cbranch_execz .LBB121_41
	s_branch .LBB121_56
.LBB121_40:
.LBB121_41:
	v_lshlrev_b32_e32 v3, 3, v0
	v_sub_co_u32_e32 v5, vcc, v2, v3
	s_ashr_i32 s25, s24, 31
	v_subbrev_co_u32_e32 v6, vcc, 0, v1, vcc
	s_lshl_b64 s[34:35], s[24:25], 3
	v_mov_b32_e32 v7, s35
	v_add_co_u32_e32 v5, vcc, s34, v5
	v_addc_co_u32_e32 v6, vcc, v6, v7, vcc
	v_or_b32_e32 v4, 32, v0
	v_add_co_u32_e32 v7, vcc, 0xfffffef8, v5
	v_addc_co_u32_e32 v5, vcc, -1, v6, vcc
	v_cmp_gt_i32_e64 s[18:19], s24, v4
	s_sub_i32 s23, s24, 32
	v_mov_b32_e32 v6, 0
	v_cndmask_b32_e64 v5, v5, v1, s[18:19]
	v_cndmask_b32_e64 v4, v7, v2, s[18:19]
	v_cmp_gt_i32_e32 vcc, s23, v8
	v_mov_b32_e32 v7, v6
	s_and_saveexec_b64 s[38:39], vcc
	s_cbranch_execz .LBB121_43
; %bb.42:
	global_load_dwordx2 v[6:7], v[4:5], off
.LBB121_43:
	s_or_b64 exec, exec, s[38:39]
	v_mul_u32_u24_e32 v14, 33, v8
	v_add_lshl_u32 v14, v14, v0, 3
	s_waitcnt vmcnt(0)
	ds_write_b64 v14, v[6:7]
	v_add_u32_e32 v6, 8, v8
	v_cmp_le_i32_e32 vcc, s23, v6
	s_and_saveexec_b64 s[38:39], vcc
	s_xor_b64 s[38:39], exec, s[38:39]
	s_cbranch_execz .LBB121_45
; %bb.44:
	v_mul_u32_u24_e32 v6, 33, v6
	v_add_lshl_u32 v15, v6, v0, 3
	v_mov_b32_e32 v6, 0
	v_mov_b32_e32 v7, v6
	ds_write_b64 v15, v[6:7]
.LBB121_45:
	s_andn2_saveexec_b64 s[38:39], s[38:39]
	s_cbranch_execz .LBB121_47
; %bb.46:
	s_lshl_b32 s44, s22, 3
	s_ashr_i32 s45, s44, 31
	s_lshl_b64 s[44:45], s[44:45], 3
	v_mov_b32_e32 v7, s45
	v_add_co_u32_e32 v6, vcc, s44, v4
	v_addc_co_u32_e32 v7, vcc, v5, v7, vcc
	global_load_dwordx2 v[6:7], v[6:7], off
	s_waitcnt vmcnt(0)
	ds_write_b64 v14, v[6:7] offset:2112
.LBB121_47:
	s_or_b64 exec, exec, s[38:39]
	v_add_u32_e32 v6, 16, v8
	v_cmp_le_i32_e32 vcc, s23, v6
	s_and_saveexec_b64 s[38:39], vcc
	s_xor_b64 s[38:39], exec, s[38:39]
	s_cbranch_execz .LBB121_49
; %bb.48:
	v_mul_u32_u24_e32 v6, 33, v6
	v_add_lshl_u32 v15, v6, v0, 3
	v_mov_b32_e32 v6, 0
	v_mov_b32_e32 v7, v6
	ds_write_b64 v15, v[6:7]
.LBB121_49:
	s_andn2_saveexec_b64 s[38:39], s[38:39]
	s_cbranch_execz .LBB121_51
; %bb.50:
	s_lshl_b32 s44, s22, 4
	s_ashr_i32 s45, s44, 31
	s_lshl_b64 s[44:45], s[44:45], 3
	v_mov_b32_e32 v7, s45
	v_add_co_u32_e32 v6, vcc, s44, v4
	v_addc_co_u32_e32 v7, vcc, v5, v7, vcc
	global_load_dwordx2 v[6:7], v[6:7], off
	s_waitcnt vmcnt(0)
	ds_write_b64 v14, v[6:7] offset:4224
.LBB121_51:
	s_or_b64 exec, exec, s[38:39]
	v_add_u32_e32 v6, 24, v8
	v_cmp_le_i32_e32 vcc, s23, v6
	s_and_saveexec_b64 s[38:39], vcc
	s_xor_b64 s[38:39], exec, s[38:39]
	s_cbranch_execz .LBB121_53
; %bb.52:
	v_mov_b32_e32 v6, 0
	v_mov_b32_e32 v7, v6
	ds_write_b64 v14, v[6:7] offset:6336
                                        ; implicit-def: $vgpr14
.LBB121_53:
	s_andn2_saveexec_b64 s[38:39], s[38:39]
	s_cbranch_execz .LBB121_55
; %bb.54:
	s_mul_i32 s44, s22, 24
	s_ashr_i32 s45, s44, 31
	s_lshl_b64 s[44:45], s[44:45], 3
	v_mov_b32_e32 v7, s45
	v_add_co_u32_e32 v6, vcc, s44, v4
	v_addc_co_u32_e32 v7, vcc, v5, v7, vcc
	global_load_dwordx2 v[6:7], v[6:7], off
	s_waitcnt vmcnt(0)
	ds_write_b64 v14, v[6:7] offset:6336
.LBB121_55:
	s_or_b64 exec, exec, s[38:39]
	v_add_co_u32_e32 v3, vcc, v4, v3
	v_addc_co_u32_e32 v4, vcc, 0, v5, vcc
	v_mov_b32_e32 v5, s35
	v_subrev_co_u32_e32 v3, vcc, s34, v3
	v_subb_co_u32_e32 v4, vcc, v4, v5, vcc
	v_add_co_u32_e32 v3, vcc, 0x108, v3
	v_addc_co_u32_e32 v4, vcc, 0, v4, vcc
	v_cndmask_b32_e64 v1, v4, v1, s[18:19]
	v_cndmask_b32_e64 v2, v3, v2, s[18:19]
.LBB121_56:
	v_add_u32_e32 v6, 0x2380, v13
	s_waitcnt lgkmcnt(0)
	s_barrier
	s_and_saveexec_b64 s[18:19], s[8:9]
	s_cbranch_execnz .LBB121_65
; %bb.57:
	s_or_b64 exec, exec, s[18:19]
	s_and_saveexec_b64 s[8:9], s[10:11]
	s_cbranch_execnz .LBB121_66
.LBB121_58:
	s_or_b64 exec, exec, s[8:9]
	s_and_saveexec_b64 s[8:9], s[12:13]
	s_cbranch_execnz .LBB121_67
.LBB121_59:
	s_or_b64 exec, exec, s[8:9]
	s_and_saveexec_b64 s[8:9], s[14:15]
	s_cbranch_execz .LBB121_61
.LBB121_60:
	ds_read_b64 v[4:5], v9
	s_waitcnt lgkmcnt(0)
	ds_write_b64 v12, v[4:5] offset:24
.LBB121_61:
	s_or_b64 exec, exec, s[8:9]
	s_waitcnt lgkmcnt(0)
	s_barrier
	ds_read_b64 v[4:5], v11
	ds_read_b128 v[30:33], v6 offset:256
	ds_read2_b64 v[34:37], v10 offset1:33
	ds_read_b64 v[10:11], v9
	ds_read_b128 v[38:41], v6 offset:272
	v_cmp_eq_u32_e64 s[8:9], 1, v8
	s_waitcnt lgkmcnt(3)
	v_pk_mul_f32 v[14:15], v[30:31], v[4:5] op_sel:[0,1]
	v_pk_fma_f32 v[24:25], v[30:31], v[4:5], v[14:15] op_sel:[0,0,1] op_sel_hi:[1,1,0] neg_lo:[0,0,1] neg_hi:[0,0,1]
	v_pk_fma_f32 v[4:5], v[30:31], v[4:5], v[14:15] op_sel:[0,0,1] op_sel_hi:[1,0,0]
	v_mov_b32_e32 v25, v5
	s_waitcnt lgkmcnt(2)
	v_pk_mul_f32 v[14:15], v[32:33], v[34:35] op_sel:[0,1]
	v_pk_add_f32 v[4:5], v[24:25], 0 op_sel_hi:[1,0]
	v_pk_fma_f32 v[24:25], v[32:33], v[34:35], v[14:15] op_sel:[0,0,1] op_sel_hi:[1,1,0] neg_lo:[0,0,1] neg_hi:[0,0,1]
	v_pk_fma_f32 v[14:15], v[32:33], v[34:35], v[14:15] op_sel:[0,0,1] op_sel_hi:[1,0,0]
	v_mov_b32_e32 v25, v15
	s_waitcnt lgkmcnt(0)
	v_pk_mul_f32 v[14:15], v[38:39], v[36:37] op_sel:[0,1]
	v_pk_add_f32 v[4:5], v[4:5], v[24:25]
	v_pk_fma_f32 v[24:25], v[38:39], v[36:37], v[14:15] op_sel:[0,0,1] op_sel_hi:[1,1,0] neg_lo:[0,0,1] neg_hi:[0,0,1]
	v_pk_fma_f32 v[14:15], v[38:39], v[36:37], v[14:15] op_sel:[0,0,1] op_sel_hi:[1,0,0]
	v_mov_b32_e32 v25, v15
	v_pk_mul_f32 v[14:15], v[40:41], v[10:11] op_sel:[0,1]
	v_pk_add_f32 v[4:5], v[4:5], v[24:25]
	v_pk_fma_f32 v[24:25], v[40:41], v[10:11], v[14:15] op_sel:[0,0,1] op_sel_hi:[1,1,0] neg_lo:[0,0,1] neg_hi:[0,0,1]
	v_pk_fma_f32 v[10:11], v[40:41], v[10:11], v[14:15] op_sel:[0,0,1] op_sel_hi:[1,0,0]
	v_mov_b32_e32 v25, v11
	v_pk_add_f32 v[4:5], v[4:5], v[24:25]
	s_barrier
	ds_write_b64 v29, v[4:5]
	s_waitcnt lgkmcnt(0)
	s_barrier
	s_and_saveexec_b64 s[10:11], s[8:9]
	s_cbranch_execz .LBB121_63
; %bb.62:
	v_lshlrev_b32_e32 v3, 3, v28
	ds_read2_b64 v[30:33], v3 offset1:7
	ds_read2_b64 v[34:37], v3 offset0:1 offset1:2
	ds_read2_b64 v[38:41], v3 offset0:3 offset1:4
	s_waitcnt lgkmcnt(1)
	v_add_f32_e32 v4, v34, v30
	v_add_f32_e32 v5, v35, v31
	;; [unrolled: 1-line block ×4, first 2 shown]
	ds_read2_b64 v[34:37], v3 offset0:5 offset1:6
	s_waitcnt lgkmcnt(1)
	v_add_f32_e32 v3, v4, v38
	v_add_f32_e32 v4, v5, v39
	;; [unrolled: 1-line block ×4, first 2 shown]
	s_waitcnt lgkmcnt(0)
	v_add_f32_e32 v4, v3, v34
	v_add_f32_e32 v5, v5, v35
	v_pk_add_f32 v[4:5], v[4:5], v[36:37]
	v_pk_add_f32 v[18:19], v[4:5], v[32:33]
.LBB121_63:
	s_or_b64 exec, exec, s[10:11]
	v_mov_b32_e32 v3, s37
	v_subrev_co_u32_e64 v24, s[10:11], s36, v2
	s_and_b64 vcc, exec, s[16:17]
	v_subb_co_u32_e64 v25, s[10:11], v1, v3, s[10:11]
	s_barrier
	s_cbranch_vccnz .LBB121_68
; %bb.64:
	s_lshl_b32 s10, s22, 3
	s_ashr_i32 s11, s10, 31
	s_lshl_b64 s[10:11], s[10:11], 3
	v_mov_b32_e32 v1, s11
	v_add_co_u32_e32 v2, vcc, s10, v24
	s_ashr_i32 s23, s22, 31
	v_addc_co_u32_e32 v3, vcc, v25, v1, vcc
	s_lshl_b64 s[10:11], s[22:23], 6
	v_mov_b32_e32 v1, s11
	v_add_co_u32_e32 v4, vcc, s10, v2
	v_addc_co_u32_e32 v5, vcc, v3, v1, vcc
	v_add_co_u32_e32 v10, vcc, s10, v4
	v_addc_co_u32_e32 v11, vcc, v5, v1, vcc
	global_load_dwordx2 v[14:15], v[24:25], off
	global_load_dwordx2 v[30:31], v[2:3], off
	;; [unrolled: 1-line block ×4, first 2 shown]
	v_mad_u32_u24 v1, v8, 33, v0
	v_add_u32_e32 v4, 8, v8
	v_add_u32_e32 v5, 16, v8
	;; [unrolled: 1-line block ×3, first 2 shown]
	v_lshlrev_b32_e32 v7, 3, v1
	v_add_u32_e32 v2, 0x108, v1
	v_add_u32_e32 v3, 0x210, v1
	;; [unrolled: 1-line block ×3, first 2 shown]
	s_waitcnt vmcnt(3)
	ds_write_b64 v7, v[14:15]
	s_waitcnt vmcnt(2)
	ds_write_b64 v7, v[30:31] offset:2112
	s_waitcnt vmcnt(1)
	ds_write_b64 v7, v[32:33] offset:4224
	;; [unrolled: 2-line block ×3, first 2 shown]
	s_cbranch_execz .LBB121_69
	s_branch .LBB121_84
.LBB121_65:
	ds_read_b64 v[4:5], v11
	s_waitcnt lgkmcnt(0)
	ds_write_b64 v12, v[4:5]
	s_or_b64 exec, exec, s[18:19]
	s_and_saveexec_b64 s[8:9], s[10:11]
	s_cbranch_execz .LBB121_58
.LBB121_66:
	ds_read_b64 v[4:5], v10
	s_waitcnt lgkmcnt(0)
	ds_write_b64 v12, v[4:5] offset:8
	s_or_b64 exec, exec, s[8:9]
	s_and_saveexec_b64 s[8:9], s[12:13]
	s_cbranch_execz .LBB121_59
.LBB121_67:
	ds_read_b64 v[4:5], v10 offset:264
	s_waitcnt lgkmcnt(0)
	ds_write_b64 v12, v[4:5] offset:16
	s_or_b64 exec, exec, s[8:9]
	s_and_saveexec_b64 s[8:9], s[14:15]
	s_cbranch_execnz .LBB121_60
	s_branch .LBB121_61
.LBB121_68:
                                        ; implicit-def: $vgpr1
                                        ; implicit-def: $vgpr4
                                        ; implicit-def: $vgpr2
                                        ; implicit-def: $vgpr5
                                        ; implicit-def: $vgpr3
                                        ; implicit-def: $vgpr9
                                        ; implicit-def: $vgpr10
.LBB121_69:
	v_lshlrev_b32_e32 v7, 3, v0
	v_sub_co_u32_e32 v2, vcc, v24, v7
	s_ashr_i32 s25, s24, 31
	v_subbrev_co_u32_e32 v3, vcc, 0, v25, vcc
	s_lshl_b64 s[12:13], s[24:25], 3
	v_mov_b32_e32 v4, s13
	v_add_co_u32_e32 v2, vcc, s12, v2
	v_addc_co_u32_e32 v3, vcc, v3, v4, vcc
	v_or_b32_e32 v1, 32, v0
	v_add_co_u32_e32 v2, vcc, 0xfffffef8, v2
	v_addc_co_u32_e32 v3, vcc, -1, v3, vcc
	v_cmp_gt_i32_e64 s[10:11], s24, v1
	v_mov_b32_e32 v4, 0
	v_cndmask_b32_e64 v3, v3, v25, s[10:11]
	v_cndmask_b32_e64 v2, v2, v24, s[10:11]
	v_cmp_gt_i32_e32 vcc, s24, v8
	v_mov_b32_e32 v5, v4
	s_and_saveexec_b64 s[14:15], vcc
	s_cbranch_execz .LBB121_71
; %bb.70:
	global_load_dwordx2 v[4:5], v[2:3], off
.LBB121_71:
	s_or_b64 exec, exec, s[14:15]
	v_mad_u32_u24 v1, v8, 33, v0
	v_lshlrev_b32_e32 v11, 3, v1
	s_waitcnt vmcnt(0)
	ds_write_b64 v11, v[4:5]
	v_add_u32_e32 v4, 8, v8
	v_cmp_le_i32_e32 vcc, s24, v4
	s_and_saveexec_b64 s[14:15], vcc
	s_xor_b64 s[14:15], exec, s[14:15]
	s_cbranch_execz .LBB121_73
; %bb.72:
	v_mul_u32_u24_e32 v5, 33, v4
	v_mov_b32_e32 v14, 0
	v_add_lshl_u32 v5, v5, v0, 3
	v_mov_b32_e32 v15, v14
	ds_write_b64 v5, v[14:15]
.LBB121_73:
	s_andn2_saveexec_b64 s[14:15], s[14:15]
	s_cbranch_execz .LBB121_75
; %bb.74:
	s_lshl_b32 s16, s22, 3
	s_ashr_i32 s17, s16, 31
	s_lshl_b64 s[16:17], s[16:17], 3
	v_mov_b32_e32 v5, s17
	v_add_co_u32_e32 v14, vcc, s16, v2
	v_addc_co_u32_e32 v15, vcc, v3, v5, vcc
	global_load_dwordx2 v[14:15], v[14:15], off
	s_waitcnt vmcnt(0)
	ds_write_b64 v11, v[14:15] offset:2112
.LBB121_75:
	s_or_b64 exec, exec, s[14:15]
	v_add_u32_e32 v5, 16, v8
	v_cmp_le_i32_e32 vcc, s24, v5
	s_and_saveexec_b64 s[14:15], vcc
	s_xor_b64 s[14:15], exec, s[14:15]
	s_cbranch_execz .LBB121_77
; %bb.76:
	v_mul_u32_u24_e32 v9, 33, v5
	v_mov_b32_e32 v14, 0
	v_add_lshl_u32 v9, v9, v0, 3
	v_mov_b32_e32 v15, v14
	ds_write_b64 v9, v[14:15]
.LBB121_77:
	s_andn2_saveexec_b64 s[14:15], s[14:15]
	s_cbranch_execz .LBB121_79
; %bb.78:
	s_lshl_b32 s16, s22, 4
	s_ashr_i32 s17, s16, 31
	s_lshl_b64 s[16:17], s[16:17], 3
	v_mov_b32_e32 v9, s17
	v_add_co_u32_e32 v14, vcc, s16, v2
	v_addc_co_u32_e32 v15, vcc, v3, v9, vcc
	global_load_dwordx2 v[14:15], v[14:15], off
	s_waitcnt vmcnt(0)
	ds_write_b64 v11, v[14:15] offset:4224
.LBB121_79:
	s_or_b64 exec, exec, s[14:15]
	v_add_u32_e32 v9, 24, v8
	v_cmp_le_i32_e32 vcc, s24, v9
                                        ; implicit-def: $vgpr10
	s_and_saveexec_b64 s[14:15], vcc
	s_xor_b64 s[14:15], exec, s[14:15]
	s_cbranch_execz .LBB121_81
; %bb.80:
	v_mad_u32_u24 v10, v9, 33, v0
	v_mov_b32_e32 v14, 0
	v_lshlrev_b32_e32 v0, 3, v10
	v_mov_b32_e32 v15, v14
	ds_write_b64 v0, v[14:15]
                                        ; implicit-def: $vgpr11
.LBB121_81:
	s_andn2_saveexec_b64 s[14:15], s[14:15]
	s_cbranch_execz .LBB121_83
; %bb.82:
	s_mul_i32 s16, s22, 24
	s_ashr_i32 s17, s16, 31
	s_lshl_b64 s[16:17], s[16:17], 3
	v_mov_b32_e32 v0, s17
	v_add_co_u32_e32 v14, vcc, s16, v2
	v_addc_co_u32_e32 v15, vcc, v3, v0, vcc
	global_load_dwordx2 v[14:15], v[14:15], off
	v_add_u32_e32 v10, 0x318, v1
	s_waitcnt vmcnt(0)
	ds_write_b64 v11, v[14:15] offset:6336
.LBB121_83:
	s_or_b64 exec, exec, s[14:15]
	v_add_co_u32_e32 v0, vcc, v2, v7
	v_addc_co_u32_e32 v2, vcc, 0, v3, vcc
	v_mov_b32_e32 v3, s13
	v_subrev_co_u32_e32 v0, vcc, s12, v0
	v_subb_co_u32_e32 v2, vcc, v2, v3, vcc
	v_add_co_u32_e32 v0, vcc, 0x108, v0
	v_addc_co_u32_e32 v2, vcc, 0, v2, vcc
	v_cndmask_b32_e64 v25, v2, v25, s[10:11]
	v_cndmask_b32_e64 v24, v0, v24, s[10:11]
	v_add_u32_e32 v2, 0x108, v1
	v_add_u32_e32 v3, 0x210, v1
.LBB121_84:
	v_lshlrev_b32_e32 v0, 3, v1
	s_waitcnt lgkmcnt(0)
	s_barrier
	ds_read_b64 v[30:31], v0
	v_lshlrev_b32_e32 v7, 3, v8
	v_lshlrev_b32_e32 v13, 3, v2
	;; [unrolled: 1-line block ×7, first 2 shown]
	ds_read_b64 v[32:33], v0
	ds_read2_b64 v[8:11], v12 offset1:1
	ds_read2_b64 v[0:3], v12 offset0:2 offset1:3
	ds_read_b64 v[34:35], v4 offset:9088
	ds_read_b64 v[36:37], v13
	ds_read_b64 v[38:39], v7 offset:9088
	ds_read_b128 v[12:15], v6 offset:256
	ds_read_b128 v[4:7], v6 offset:272
	ds_read_b64 v[40:41], v40 offset:9088
	ds_read_b64 v[42:43], v42
	ds_read_b64 v[44:45], v44 offset:9088
	s_waitcnt lgkmcnt(5)
	v_pk_mul_f32 v[46:47], v[38:39], v[30:31] op_sel:[0,1]
	v_pk_fma_f32 v[48:49], v[38:39], v[30:31], v[46:47] op_sel:[0,0,1] op_sel_hi:[1,1,0] neg_lo:[0,0,1] neg_hi:[0,0,1]
	v_pk_fma_f32 v[30:31], v[38:39], v[30:31], v[46:47] op_sel:[0,0,1] op_sel_hi:[1,0,0]
	v_pk_mul_f32 v[38:39], v[34:35], v[36:37] op_sel:[0,1]
	v_pk_fma_f32 v[46:47], v[34:35], v[36:37], v[38:39] op_sel:[0,0,1] op_sel_hi:[1,1,0] neg_lo:[0,0,1] neg_hi:[0,0,1]
	v_pk_fma_f32 v[34:35], v[34:35], v[36:37], v[38:39] op_sel:[0,0,1] op_sel_hi:[1,0,0]
	v_mov_b32_e32 v47, v35
	s_waitcnt lgkmcnt(0)
	v_pk_mul_f32 v[34:35], v[44:45], v[32:33] op_sel:[0,1]
	v_mov_b32_e32 v49, v31
	v_pk_fma_f32 v[36:37], v[44:45], v[32:33], v[34:35] op_sel:[0,0,1] op_sel_hi:[1,1,0] neg_lo:[0,0,1] neg_hi:[0,0,1]
	v_pk_fma_f32 v[32:33], v[44:45], v[32:33], v[34:35] op_sel:[0,0,1] op_sel_hi:[1,0,0]
	v_pk_add_f32 v[30:31], v[48:49], 0 op_sel_hi:[1,0]
	v_mov_b32_e32 v37, v33
	v_pk_mul_f32 v[32:33], v[40:41], v[42:43] op_sel:[0,1]
	v_pk_add_f32 v[30:31], v[30:31], v[46:47]
	v_pk_fma_f32 v[34:35], v[40:41], v[42:43], v[32:33] op_sel:[0,0,1] op_sel_hi:[1,1,0] neg_lo:[0,0,1] neg_hi:[0,0,1]
	v_pk_fma_f32 v[32:33], v[40:41], v[42:43], v[32:33] op_sel:[0,0,1] op_sel_hi:[1,0,0]
	v_pk_add_f32 v[30:31], v[30:31], v[36:37]
	v_mov_b32_e32 v35, v33
	v_pk_add_f32 v[30:31], v[30:31], v[34:35]
	s_barrier
	ds_write_b64 v29, v[30:31]
	s_waitcnt lgkmcnt(0)
	s_barrier
	s_and_saveexec_b64 s[10:11], s[8:9]
	s_cbranch_execz .LBB121_86
; %bb.85:
	v_lshlrev_b32_e32 v42, 3, v28
	ds_read2_b64 v[30:33], v42 offset1:1
	ds_read2_b64 v[34:37], v42 offset0:2 offset1:3
	ds_read2_b64 v[38:41], v42 offset0:4 offset1:5
	s_waitcnt lgkmcnt(2)
	v_pk_add_f32 v[18:19], v[18:19], v[30:31]
	v_pk_add_f32 v[18:19], v[18:19], v[32:33]
	ds_read2_b64 v[30:33], v42 offset0:6 offset1:7
	s_waitcnt lgkmcnt(2)
	v_pk_add_f32 v[18:19], v[18:19], v[34:35]
	v_pk_add_f32 v[18:19], v[18:19], v[36:37]
	s_waitcnt lgkmcnt(1)
	v_pk_add_f32 v[18:19], v[18:19], v[38:39]
	v_pk_add_f32 v[18:19], v[18:19], v[40:41]
	;; [unrolled: 3-line block ×3, first 2 shown]
.LBB121_86:
	s_or_b64 exec, exec, s[10:11]
	v_pk_mul_f32 v[30:31], v[12:13], v[8:9] op_sel:[0,1]
	v_pk_fma_f32 v[32:33], v[12:13], v[8:9], v[30:31] op_sel:[0,0,1] op_sel_hi:[1,1,0] neg_lo:[0,0,1] neg_hi:[0,0,1]
	v_pk_fma_f32 v[8:9], v[12:13], v[8:9], v[30:31] op_sel:[0,0,1] op_sel_hi:[1,0,0]
	v_mov_b32_e32 v12, v11
	v_pk_mul_f32 v[12:13], v[14:15], v[12:13] op_sel_hi:[1,0]
	v_pk_fma_f32 v[30:31], v[14:15], v[10:11], v[12:13] op_sel:[0,0,1] op_sel_hi:[1,1,0] neg_lo:[0,0,1] neg_hi:[0,0,1]
	v_pk_fma_f32 v[10:11], v[14:15], v[10:11], v[12:13] op_sel:[0,0,1] op_sel_hi:[1,0,0]
	v_mov_b32_e32 v33, v9
	v_mov_b32_e32 v31, v11
	v_pk_mul_f32 v[10:11], v[4:5], v[0:1] op_sel:[0,1]
	v_pk_add_f32 v[8:9], v[32:33], 0 op_sel_hi:[1,0]
	v_pk_fma_f32 v[12:13], v[4:5], v[0:1], v[10:11] op_sel:[0,0,1] op_sel_hi:[1,1,0] neg_lo:[0,0,1] neg_hi:[0,0,1]
	v_pk_fma_f32 v[0:1], v[4:5], v[0:1], v[10:11] op_sel:[0,0,1] op_sel_hi:[1,0,0]
	v_mov_b32_e32 v4, v3
	v_pk_add_f32 v[8:9], v[8:9], v[30:31]
	v_mov_b32_e32 v13, v1
	v_pk_mul_f32 v[4:5], v[6:7], v[4:5] op_sel_hi:[1,0]
	v_pk_add_f32 v[0:1], v[8:9], v[12:13]
	v_pk_fma_f32 v[8:9], v[6:7], v[2:3], v[4:5] op_sel:[0,0,1] op_sel_hi:[1,1,0] neg_lo:[0,0,1] neg_hi:[0,0,1]
	v_pk_fma_f32 v[2:3], v[6:7], v[2:3], v[4:5] op_sel:[0,0,1] op_sel_hi:[1,0,0]
	v_mov_b32_e32 v9, v3
	v_pk_add_f32 v[0:1], v[0:1], v[8:9]
	s_barrier
	ds_write_b64 v29, v[0:1]
	s_waitcnt lgkmcnt(0)
	s_barrier
	s_and_saveexec_b64 s[8:9], s[20:21]
	s_cbranch_execz .LBB121_88
; %bb.87:
	v_lshlrev_b32_e32 v14, 3, v28
	ds_read2_b64 v[0:3], v14 offset1:1
	ds_read2_b64 v[4:7], v14 offset0:2 offset1:3
	ds_read2_b64 v[8:11], v14 offset0:4 offset1:5
	s_waitcnt lgkmcnt(2)
	v_pk_add_f32 v[0:1], v[18:19], v[0:1]
	v_pk_add_f32 v[12:13], v[0:1], v[2:3]
	ds_read2_b64 v[0:3], v14 offset0:6 offset1:7
	s_waitcnt lgkmcnt(2)
	v_pk_add_f32 v[4:5], v[12:13], v[4:5]
	v_pk_add_f32 v[4:5], v[4:5], v[6:7]
	s_waitcnt lgkmcnt(1)
	v_pk_add_f32 v[4:5], v[4:5], v[8:9]
	v_pk_add_f32 v[4:5], v[4:5], v[10:11]
	;; [unrolled: 3-line block ×3, first 2 shown]
.LBB121_88:
	s_or_b64 exec, exec, s[8:9]
	s_load_dwordx2 s[4:5], s[4:5], 0x68
	s_mul_hi_u32 s8, s40, s7
	s_mul_i32 s42, s42, s7
	s_add_i32 s8, s8, s42
	s_mul_i32 s7, s40, s7
	s_mul_i32 s8, s8, s41
	s_mul_hi_u32 s9, s7, s41
	s_add_i32 s9, s9, s8
	s_mul_i32 s8, s7, s41
	s_lshl_b64 s[8:9], s[8:9], 3
	s_waitcnt lgkmcnt(0)
	s_add_u32 s7, s4, s8
	s_mul_i32 s4, s6, s40
	s_addc_u32 s8, s5, s9
	s_ashr_i32 s5, s4, 31
	s_lshl_b64 s[4:5], s[4:5], 3
	s_add_u32 s7, s7, s4
	v_cmp_le_i32_e32 vcc, s24, v26
	s_addc_u32 s27, s8, s5
	s_and_b64 vcc, s[30:31], vcc
	s_cmp_lt_i32 s6, 1
	v_lshlrev_b32_e32 v72, 3, v26
	s_barrier
	s_cbranch_scc1 .LBB121_95
; %bb.89:
	s_mul_i32 s4, s26, s33
	s_ashr_i32 s5, s4, 31
	s_lshl_b64 s[4:5], s[4:5], 3
	v_mov_b32_e32 v0, s5
	v_subrev_co_u32_e64 v73, s[4:5], s4, v20
	v_subb_co_u32_e64 v74, s[4:5], v21, v0, s[4:5]
	v_mov_b32_e32 v0, s29
	v_subrev_co_u32_e64 v1, s[4:5], s28, v24
	v_subb_co_u32_e64 v0, s[4:5], v25, v0, s[4:5]
	v_sub_co_u32_e64 v4, s[4:5], v1, v22
	v_subb_co_u32_e64 v5, s[4:5], v0, v23, s[4:5]
	v_mul_lo_u32 v0, v17, s22
	v_lshl_add_u32 v0, v0, 2, v26
	v_ashrrev_i32_e32 v1, 31, v0
	v_lshlrev_b64 v[0:1], 3, v[0:1]
	v_add_co_u32_e64 v0, s[4:5], v4, v0
	v_addc_co_u32_e64 v1, s[4:5], v5, v1, s[4:5]
	s_movk_i32 s4, 0xff00
	v_add_co_u32_e64 v4, s[4:5], s4, v0
	v_addc_co_u32_e64 v5, s[4:5], -1, v1, s[4:5]
	v_sub_co_u32_e64 v0, s[4:5], v0, v72
	v_subbrev_co_u32_e64 v1, s[4:5], 0, v1, s[4:5]
	s_ashr_i32 s25, s24, 31
	s_lshl_b64 s[4:5], s[24:25], 3
	v_mov_b32_e32 v6, s5
	v_add_co_u32_e64 v0, s[4:5], s4, v0
	v_addc_co_u32_e64 v1, s[4:5], v1, v6, s[4:5]
	s_movk_i32 s4, 0xfef8
	v_add_co_u32_e64 v0, s[4:5], s4, v0
	v_addc_co_u32_e64 v1, s[4:5], -1, v1, s[4:5]
	v_cndmask_b32_e32 v14, v4, v0, vcc
	v_and_b32_e32 v0, 48, v26
	v_and_b32_e32 v2, 15, v26
	v_cndmask_b32_e32 v15, v5, v1, vcc
	v_lshlrev_b32_e32 v1, 3, v0
	s_movk_i32 s8, 0x218
	v_lshrrev_b32_e32 v3, 4, v27
	v_mad_u32_u24 v77, v2, s8, v1
	v_or_b32_e32 v1, 0x78, v72
	v_mad_u32_u24 v78, v2, s8, v1
	v_lshlrev_b32_e32 v1, 5, v3
	v_mad_u32_u24 v79, v2, s8, v1
	v_mov_b32_e32 v1, 0x2180
	s_ashr_i32 s23, s22, 31
	v_lshl_add_u32 v80, v17, 5, v1
	s_movk_i32 s9, 0x860
	v_lshlrev_b32_e32 v1, 3, v3
	v_mad_u32_u24 v81, v17, s9, v72
	v_mad_u32_u24 v82, v2, s8, v1
	s_lshl_b64 s[10:11], s[22:23], 3
	s_lshl_b64 s[14:15], s[22:23], 4
	s_mul_hi_i32 s8, s22, 24
	s_mul_hi_i32 s9, s22, 0x90
	;; [unrolled: 1-line block ×10, first 2 shown]
	s_lshl_b64 s[16:17], s[22:23], 8
	s_mul_hi_i32 s45, s22, 0x88
	s_lshl_b64 s[18:19], s[22:23], 7
	v_mov_b32_e32 v13, 0
	s_lshl_b32 s24, s33, 6
	v_add_u32_e32 v75, 0x2180, v72
	v_add_u32_e32 v76, 0x2380, v72
	v_cmp_gt_u32_e64 s[4:5], 64, v27
	s_lshl_b64 s[12:13], s[22:23], 9
	s_mul_i32 s25, s22, 24
	s_mul_i32 s26, s22, 0x90
	;; [unrolled: 1-line block ×11, first 2 shown]
	v_or_b32_e32 v12, v0, v2
	s_mov_b32 s20, 0
	v_mov_b32_e32 v83, s11
	v_mov_b32_e32 v84, s15
	;; [unrolled: 1-line block ×15, first 2 shown]
	s_branch .LBB121_91
.LBB121_90:                             ;   in Loop: Header=BB121_91 Depth=1
	s_or_b64 exec, exec, s[22:23]
	v_mul_f32_e32 v98, v29, v21
	v_fma_f32 v98, v28, v20, -v98
	v_mul_f32_e32 v20, v29, v20
	v_mul_f32_e32 v29, v43, v23
	v_add_f32_e32 v18, v18, v98
	v_fma_f32 v29, v42, v22, -v29
	v_add_f32_e32 v18, v18, v29
	v_mul_f32_e32 v29, v41, v25
	v_fma_f32 v29, v40, v24, -v29
	v_mul_f32_e32 v22, v43, v22
	v_add_f32_e32 v18, v18, v29
	v_mul_f32_e32 v29, v39, v27
	v_fmac_f32_e32 v20, v28, v21
	v_mul_f32_e32 v24, v41, v24
	v_fma_f32 v29, v38, v26, -v29
	v_add_f32_e32 v19, v19, v20
	v_fmac_f32_e32 v22, v42, v23
	v_mul_f32_e32 v20, v51, v35
	v_mul_f32_e32 v26, v39, v26
	v_add_f32_e32 v18, v18, v29
	v_add_f32_e32 v19, v19, v22
	v_fmac_f32_e32 v24, v40, v25
	v_fma_f32 v20, v50, v34, -v20
	v_add_f32_e32 v19, v19, v24
	v_fmac_f32_e32 v26, v38, v27
	v_mul_f32_e32 v24, v51, v34
	v_add_f32_e32 v18, v18, v20
	v_mul_f32_e32 v20, v59, v33
	v_add_f32_e32 v19, v19, v26
	v_fma_f32 v20, v58, v32, -v20
	v_mul_f32_e32 v25, v59, v32
	v_fmac_f32_e32 v24, v50, v35
	v_add_f32_e32 v18, v18, v20
	v_mul_f32_e32 v20, v55, v31
	v_mul_f32_e32 v21, v55, v30
	v_add_f32_e32 v19, v19, v24
	v_fmac_f32_e32 v25, v58, v33
	v_fma_f32 v20, v54, v30, -v20
	v_add_f32_e32 v19, v19, v25
	v_fmac_f32_e32 v21, v54, v31
	v_mul_f32_e32 v22, v57, v37
	v_mul_f32_e32 v23, v57, v36
	v_pk_add_f32 v[18:19], v[18:19], v[20:21]
	v_mov_b32_e32 v20, v53
	v_fma_f32 v22, v56, v36, -v22
	v_fmac_f32_e32 v23, v56, v37
	v_pk_mul_f32 v[20:21], v[70:71], v[20:21] op_sel_hi:[1,0]
	v_pk_add_f32 v[18:19], v[18:19], v[22:23]
	v_pk_fma_f32 v[22:23], v[70:71], v[52:53], v[20:21] op_sel:[0,0,1] op_sel_hi:[1,1,0] neg_lo:[0,0,1] neg_hi:[0,0,1]
	v_pk_fma_f32 v[20:21], v[70:71], v[52:53], v[20:21] op_sel:[0,0,1] op_sel_hi:[1,0,0]
	v_mov_b32_e32 v20, v49
	v_mov_b32_e32 v23, v21
	v_pk_mul_f32 v[20:21], v[8:9], v[20:21] op_sel_hi:[1,0]
	v_pk_add_f32 v[18:19], v[18:19], v[22:23]
	v_pk_fma_f32 v[22:23], v[8:9], v[48:49], v[20:21] op_sel:[0,0,1] op_sel_hi:[1,1,0] neg_lo:[0,0,1] neg_hi:[0,0,1]
	v_pk_fma_f32 v[8:9], v[8:9], v[48:49], v[20:21] op_sel:[0,0,1] op_sel_hi:[1,0,0]
	v_mov_b32_e32 v23, v9
	v_pk_add_f32 v[8:9], v[18:19], v[22:23]
	v_mov_b32_e32 v18, v47
	v_pk_mul_f32 v[18:19], v[10:11], v[18:19] op_sel_hi:[1,0]
	v_pk_fma_f32 v[20:21], v[10:11], v[46:47], v[18:19] op_sel:[0,0,1] op_sel_hi:[1,1,0] neg_lo:[0,0,1] neg_hi:[0,0,1]
	v_pk_fma_f32 v[10:11], v[10:11], v[46:47], v[18:19] op_sel:[0,0,1] op_sel_hi:[1,0,0]
	v_mov_b32_e32 v10, v45
	v_mov_b32_e32 v21, v11
	v_pk_mul_f32 v[10:11], v[68:69], v[10:11] op_sel_hi:[1,0]
	v_pk_fma_f32 v[18:19], v[68:69], v[44:45], v[10:11] op_sel:[0,0,1] op_sel_hi:[1,1,0] neg_lo:[0,0,1] neg_hi:[0,0,1]
	v_pk_fma_f32 v[10:11], v[68:69], v[44:45], v[10:11] op_sel:[0,0,1] op_sel_hi:[1,0,0]
	v_mov_b32_e32 v10, v67
	v_pk_add_f32 v[8:9], v[8:9], v[20:21]
	v_mov_b32_e32 v19, v11
	v_pk_mul_f32 v[10:11], v[0:1], v[10:11] op_sel_hi:[1,0]
	v_pk_add_f32 v[8:9], v[8:9], v[18:19]
	v_pk_fma_f32 v[18:19], v[0:1], v[66:67], v[10:11] op_sel:[0,0,1] op_sel_hi:[1,1,0] neg_lo:[0,0,1] neg_hi:[0,0,1]
	v_pk_fma_f32 v[0:1], v[0:1], v[66:67], v[10:11] op_sel:[0,0,1] op_sel_hi:[1,0,0]
	v_mov_b32_e32 v0, v65
	v_mov_b32_e32 v19, v1
	v_pk_mul_f32 v[0:1], v[6:7], v[0:1] op_sel_hi:[1,0]
	v_pk_fma_f32 v[10:11], v[6:7], v[64:65], v[0:1] op_sel:[0,0,1] op_sel_hi:[1,1,0] neg_lo:[0,0,1] neg_hi:[0,0,1]
	v_pk_fma_f32 v[0:1], v[6:7], v[64:65], v[0:1] op_sel:[0,0,1] op_sel_hi:[1,0,0]
	v_mov_b32_e32 v0, v61
	v_mov_b32_e32 v11, v1
	v_pk_mul_f32 v[0:1], v[4:5], v[0:1] op_sel_hi:[1,0]
	;; [unrolled: 5-line block ×3, first 2 shown]
	v_pk_fma_f32 v[4:5], v[2:3], v[62:63], v[0:1] op_sel:[0,0,1] op_sel_hi:[1,1,0] neg_lo:[0,0,1] neg_hi:[0,0,1]
	v_pk_fma_f32 v[0:1], v[2:3], v[62:63], v[0:1] op_sel:[0,0,1] op_sel_hi:[1,0,0]
	v_mov_b32_e32 v5, v1
	v_pk_add_f32 v[0:1], v[8:9], v[18:19]
	v_pk_add_f32 v[0:1], v[0:1], v[10:11]
	;; [unrolled: 1-line block ×4, first 2 shown]
	v_mov_b32_e32 v0, s13
	v_add_co_u32_e64 v14, s[8:9], s12, v14
	s_add_i32 s6, s6, -1
	s_add_i32 s20, s20, s24
	v_addc_co_u32_e64 v15, s[8:9], v15, v0, s[8:9]
	s_cmp_eq_u32 s6, 0
	v_add_u32_e32 v12, 64, v12
	s_barrier
	s_cbranch_scc1 .LBB121_95
.LBB121_91:                             ; =>This Inner Loop Header: Depth=1
	s_and_saveexec_b64 s[22:23], s[2:3]
	s_cbranch_execz .LBB121_93
; %bb.92:                               ;   in Loop: Header=BB121_91 Depth=1
	s_ashr_i32 s21, s20, 31
	s_lshl_b64 s[8:9], s[20:21], 3
	v_mov_b32_e32 v1, s9
	v_add_co_u32_e64 v0, s[8:9], s8, v73
	v_addc_co_u32_e64 v1, s[8:9], v74, v1, s[8:9]
	global_load_dwordx2 v[0:1], v[0:1], off
	s_waitcnt vmcnt(0)
	ds_write_b64 v75, v[0:1]
.LBB121_93:                             ;   in Loop: Header=BB121_91 Depth=1
	s_or_b64 exec, exec, s[22:23]
	v_add_co_u32_e64 v0, s[8:9], s10, v14
	v_addc_co_u32_e64 v1, s[8:9], v15, v83, s[8:9]
	v_add_co_u32_e64 v2, s[8:9], s14, v14
	s_waitcnt lgkmcnt(0)
	s_barrier
	global_load_dwordx2 v[20:21], v[14:15], off
	v_addc_co_u32_e64 v3, s[8:9], v15, v84, s[8:9]
	global_load_dwordx2 v[22:23], v[0:1], off
	global_load_dwordx2 v[24:25], v[2:3], off
	v_add_co_u32_e64 v0, s[8:9], s25, v14
	v_addc_co_u32_e64 v1, s[8:9], v15, v85, s[8:9]
	global_load_dwordx2 v[26:27], v[0:1], off
	ds_read_b64 v[0:1], v76
	ds_read_b64 v[28:29], v80
	v_add_co_u32_e64 v8, s[8:9], s18, v14
	v_addc_co_u32_e64 v9, s[8:9], v15, v86, s[8:9]
	v_add_co_u32_e64 v10, s[8:9], s37, v14
	v_addc_co_u32_e64 v11, s[8:9], v15, v87, s[8:9]
	;; [unrolled: 2-line block ×3, first 2 shown]
	s_waitcnt vmcnt(3) lgkmcnt(1)
	v_mul_f32_e32 v2, v1, v21
	v_mul_f32_e32 v3, v1, v20
	v_fma_f32 v2, v0, v20, -v2
	v_fmac_f32_e32 v3, v0, v21
	s_waitcnt vmcnt(2)
	v_mul_f32_e32 v4, v1, v23
	v_mul_f32_e32 v5, v1, v22
	s_waitcnt vmcnt(1)
	v_mul_f32_e32 v6, v1, v25
	v_mul_f32_e32 v7, v1, v24
	ds_write_b64 v81, v[2:3]
	v_fma_f32 v4, v0, v22, -v4
	v_fmac_f32_e32 v5, v0, v23
	s_waitcnt vmcnt(0)
	v_mul_f32_e32 v30, v1, v27
	v_mul_f32_e32 v31, v0, v27
	v_fma_f32 v6, v0, v24, -v6
	v_fmac_f32_e32 v7, v0, v25
	ds_read_b64 v[42:43], v80 offset:8
	ds_write_b64 v81, v[4:5] offset:536
	v_fma_f32 v30, v0, v26, -v30
	v_fmac_f32_e32 v31, v1, v26
	ds_read_b64 v[40:41], v80 offset:16
	ds_write_b64 v81, v[6:7] offset:1072
	ds_read_b64 v[38:39], v80 offset:24
	ds_write_b64 v81, v[30:31] offset:1608
	s_waitcnt lgkmcnt(0)
	s_barrier
	ds_read2_b64 v[4:7], v79 offset1:1
	ds_read2_b64 v[0:3], v79 offset0:2 offset1:3
	s_waitcnt lgkmcnt(0)
	s_barrier
	global_load_dwordx2 v[34:35], v[8:9], off
	global_load_dwordx2 v[32:33], v[10:11], off
	;; [unrolled: 1-line block ×3, first 2 shown]
	v_add_co_u32_e64 v8, s[8:9], s28, v14
	v_addc_co_u32_e64 v9, s[8:9], v15, v89, s[8:9]
	global_load_dwordx2 v[36:37], v[8:9], off
	ds_read_b64 v[44:45], v76
	ds_read_b64 v[50:51], v80 offset:128
	v_add_co_u32_e64 v8, s[8:9], s16, v14
	v_addc_co_u32_e64 v9, s[8:9], v15, v90, s[8:9]
	v_add_co_u32_e64 v10, s[8:9], s36, v14
	v_addc_co_u32_e64 v11, s[8:9], v15, v91, s[8:9]
	v_add_co_u32_e64 v60, s[8:9], s29, v14
	v_addc_co_u32_e64 v61, s[8:9], v15, v92, s[8:9]
	v_pk_add_f32 v[4:5], v[4:5], 0 op_sel_hi:[1,0]
	v_pk_add_f32 v[4:5], v[4:5], v[6:7]
	v_pk_add_f32 v[0:1], v[4:5], v[0:1]
	s_waitcnt vmcnt(3) lgkmcnt(1)
	v_mul_f32_e32 v46, v45, v35
	v_mul_f32_e32 v47, v45, v34
	s_waitcnt vmcnt(2)
	v_mul_f32_e32 v48, v45, v33
	v_mul_f32_e32 v49, v45, v32
	v_fma_f32 v46, v44, v34, -v46
	v_fmac_f32_e32 v47, v44, v35
	s_waitcnt vmcnt(1)
	v_mul_f32_e32 v52, v45, v31
	v_mul_f32_e32 v53, v45, v30
	v_fma_f32 v48, v44, v32, -v48
	v_fmac_f32_e32 v49, v44, v33
	ds_write_b64 v81, v[46:47]
	s_waitcnt vmcnt(0)
	v_mul_f32_e32 v54, v45, v37
	v_mul_f32_e32 v63, v44, v37
	v_fma_f32 v52, v44, v30, -v52
	v_fmac_f32_e32 v53, v44, v31
	ds_read_b64 v[58:59], v80 offset:136
	ds_write_b64 v81, v[48:49] offset:536
	v_fma_f32 v62, v44, v36, -v54
	v_fmac_f32_e32 v63, v45, v36
	ds_read_b64 v[54:55], v80 offset:144
	ds_write_b64 v81, v[52:53] offset:1072
	ds_read_b64 v[56:57], v80 offset:152
	ds_write_b64 v81, v[62:63] offset:1608
	s_waitcnt lgkmcnt(0)
	s_barrier
	ds_read2_b64 v[98:101], v79 offset1:1
	ds_read2_b64 v[102:105], v79 offset0:2 offset1:3
	s_waitcnt lgkmcnt(0)
	s_barrier
	global_load_dwordx2 v[52:53], v[8:9], off
	global_load_dwordx2 v[48:49], v[10:11], off
	;; [unrolled: 1-line block ×3, first 2 shown]
	v_add_co_u32_e64 v8, s[8:9], s30, v14
	v_addc_co_u32_e64 v9, s[8:9], v15, v93, s[8:9]
	global_load_dwordx2 v[44:45], v[8:9], off
	ds_read_b64 v[8:9], v76
	ds_read_b64 v[70:71], v80 offset:256
	v_add_co_u32_e64 v62, s[8:9], s35, v14
	v_addc_co_u32_e64 v63, s[8:9], v15, v94, s[8:9]
	v_add_co_u32_e64 v114, s[8:9], s34, v14
	v_addc_co_u32_e64 v115, s[8:9], v15, v95, s[8:9]
	;; [unrolled: 2-line block ×3, first 2 shown]
	s_waitcnt vmcnt(3) lgkmcnt(1)
	v_mul_f32_e32 v10, v9, v53
	v_mul_f32_e32 v11, v9, v52
	s_waitcnt vmcnt(2)
	v_mul_f32_e32 v60, v9, v49
	v_mul_f32_e32 v61, v9, v48
	s_waitcnt vmcnt(1)
	v_mul_f32_e32 v64, v9, v47
	v_mul_f32_e32 v65, v9, v46
	v_fma_f32 v10, v8, v52, -v10
	s_waitcnt vmcnt(0)
	v_mul_f32_e32 v66, v9, v45
	v_mul_f32_e32 v67, v8, v45
	v_fma_f32 v60, v8, v48, -v60
	v_fmac_f32_e32 v11, v8, v53
	v_fmac_f32_e32 v61, v8, v49
	v_fma_f32 v64, v8, v46, -v64
	v_fma_f32 v66, v8, v44, -v66
	v_fmac_f32_e32 v65, v8, v47
	v_fmac_f32_e32 v67, v9, v44
	ds_write2_b64 v81, v[10:11], v[60:61] offset1:67
	ds_write2_b64 v81, v[64:65], v[66:67] offset0:134 offset1:201
	ds_read2_b64 v[8:11], v80 offset0:33 offset1:34
	ds_read_b64 v[68:69], v80 offset:280
	s_waitcnt lgkmcnt(0)
	s_barrier
	ds_read2_b64 v[106:109], v79 offset1:1
	ds_read2_b64 v[110:113], v79 offset0:2 offset1:3
	s_waitcnt lgkmcnt(0)
	s_barrier
	global_load_dwordx2 v[66:67], v[62:63], off
	global_load_dwordx2 v[64:65], v[114:115], off
	;; [unrolled: 1-line block ×3, first 2 shown]
	v_add_co_u32_e64 v62, s[8:9], s33, v14
	v_addc_co_u32_e64 v63, s[8:9], v15, v97, s[8:9]
	global_load_dwordx2 v[62:63], v[62:63], off
	v_pk_add_f32 v[114:115], v[0:1], v[2:3]
	v_pk_add_f32 v[0:1], v[98:99], 0 op_sel_hi:[1,0]
	v_pk_add_f32 v[0:1], v[0:1], v[100:101]
	v_pk_add_f32 v[0:1], v[0:1], v[102:103]
	;; [unrolled: 1-line block ×3, first 2 shown]
	ds_read_b64 v[2:3], v76
	ds_read_b64 v[0:1], v80 offset:384
	v_pk_add_f32 v[4:5], v[106:107], 0 op_sel_hi:[1,0]
	v_pk_add_f32 v[4:5], v[4:5], v[108:109]
	v_pk_add_f32 v[4:5], v[4:5], v[110:111]
	;; [unrolled: 1-line block ×3, first 2 shown]
	s_waitcnt vmcnt(3) lgkmcnt(1)
	v_mul_f32_e32 v4, v3, v67
	v_mul_f32_e32 v5, v3, v66
	s_waitcnt vmcnt(2)
	v_mul_f32_e32 v6, v3, v65
	v_mul_f32_e32 v99, v3, v64
	v_fma_f32 v4, v2, v66, -v4
	v_fmac_f32_e32 v5, v2, v67
	s_waitcnt vmcnt(1)
	v_mul_f32_e32 v7, v3, v61
	v_mul_f32_e32 v101, v3, v60
	v_fma_f32 v98, v2, v64, -v6
	v_fmac_f32_e32 v99, v2, v65
	ds_write_b64 v81, v[4:5]
	s_waitcnt vmcnt(0)
	v_mul_f32_e32 v102, v3, v63
	v_mul_f32_e32 v103, v2, v63
	v_fma_f32 v100, v2, v60, -v7
	v_fmac_f32_e32 v101, v2, v61
	ds_read_b64 v[6:7], v80 offset:392
	ds_write_b64 v81, v[98:99] offset:536
	v_fma_f32 v102, v2, v62, -v102
	v_fmac_f32_e32 v103, v3, v62
	ds_read_b64 v[4:5], v80 offset:400
	ds_write_b64 v81, v[100:101] offset:1072
	ds_read_b64 v[2:3], v80 offset:408
	ds_write_b64 v81, v[102:103] offset:1608
	s_waitcnt lgkmcnt(0)
	s_barrier
	ds_read2_b64 v[98:101], v79 offset1:1
	ds_read2_b64 v[102:105], v79 offset0:2 offset1:3
	s_waitcnt lgkmcnt(0)
	s_barrier
	v_pk_add_f32 v[98:99], v[98:99], 0 op_sel_hi:[1,0]
	v_pk_add_f32 v[98:99], v[98:99], v[100:101]
	v_pk_add_f32 v[98:99], v[98:99], v[102:103]
	;; [unrolled: 1-line block ×3, first 2 shown]
	ds_write2_b64 v82, v[114:115], v[116:117] offset1:16
	ds_write2_b64 v82, v[106:107], v[98:99] offset0:32 offset1:48
	s_waitcnt lgkmcnt(0)
	s_barrier
	s_and_saveexec_b64 s[22:23], s[4:5]
	s_cbranch_execz .LBB121_90
; %bb.94:                               ;   in Loop: Header=BB121_91 Depth=1
	ds_read_b64 v[106:107], v77
	ds_read2_b64 v[98:101], v77 offset0:1 offset1:2
	ds_read2_b64 v[102:105], v77 offset0:3 offset1:4
	v_lshlrev_b64 v[108:109], 3, v[12:13]
	v_mov_b32_e32 v111, s27
	v_add_co_u32_e64 v110, s[8:9], s7, v108
	s_waitcnt lgkmcnt(1)
	v_add_f32_e32 v98, v98, v106
	v_add_f32_e32 v99, v99, v107
	v_add_f32_e32 v106, v98, v100
	v_add_f32_e32 v107, v99, v101
	ds_read2_b64 v[98:101], v77 offset0:5 offset1:6
	s_waitcnt lgkmcnt(1)
	v_add_f32_e32 v102, v106, v102
	v_add_f32_e32 v103, v107, v103
	;; [unrolled: 1-line block ×4, first 2 shown]
	ds_read2_b64 v[102:105], v77 offset0:7 offset1:8
	v_addc_co_u32_e64 v111, s[8:9], v111, v109, s[8:9]
	s_waitcnt lgkmcnt(1)
	v_pk_add_f32 v[98:99], v[106:107], v[98:99]
	ds_read2_b64 v[106:109], v77 offset0:9 offset1:10
	v_pk_add_f32 v[98:99], v[98:99], v[100:101]
	s_waitcnt lgkmcnt(1)
	v_pk_add_f32 v[98:99], v[98:99], v[102:103]
	v_pk_add_f32 v[102:103], v[98:99], v[104:105]
	ds_read2_b64 v[98:101], v77 offset0:11 offset1:12
	s_waitcnt lgkmcnt(1)
	v_pk_add_f32 v[106:107], v[102:103], v[106:107]
	ds_read2_b64 v[102:105], v77 offset0:13 offset1:14
	v_pk_add_f32 v[106:107], v[106:107], v[108:109]
	ds_read_b64 v[108:109], v78
	s_waitcnt lgkmcnt(2)
	v_pk_add_f32 v[98:99], v[106:107], v[98:99]
	v_pk_add_f32 v[98:99], v[98:99], v[100:101]
	s_waitcnt lgkmcnt(1)
	v_pk_add_f32 v[98:99], v[98:99], v[102:103]
	v_pk_add_f32 v[98:99], v[98:99], v[104:105]
	s_waitcnt lgkmcnt(0)
	v_pk_add_f32 v[98:99], v[98:99], v[108:109]
	global_store_dwordx2 v[110:111], v[98:99], off
	s_branch .LBB121_90
.LBB121_95:
	s_movk_i32 s2, 0x218
	s_or_b64 s[0:1], s[0:1], vcc
	v_mad_u32_u24 v0, v17, s2, v72
	s_xor_b64 s[0:1], s[0:1], -1
	ds_write_b64 v0, v[18:19]
	s_waitcnt lgkmcnt(0)
	s_barrier
	s_and_saveexec_b64 s[2:3], s[0:1]
	s_cbranch_execz .LBB121_97
; %bb.96:
	ds_read2_b64 v[0:3], v72 offset1:67
	ds_read2_b64 v[4:7], v72 offset0:134 offset1:201
	v_ashrrev_i32_e32 v17, 31, v16
	v_lshlrev_b64 v[8:9], 3, v[16:17]
	v_mov_b32_e32 v10, s27
	s_waitcnt lgkmcnt(1)
	v_pk_add_f32 v[0:1], v[2:3], v[0:1]
	v_add_co_u32_e32 v8, vcc, s7, v8
	s_waitcnt lgkmcnt(0)
	v_pk_add_f32 v[0:1], v[0:1], v[4:5]
	v_addc_co_u32_e32 v9, vcc, v10, v9, vcc
	v_pk_add_f32 v[0:1], v[0:1], v[6:7]
	global_store_dwordx2 v[8:9], v[0:1], off
.LBB121_97:
	s_endpgm
	.section	.rodata,"a",@progbits
	.p2align	6, 0x0
	.amdhsa_kernel _ZL26rocblas_hemvn_kernel_lowerILb0ELi64ELi4ELi33ELi32ELi16Ei19rocblas_complex_numIfEPKS1_PS1_EviT6_lT7_lT5_lS6_lS7_lS5_lT8_i
		.amdhsa_group_segment_fixed_size 9600
		.amdhsa_private_segment_fixed_size 0
		.amdhsa_kernarg_size 376
		.amdhsa_user_sgpr_count 6
		.amdhsa_user_sgpr_private_segment_buffer 1
		.amdhsa_user_sgpr_dispatch_ptr 0
		.amdhsa_user_sgpr_queue_ptr 0
		.amdhsa_user_sgpr_kernarg_segment_ptr 1
		.amdhsa_user_sgpr_dispatch_id 0
		.amdhsa_user_sgpr_flat_scratch_init 0
		.amdhsa_user_sgpr_kernarg_preload_length 0
		.amdhsa_user_sgpr_kernarg_preload_offset 0
		.amdhsa_user_sgpr_private_segment_size 0
		.amdhsa_uses_dynamic_stack 0
		.amdhsa_system_sgpr_private_segment_wavefront_offset 0
		.amdhsa_system_sgpr_workgroup_id_x 1
		.amdhsa_system_sgpr_workgroup_id_y 0
		.amdhsa_system_sgpr_workgroup_id_z 1
		.amdhsa_system_sgpr_workgroup_info 0
		.amdhsa_system_vgpr_workitem_id 1
		.amdhsa_next_free_vgpr 118
		.amdhsa_next_free_sgpr 46
		.amdhsa_accum_offset 120
		.amdhsa_reserve_vcc 1
		.amdhsa_reserve_flat_scratch 0
		.amdhsa_float_round_mode_32 0
		.amdhsa_float_round_mode_16_64 0
		.amdhsa_float_denorm_mode_32 3
		.amdhsa_float_denorm_mode_16_64 3
		.amdhsa_dx10_clamp 1
		.amdhsa_ieee_mode 1
		.amdhsa_fp16_overflow 0
		.amdhsa_tg_split 0
		.amdhsa_exception_fp_ieee_invalid_op 0
		.amdhsa_exception_fp_denorm_src 0
		.amdhsa_exception_fp_ieee_div_zero 0
		.amdhsa_exception_fp_ieee_overflow 0
		.amdhsa_exception_fp_ieee_underflow 0
		.amdhsa_exception_fp_ieee_inexact 0
		.amdhsa_exception_int_div_zero 0
	.end_amdhsa_kernel
	.section	.text._ZL26rocblas_hemvn_kernel_lowerILb0ELi64ELi4ELi33ELi32ELi16Ei19rocblas_complex_numIfEPKS1_PS1_EviT6_lT7_lT5_lS6_lS7_lS5_lT8_i,"axG",@progbits,_ZL26rocblas_hemvn_kernel_lowerILb0ELi64ELi4ELi33ELi32ELi16Ei19rocblas_complex_numIfEPKS1_PS1_EviT6_lT7_lT5_lS6_lS7_lS5_lT8_i,comdat
.Lfunc_end121:
	.size	_ZL26rocblas_hemvn_kernel_lowerILb0ELi64ELi4ELi33ELi32ELi16Ei19rocblas_complex_numIfEPKS1_PS1_EviT6_lT7_lT5_lS6_lS7_lS5_lT8_i, .Lfunc_end121-_ZL26rocblas_hemvn_kernel_lowerILb0ELi64ELi4ELi33ELi32ELi16Ei19rocblas_complex_numIfEPKS1_PS1_EviT6_lT7_lT5_lS6_lS7_lS5_lT8_i
                                        ; -- End function
	.section	.AMDGPU.csdata,"",@progbits
; Kernel info:
; codeLenInByte = 7664
; NumSgprs: 50
; NumVgprs: 118
; NumAgprs: 0
; TotalNumVgprs: 118
; ScratchSize: 0
; MemoryBound: 1
; FloatMode: 240
; IeeeMode: 1
; LDSByteSize: 9600 bytes/workgroup (compile time only)
; SGPRBlocks: 6
; VGPRBlocks: 14
; NumSGPRsForWavesPerEU: 50
; NumVGPRsForWavesPerEU: 118
; AccumOffset: 120
; Occupancy: 4
; WaveLimiterHint : 1
; COMPUTE_PGM_RSRC2:SCRATCH_EN: 0
; COMPUTE_PGM_RSRC2:USER_SGPR: 6
; COMPUTE_PGM_RSRC2:TRAP_HANDLER: 0
; COMPUTE_PGM_RSRC2:TGID_X_EN: 1
; COMPUTE_PGM_RSRC2:TGID_Y_EN: 0
; COMPUTE_PGM_RSRC2:TGID_Z_EN: 1
; COMPUTE_PGM_RSRC2:TIDIG_COMP_CNT: 1
; COMPUTE_PGM_RSRC3_GFX90A:ACCUM_OFFSET: 29
; COMPUTE_PGM_RSRC3_GFX90A:TG_SPLIT: 0
	.section	.text._ZL26rocblas_hemvn_kernel_upperILb0ELi64ELi4ELi33ELi32ELi16ElPK19rocblas_complex_numIdES3_PS1_EviT6_lT7_lT5_lS6_lS7_lS5_lT8_i,"axG",@progbits,_ZL26rocblas_hemvn_kernel_upperILb0ELi64ELi4ELi33ELi32ELi16ElPK19rocblas_complex_numIdES3_PS1_EviT6_lT7_lT5_lS6_lS7_lS5_lT8_i,comdat
	.globl	_ZL26rocblas_hemvn_kernel_upperILb0ELi64ELi4ELi33ELi32ELi16ElPK19rocblas_complex_numIdES3_PS1_EviT6_lT7_lT5_lS6_lS7_lS5_lT8_i ; -- Begin function _ZL26rocblas_hemvn_kernel_upperILb0ELi64ELi4ELi33ELi32ELi16ElPK19rocblas_complex_numIdES3_PS1_EviT6_lT7_lT5_lS6_lS7_lS5_lT8_i
	.p2align	8
	.type	_ZL26rocblas_hemvn_kernel_upperILb0ELi64ELi4ELi33ELi32ELi16ElPK19rocblas_complex_numIdES3_PS1_EviT6_lT7_lT5_lS6_lS7_lS5_lT8_i,@function
_ZL26rocblas_hemvn_kernel_upperILb0ELi64ELi4ELi33ELi32ELi16ElPK19rocblas_complex_numIdES3_PS1_EviT6_lT7_lT5_lS6_lS7_lS5_lT8_i: ; @_ZL26rocblas_hemvn_kernel_upperILb0ELi64ELi4ELi33ELi32ELi16ElPK19rocblas_complex_numIdES3_PS1_EviT6_lT7_lT5_lS6_lS7_lS5_lT8_i
; %bb.0:
	s_load_dwordx2 s[2:3], s[4:5], 0x84
	s_add_u32 s0, s4, 0x78
	s_addc_u32 s1, s5, 0
	s_waitcnt lgkmcnt(0)
	s_lshr_b32 s8, s2, 16
	s_and_b32 s2, s2, 0xffff
	s_and_b32 s3, s3, 0xffff
	s_mul_i32 s2, s8, s2
	s_mul_i32 s2, s2, s3
	s_cmpk_lg_i32 s2, 0x100
	s_cbranch_scc1 .LBB122_154
; %bb.1:
	s_load_dwordx16 s[8:23], s[4:5], 0x8
	s_waitcnt lgkmcnt(0)
	s_mul_i32 s3, s7, s11
	s_mul_hi_u32 s11, s7, s10
	s_mul_i32 s2, s7, s10
	s_add_i32 s3, s11, s3
	s_lshl_b64 s[2:3], s[2:3], 4
	s_add_u32 s2, s8, s2
	s_addc_u32 s3, s9, s3
	s_load_dwordx4 s[8:11], s[2:3], 0x0
	s_load_dwordx2 s[34:35], s[4:5], 0x68
	s_load_dwordx8 s[24:31], s[4:5], 0x48
	s_waitcnt lgkmcnt(0)
	v_cmp_neq_f64_e64 s[2:3], s[8:9], 0
	v_cmp_neq_f64_e64 s[8:9], s[10:11], 0
	s_or_b64 s[2:3], s[2:3], s[8:9]
	s_mov_b64 s[8:9], -1
	s_and_b64 vcc, exec, s[2:3]
	s_cbranch_vccnz .LBB122_3
; %bb.2:
	s_mul_i32 s8, s7, s31
	s_mul_hi_u32 s9, s7, s30
	s_add_i32 s9, s9, s8
	s_mul_i32 s8, s7, s30
	s_lshl_b64 s[8:9], s[8:9], 4
	s_add_u32 s8, s28, s8
	s_addc_u32 s9, s29, s9
	s_load_dwordx4 s[8:11], s[8:9], 0x0
	s_waitcnt lgkmcnt(0)
	v_cmp_neq_f64_e64 s[8:9], s[8:9], 1.0
	v_cmp_neq_f64_e64 s[10:11], s[10:11], 0
	s_or_b64 s[8:9], s[8:9], s[10:11]
.LBB122_3:
	s_andn2_b64 vcc, exec, s[8:9]
	s_cbranch_vccnz .LBB122_154
; %bb.4:
	s_andn2_b64 vcc, exec, s[2:3]
	s_cbranch_vccnz .LBB122_154
; %bb.5:
	s_load_dword s33, s[0:1], 0x0
	s_load_dword s37, s[4:5], 0x0
	s_mul_i32 s0, s7, s27
	s_mul_hi_u32 s1, s7, s26
	s_add_i32 s1, s1, s0
	s_mul_i32 s0, s7, s26
	s_lshl_b64 s[0:1], s[0:1], 4
	s_add_u32 s2, s20, s0
	s_addc_u32 s3, s21, s1
	s_lshl_b64 s[0:1], s[22:23], 4
	s_add_u32 s2, s2, s0
	s_addc_u32 s3, s3, s1
	s_waitcnt lgkmcnt(0)
	s_ashr_i32 s38, s37, 31
	s_lshr_b32 s1, s38, 26
	v_and_b32_e32 v201, 0x3ff, v0
	s_lshl_b32 s22, s6, 6
	s_add_i32 s1, s37, s1
	s_andn2_b32 s1, s1, 63
	v_add_u32_e32 v166, s22, v201
	s_add_i32 s0, s33, -1
	s_sub_i32 s36, s37, s1
	v_ashrrev_i32_e32 v167, 31, v166
	v_bfe_u32 v202, v0, 10, 10
	s_cmp_eq_u32 s6, s0
	v_mul_lo_u32 v2, v167, s24
	v_mul_lo_u32 v3, v166, s25
	v_mad_u64_u32 v[0:1], s[0:1], v166, s24, 0
	v_add3_u32 v1, v1, v3, v2
	v_lshlrev_b64 v[0:1], 4, v[0:1]
	v_mov_b32_e32 v2, s3
	v_add_co_u32_e32 v38, vcc, s2, v0
	s_cselect_b32 s20, s36, 0
	v_addc_co_u32_e32 v39, vcc, v2, v1, vcc
	v_cmp_eq_u32_e64 s[0:1], 0, v202
	s_and_saveexec_b64 s[2:3], s[0:1]
	s_cbranch_execz .LBB122_10
; %bb.6:
	s_cmp_lg_u32 s20, 0
	s_cselect_b64 s[4:5], -1, 0
	v_cmp_le_i32_e32 vcc, s20, v201
	v_mov_b32_e32 v0, 0x4700
	s_and_b64 s[4:5], s[4:5], vcc
	v_lshl_add_u32 v0, v201, 4, v0
	s_and_saveexec_b64 s[8:9], s[4:5]
	s_xor_b64 s[4:5], exec, s[8:9]
	s_cbranch_execz .LBB122_8
; %bb.7:
	v_mov_b32_e32 v2, 0
	v_mov_b32_e32 v3, v2
	;; [unrolled: 1-line block ×4, first 2 shown]
	ds_write_b128 v0, v[2:5]
                                        ; implicit-def: $vgpr0
.LBB122_8:
	s_andn2_saveexec_b64 s[4:5], s[4:5]
	s_cbranch_execz .LBB122_10
; %bb.9:
	global_load_dwordx4 v[2:5], v[38:39], off
	s_waitcnt vmcnt(0)
	ds_write2_b64 v0, v[2:3], v[4:5] offset1:1
.LBB122_10:
	s_or_b64 exec, exec, s[2:3]
	s_mul_i32 s2, s7, s19
	s_mul_hi_u32 s3, s7, s18
	s_add_i32 s3, s3, s2
	s_mul_i32 s2, s7, s18
	s_lshl_b64 s[2:3], s[2:3], 4
	s_add_u32 s4, s12, s2
	s_addc_u32 s5, s13, s3
	s_lshl_b64 s[2:3], s[14:15], 4
	s_add_u32 s4, s4, s2
	s_addc_u32 s5, s5, s3
	s_ashr_i32 s23, s22, 31
	v_lshl_add_u32 v42, v202, 6, v201
	s_lshl_b64 s[2:3], s[22:23], 4
	v_and_b32_e32 v4, 31, v201
	v_lshrrev_b32_e32 v12, 5, v42
	s_add_u32 s4, s4, s2
	v_mov_b32_e32 v5, 0
	s_addc_u32 s5, s5, s3
	v_mad_u64_u32 v[0:1], s[2:3], v12, s16, v[4:5]
	v_mov_b32_e32 v2, v1
	v_mad_u64_u32 v[2:3], s[2:3], v12, s17, v[2:3]
	s_mul_i32 s2, s22, s17
	s_mul_hi_u32 s3, s22, s16
	s_add_i32 s2, s3, s2
	s_mul_i32 s3, s23, s16
	s_add_i32 s3, s2, s3
	s_mul_i32 s2, s22, s16
	s_lshl_b64 s[2:3], s[2:3], 4
	s_add_u32 s2, s2, s4
	v_mov_b32_e32 v1, v2
	s_addc_u32 s3, s3, s5
	v_lshlrev_b64 v[36:37], 4, v[0:1]
	s_cmp_eq_u32 s20, 0
	v_mov_b32_e32 v1, s3
	v_add_co_u32_e32 v0, vcc, s2, v36
	s_cselect_b64 s[18:19], -1, 0
	s_cmp_lg_u32 s20, 0
	v_addc_co_u32_e32 v1, vcc, v1, v37, vcc
	s_cselect_b64 s[26:27], -1, 0
	s_and_b64 vcc, exec, s[26:27]
	v_cmp_gt_i32_e64 s[2:3], s20, v4
	v_lshlrev_b32_e32 v13, 4, v4
	v_mul_u32_u24_e32 v5, 33, v12
	s_mul_i32 s39, s17, 0x180
	s_cbranch_vccz .LBB122_28
; %bb.11:
	v_sub_co_u32_e32 v2, vcc, v0, v13
	s_ashr_i32 s21, s20, 31
	v_subbrev_co_u32_e32 v3, vcc, 0, v1, vcc
	s_lshl_b64 s[4:5], s[20:21], 4
	v_mov_b32_e32 v6, s5
	v_add_co_u32_e32 v2, vcc, s4, v2
	v_addc_co_u32_e32 v3, vcc, v3, v6, vcc
	v_add_co_u32_e32 v2, vcc, -16, v2
	v_addc_co_u32_e32 v3, vcc, -1, v3, vcc
	v_cndmask_b32_e64 v3, v3, v1, s[2:3]
	v_cndmask_b32_e64 v2, v2, v0, s[2:3]
	v_cmp_le_i32_e32 vcc, s20, v12
	v_add_lshl_u32 v6, v5, v4, 4
	s_and_saveexec_b64 s[8:9], vcc
	s_xor_b64 s[8:9], exec, s[8:9]
	s_cbranch_execz .LBB122_13
; %bb.12:
	v_mov_b32_e32 v8, 0
	v_mov_b32_e32 v9, v8
	;; [unrolled: 1-line block ×4, first 2 shown]
	ds_write_b128 v6, v[8:11]
.LBB122_13:
	s_andn2_saveexec_b64 s[8:9], s[8:9]
	s_cbranch_execz .LBB122_15
; %bb.14:
	global_load_dwordx4 v[8:11], v[2:3], off
	s_waitcnt vmcnt(0)
	ds_write2_b64 v6, v[8:9], v[10:11] offset1:1
.LBB122_15:
	s_or_b64 exec, exec, s[8:9]
	v_add_u32_e32 v7, 8, v12
	v_cmp_le_i32_e32 vcc, s20, v7
	s_and_saveexec_b64 s[8:9], vcc
	s_xor_b64 s[8:9], exec, s[8:9]
	s_cbranch_execz .LBB122_17
; %bb.16:
	v_mul_u32_u24_e32 v7, 33, v7
	v_mov_b32_e32 v8, 0
	v_add_lshl_u32 v7, v7, v4, 4
	v_mov_b32_e32 v9, v8
	v_mov_b32_e32 v10, v8
	;; [unrolled: 1-line block ×3, first 2 shown]
	ds_write_b128 v7, v[8:11]
.LBB122_17:
	s_andn2_saveexec_b64 s[8:9], s[8:9]
	s_cbranch_execz .LBB122_19
; %bb.18:
	s_lshl_b64 s[10:11], s[16:17], 7
	v_mov_b32_e32 v7, s11
	v_add_co_u32_e32 v8, vcc, s10, v2
	v_addc_co_u32_e32 v9, vcc, v3, v7, vcc
	global_load_dwordx4 v[8:11], v[8:9], off
	v_add_u32_e32 v7, 0x1080, v6
	s_waitcnt vmcnt(0)
	ds_write2_b64 v7, v[8:9], v[10:11] offset1:1
.LBB122_19:
	s_or_b64 exec, exec, s[8:9]
	v_add_u32_e32 v7, 16, v12
	v_cmp_le_i32_e32 vcc, s20, v7
	s_and_saveexec_b64 s[8:9], vcc
	s_xor_b64 s[8:9], exec, s[8:9]
	s_cbranch_execz .LBB122_21
; %bb.20:
	v_mov_b32_e32 v8, 0
	v_mov_b32_e32 v9, v8
	;; [unrolled: 1-line block ×4, first 2 shown]
	ds_write_b128 v6, v[8:11] offset:8448
.LBB122_21:
	s_andn2_saveexec_b64 s[8:9], s[8:9]
	s_cbranch_execz .LBB122_23
; %bb.22:
	s_lshl_b64 s[10:11], s[16:17], 8
	v_mov_b32_e32 v7, s11
	v_add_co_u32_e32 v8, vcc, s10, v2
	v_addc_co_u32_e32 v9, vcc, v3, v7, vcc
	global_load_dwordx4 v[8:11], v[8:9], off
	v_add_u32_e32 v7, 0x2100, v6
	s_waitcnt vmcnt(0)
	ds_write2_b64 v7, v[8:9], v[10:11] offset1:1
.LBB122_23:
	s_or_b64 exec, exec, s[8:9]
	v_add_u32_e32 v7, 24, v12
	v_cmp_le_i32_e32 vcc, s20, v7
	s_and_saveexec_b64 s[8:9], vcc
	s_xor_b64 s[8:9], exec, s[8:9]
	s_cbranch_execz .LBB122_25
; %bb.24:
	v_mov_b32_e32 v8, 0
	v_mov_b32_e32 v9, v8
	;; [unrolled: 1-line block ×4, first 2 shown]
	ds_write_b128 v6, v[8:11] offset:12672
                                        ; implicit-def: $vgpr6
.LBB122_25:
	s_andn2_saveexec_b64 s[8:9], s[8:9]
	s_cbranch_execz .LBB122_27
; %bb.26:
	v_mov_b32_e32 v7, 0x180
	v_mad_u64_u32 v[8:9], s[10:11], s16, v7, v[2:3]
	v_add_u32_e32 v9, s39, v9
	global_load_dwordx4 v[8:11], v[8:9], off
	v_add_u32_e32 v6, 0x3180, v6
	s_waitcnt vmcnt(0)
	ds_write2_b64 v6, v[8:9], v[10:11] offset1:1
.LBB122_27:
	s_or_b64 exec, exec, s[8:9]
	v_add_co_u32_e32 v2, vcc, v2, v13
	v_addc_co_u32_e32 v3, vcc, 0, v3, vcc
	v_mov_b32_e32 v6, s5
	v_subrev_co_u32_e32 v2, vcc, s4, v2
	v_subb_co_u32_e32 v3, vcc, v3, v6, vcc
	v_add_co_u32_e32 v2, vcc, 16, v2
	v_addc_co_u32_e32 v3, vcc, 0, v3, vcc
	v_cndmask_b32_e64 v7, v3, v1, s[2:3]
	v_cndmask_b32_e64 v6, v2, v0, s[2:3]
	s_branch .LBB122_30
.LBB122_28:
                                        ; implicit-def: $vgpr6_vgpr7
	s_cbranch_execz .LBB122_30
; %bb.29:
	s_lshl_b64 s[2:3], s[16:17], 7
	v_mov_b32_e32 v10, s3
	v_add_co_u32_e32 v2, vcc, s2, v0
	v_addc_co_u32_e32 v3, vcc, v1, v10, vcc
	global_load_dwordx4 v[6:9], v[0:1], off
	global_load_dwordx4 v[14:17], v[2:3], off
	v_add_co_u32_e32 v2, vcc, s2, v2
	v_addc_co_u32_e32 v3, vcc, v3, v10, vcc
	v_mov_b32_e32 v10, 0x180
	v_mad_u64_u32 v[10:11], s[2:3], s16, v10, v[0:1]
	v_add_u32_e32 v11, s39, v11
	global_load_dwordx4 v[18:21], v[10:11], off
	global_load_dwordx4 v[22:25], v[2:3], off
	v_add_lshl_u32 v2, v5, v4, 4
	v_add_u32_e32 v3, 0x1080, v2
	v_add_u32_e32 v10, 0x2100, v2
	;; [unrolled: 1-line block ×3, first 2 shown]
	s_waitcnt vmcnt(3)
	ds_write2_b64 v2, v[6:7], v[8:9] offset1:1
	s_waitcnt vmcnt(2)
	ds_write2_b64 v3, v[14:15], v[16:17] offset1:1
	;; [unrolled: 2-line block ×4, first 2 shown]
	v_pk_mov_b32 v[6:7], v[0:1], v[0:1] op_sel:[0,1]
.LBB122_30:
	v_lshlrev_b32_e32 v0, 2, v12
	v_mul_u32_u24_e32 v14, 33, v4
	v_cmp_gt_u32_e64 s[4:5], v0, v4
	v_add_lshl_u32 v16, v0, v14, 4
	s_waitcnt lgkmcnt(0)
	s_barrier
	s_and_saveexec_b64 s[2:3], s[4:5]
	s_cbranch_execz .LBB122_32
; %bb.31:
	v_mul_u32_u24_e32 v1, 0x84, v12
	v_add_lshl_u32 v1, v1, v4, 4
	ds_read_b128 v[8:11], v1
	s_waitcnt lgkmcnt(0)
	ds_write_b128 v16, v[8:11]
.LBB122_32:
	s_or_b64 exec, exec, s[2:3]
	v_cmp_ge_u32_e64 s[14:15], v0, v4
	s_and_saveexec_b64 s[2:3], s[14:15]
	s_cbranch_execz .LBB122_34
; %bb.33:
	v_or_b32_e32 v1, 1, v0
	v_mul_u32_u24_e32 v1, 33, v1
	v_add_lshl_u32 v1, v1, v4, 4
	ds_read_b128 v[8:11], v1
	s_waitcnt lgkmcnt(0)
	ds_write_b128 v16, v[8:11] offset:16
.LBB122_34:
	s_or_b64 exec, exec, s[2:3]
	v_or_b32_e32 v1, 2, v0
	v_cmp_gt_u32_e64 s[8:9], v1, v4
	s_and_saveexec_b64 s[2:3], s[8:9]
	s_cbranch_execz .LBB122_36
; %bb.35:
	v_mul_u32_u24_e32 v1, 33, v1
	v_add_lshl_u32 v1, v1, v4, 4
	ds_read_b128 v[8:11], v1
	s_waitcnt lgkmcnt(0)
	ds_write_b128 v16, v[8:11] offset:32
.LBB122_36:
	s_or_b64 exec, exec, s[2:3]
	v_or_b32_e32 v1, 3, v0
	v_cmp_gt_u32_e64 s[10:11], v1, v4
	v_mad_u32_u24 v1, v1, 33, v4
	v_lshlrev_b32_e32 v15, 4, v1
	s_and_saveexec_b64 s[2:3], s[10:11]
	s_cbranch_execz .LBB122_38
; %bb.37:
	ds_read_b128 v[8:11], v15
	s_waitcnt lgkmcnt(0)
	ds_write_b128 v16, v[8:11] offset:48
.LBB122_38:
	s_or_b64 exec, exec, s[2:3]
	v_mul_u32_u24_e32 v1, 0x84, v12
	v_lshlrev_b32_e32 v17, 4, v0
	s_waitcnt lgkmcnt(0)
	s_barrier
	v_add_lshl_u32 v24, v1, v4, 4
	ds_read_b128 v[0:3], v17 offset:18176
	ds_read_b128 v[8:11], v24
	ds_read_b128 v[18:21], v17 offset:18192
	ds_read_b128 v[26:29], v17 offset:18208
	v_add_u32_e32 v25, 0xfffffbe0, v15
	ds_read_b128 v[30:33], v25
	ds_read_b128 v[44:47], v25 offset:528
	s_waitcnt lgkmcnt(4)
	v_mul_f64 v[22:23], v[2:3], v[10:11]
	v_fma_f64 v[22:23], v[0:1], v[8:9], -v[22:23]
	v_mul_f64 v[0:1], v[0:1], v[10:11]
	v_fmac_f64_e32 v[0:1], v[2:3], v[8:9]
	s_waitcnt lgkmcnt(1)
	v_mul_f64 v[10:11], v[18:19], v[32:33]
	v_add_f64 v[0:1], v[0:1], 0
	v_mul_f64 v[8:9], v[20:21], v[32:33]
	v_fmac_f64_e32 v[10:11], v[20:21], v[30:31]
	v_add_f64 v[2:3], v[22:23], 0
	v_fma_f64 v[8:9], v[18:19], v[30:31], -v[8:9]
	v_add_f64 v[20:21], v[0:1], v[10:11]
	s_waitcnt lgkmcnt(0)
	v_mul_f64 v[0:1], v[28:29], v[46:47]
	v_add_f64 v[18:19], v[2:3], v[8:9]
	v_fma_f64 v[22:23], v[26:27], v[44:45], -v[0:1]
	ds_read_b128 v[0:3], v17 offset:18224
	ds_read_b128 v[8:11], v15
	v_mul_f64 v[26:27], v[26:27], v[46:47]
	v_fmac_f64_e32 v[26:27], v[28:29], v[44:45]
	v_add_f64 v[18:19], v[18:19], v[22:23]
	v_add_f64 v[20:21], v[20:21], v[26:27]
	s_waitcnt lgkmcnt(0)
	v_mul_f64 v[22:23], v[2:3], v[10:11]
	v_mul_f64 v[10:11], v[0:1], v[10:11]
	v_fma_f64 v[22:23], v[0:1], v[8:9], -v[22:23]
	v_fmac_f64_e32 v[10:11], v[2:3], v[8:9]
	v_add_f64 v[0:1], v[18:19], v[22:23]
	v_add_f64 v[2:3], v[20:21], v[10:11]
	v_add_lshl_u32 v44, v12, v14, 4
	s_barrier
	ds_write_b128 v44, v[0:3]
	v_pk_mov_b32 v[0:1], 0, 0
	v_cmp_gt_u32_e64 s[2:3], 32, v42
	v_lshlrev_b32_e32 v43, 4, v14
	v_pk_mov_b32 v[2:3], v[0:1], v[0:1] op_sel:[0,1]
	s_waitcnt lgkmcnt(0)
	s_barrier
	s_and_saveexec_b64 s[12:13], s[2:3]
	s_cbranch_execz .LBB122_40
; %bb.39:
	ds_read_b128 v[0:3], v43
	ds_read_b128 v[8:11], v43 offset:16
	ds_read_b128 v[18:21], v43 offset:32
	;; [unrolled: 1-line block ×3, first 2 shown]
	s_waitcnt lgkmcnt(2)
	v_add_f64 v[0:1], v[8:9], v[0:1]
	v_add_f64 v[8:9], v[10:11], v[2:3]
	s_waitcnt lgkmcnt(1)
	v_add_f64 v[10:11], v[0:1], v[18:19]
	ds_read_b128 v[0:3], v43 offset:64
	v_add_f64 v[8:9], v[8:9], v[20:21]
	s_waitcnt lgkmcnt(1)
	v_add_f64 v[18:19], v[10:11], v[26:27]
	v_add_f64 v[22:23], v[8:9], v[28:29]
	ds_read_b128 v[8:11], v43 offset:80
	s_waitcnt lgkmcnt(1)
	v_add_f64 v[26:27], v[18:19], v[0:1]
	ds_read_b128 v[18:21], v43 offset:96
	v_add_f64 v[22:23], v[22:23], v[2:3]
	ds_read_b128 v[0:3], v43 offset:112
	s_waitcnt lgkmcnt(2)
	v_add_f64 v[8:9], v[26:27], v[8:9]
	v_add_f64 v[10:11], v[22:23], v[10:11]
	s_waitcnt lgkmcnt(1)
	v_add_f64 v[8:9], v[8:9], v[18:19]
	v_add_f64 v[10:11], v[10:11], v[20:21]
	;; [unrolled: 3-line block ×3, first 2 shown]
.LBB122_40:
	s_or_b64 exec, exec, s[12:13]
	s_lshl_b64 s[12:13], s[16:17], 9
	v_mov_b32_e32 v8, s13
	v_add_co_u32_e32 v10, vcc, s12, v6
	v_addc_co_u32_e32 v11, vcc, v7, v8, vcc
	v_add_co_u32_e32 v8, vcc, 0x200, v10
	v_addc_co_u32_e32 v9, vcc, 0, v11, vcc
	s_and_b64 vcc, exec, s[26:27]
	s_barrier
	s_cbranch_vccz .LBB122_58
; %bb.41:
	v_sub_co_u32_e32 v7, vcc, v8, v13
	s_ashr_i32 s21, s20, 31
	v_subbrev_co_u32_e32 v18, vcc, 0, v9, vcc
	s_lshl_b64 s[28:29], s[20:21], 4
	v_mov_b32_e32 v19, s29
	v_add_co_u32_e32 v7, vcc, s28, v7
	v_addc_co_u32_e32 v18, vcc, v18, v19, vcc
	v_or_b32_e32 v6, 32, v4
	v_add_co_u32_e32 v19, vcc, 0xfffffdf0, v7
	v_addc_co_u32_e32 v7, vcc, -1, v18, vcc
	v_cmp_gt_i32_e64 s[12:13], s20, v6
	s_sub_i32 s21, s20, 32
	v_cndmask_b32_e64 v7, v7, v9, s[12:13]
	v_cndmask_b32_e64 v6, v19, v8, s[12:13]
	v_cmp_le_i32_e32 vcc, s21, v12
	v_add_lshl_u32 v18, v5, v4, 4
	s_and_saveexec_b64 s[30:31], vcc
	s_xor_b64 s[30:31], exec, s[30:31]
	s_cbranch_execz .LBB122_43
; %bb.42:
	v_mov_b32_e32 v20, 0
	v_mov_b32_e32 v21, v20
	;; [unrolled: 1-line block ×4, first 2 shown]
	ds_write_b128 v18, v[20:23]
.LBB122_43:
	s_andn2_saveexec_b64 s[30:31], s[30:31]
	s_cbranch_execz .LBB122_45
; %bb.44:
	global_load_dwordx4 v[20:23], v[6:7], off
	s_waitcnt vmcnt(0)
	ds_write2_b64 v18, v[20:21], v[22:23] offset1:1
.LBB122_45:
	s_or_b64 exec, exec, s[30:31]
	v_add_u32_e32 v19, 8, v12
	v_cmp_le_i32_e32 vcc, s21, v19
	s_and_saveexec_b64 s[30:31], vcc
	s_xor_b64 s[30:31], exec, s[30:31]
	s_cbranch_execz .LBB122_47
; %bb.46:
	v_mul_u32_u24_e32 v19, 33, v19
	v_mov_b32_e32 v20, 0
	v_add_lshl_u32 v19, v19, v4, 4
	v_mov_b32_e32 v21, v20
	v_mov_b32_e32 v22, v20
	v_mov_b32_e32 v23, v20
	ds_write_b128 v19, v[20:23]
.LBB122_47:
	s_andn2_saveexec_b64 s[30:31], s[30:31]
	s_cbranch_execz .LBB122_49
; %bb.48:
	s_lshl_b64 s[40:41], s[16:17], 7
	v_mov_b32_e32 v19, s41
	v_add_co_u32_e32 v20, vcc, s40, v6
	v_addc_co_u32_e32 v21, vcc, v7, v19, vcc
	global_load_dwordx4 v[20:23], v[20:21], off
	v_add_u32_e32 v19, 0x1080, v18
	s_waitcnt vmcnt(0)
	ds_write2_b64 v19, v[20:21], v[22:23] offset1:1
.LBB122_49:
	s_or_b64 exec, exec, s[30:31]
	v_add_u32_e32 v19, 16, v12
	v_cmp_le_i32_e32 vcc, s21, v19
	s_and_saveexec_b64 s[30:31], vcc
	s_xor_b64 s[30:31], exec, s[30:31]
	s_cbranch_execz .LBB122_51
; %bb.50:
	v_mov_b32_e32 v20, 0
	v_mov_b32_e32 v21, v20
	;; [unrolled: 1-line block ×4, first 2 shown]
	ds_write_b128 v18, v[20:23] offset:8448
.LBB122_51:
	s_andn2_saveexec_b64 s[30:31], s[30:31]
	s_cbranch_execz .LBB122_53
; %bb.52:
	s_lshl_b64 s[40:41], s[16:17], 8
	v_mov_b32_e32 v19, s41
	v_add_co_u32_e32 v20, vcc, s40, v6
	v_addc_co_u32_e32 v21, vcc, v7, v19, vcc
	global_load_dwordx4 v[20:23], v[20:21], off
	v_add_u32_e32 v19, 0x2100, v18
	s_waitcnt vmcnt(0)
	ds_write2_b64 v19, v[20:21], v[22:23] offset1:1
.LBB122_53:
	s_or_b64 exec, exec, s[30:31]
	v_add_u32_e32 v19, 24, v12
	v_cmp_le_i32_e32 vcc, s21, v19
	s_and_saveexec_b64 s[30:31], vcc
	s_xor_b64 s[30:31], exec, s[30:31]
	s_cbranch_execz .LBB122_55
; %bb.54:
	v_mov_b32_e32 v20, 0
	v_mov_b32_e32 v21, v20
	v_mov_b32_e32 v22, v20
	v_mov_b32_e32 v23, v20
	ds_write_b128 v18, v[20:23] offset:12672
                                        ; implicit-def: $vgpr18
.LBB122_55:
	s_andn2_saveexec_b64 s[30:31], s[30:31]
	s_cbranch_execz .LBB122_57
; %bb.56:
	v_mov_b32_e32 v19, 0x180
	v_mad_u64_u32 v[20:21], s[40:41], s16, v19, v[6:7]
	v_add_u32_e32 v21, s39, v21
	global_load_dwordx4 v[20:23], v[20:21], off
	v_add_u32_e32 v18, 0x3180, v18
	s_waitcnt vmcnt(0)
	ds_write2_b64 v18, v[20:21], v[22:23] offset1:1
.LBB122_57:
	s_or_b64 exec, exec, s[30:31]
	v_add_co_u32_e32 v6, vcc, v6, v13
	v_addc_co_u32_e32 v7, vcc, 0, v7, vcc
	v_mov_b32_e32 v18, s29
	v_subrev_co_u32_e32 v6, vcc, s28, v6
	v_subb_co_u32_e32 v7, vcc, v7, v18, vcc
	v_add_co_u32_e32 v6, vcc, 0x210, v6
	v_addc_co_u32_e32 v7, vcc, 0, v7, vcc
	v_cndmask_b32_e64 v7, v7, v9, s[12:13]
	v_cndmask_b32_e64 v6, v6, v8, s[12:13]
	s_branch .LBB122_60
.LBB122_58:
                                        ; implicit-def: $vgpr6_vgpr7
	s_cbranch_execz .LBB122_60
; %bb.59:
	s_lshl_b64 s[12:13], s[16:17], 7
	v_mov_b32_e32 v22, s13
	v_add_co_u32_e32 v6, vcc, s12, v10
	v_addc_co_u32_e32 v7, vcc, v11, v22, vcc
	global_load_dwordx4 v[18:21], v[8:9], off
	global_load_dwordx4 v[26:29], v[6:7], off offset:512
	v_add_co_u32_e32 v6, vcc, s12, v6
	v_addc_co_u32_e32 v7, vcc, v7, v22, vcc
	v_mov_b32_e32 v22, 0x180
	v_mad_u64_u32 v[10:11], s[12:13], s16, v22, v[10:11]
	v_add_u32_e32 v11, s39, v11
	global_load_dwordx4 v[30:33], v[6:7], off offset:512
	global_load_dwordx4 v[46:49], v[10:11], off offset:512
	v_add_lshl_u32 v6, v5, v4, 4
	v_add_u32_e32 v7, 0x1080, v6
	v_add_u32_e32 v10, 0x2100, v6
	;; [unrolled: 1-line block ×3, first 2 shown]
	s_waitcnt vmcnt(3)
	ds_write2_b64 v6, v[18:19], v[20:21] offset1:1
	s_waitcnt vmcnt(2)
	ds_write2_b64 v7, v[26:27], v[28:29] offset1:1
	;; [unrolled: 2-line block ×4, first 2 shown]
	v_pk_mov_b32 v[6:7], v[8:9], v[8:9] op_sel:[0,1]
.LBB122_60:
	s_waitcnt lgkmcnt(0)
	s_barrier
	s_and_saveexec_b64 s[12:13], s[4:5]
	s_cbranch_execnz .LBB122_85
; %bb.61:
	s_or_b64 exec, exec, s[12:13]
	s_and_saveexec_b64 s[4:5], s[14:15]
	s_cbranch_execnz .LBB122_86
.LBB122_62:
	s_or_b64 exec, exec, s[4:5]
	s_and_saveexec_b64 s[4:5], s[8:9]
	s_cbranch_execnz .LBB122_87
.LBB122_63:
	s_or_b64 exec, exec, s[4:5]
	v_add_u32_e32 v26, 0x4700, v17
	s_and_saveexec_b64 s[4:5], s[10:11]
	s_cbranch_execz .LBB122_65
.LBB122_64:
	ds_read_b128 v[8:11], v15
	s_waitcnt lgkmcnt(0)
	ds_write_b128 v16, v[8:11] offset:48
.LBB122_65:
	s_or_b64 exec, exec, s[4:5]
	s_waitcnt lgkmcnt(0)
	s_barrier
	ds_read_b128 v[8:11], v26 offset:512
	ds_read_b128 v[16:19], v24
	ds_read_b128 v[20:23], v26 offset:528
	ds_read_b128 v[28:31], v26 offset:544
	v_cmp_eq_u32_e64 s[4:5], 1, v12
	s_waitcnt lgkmcnt(2)
	v_mul_f64 v[32:33], v[10:11], v[18:19]
	v_fma_f64 v[40:41], v[8:9], v[16:17], -v[32:33]
	ds_read_b128 v[32:35], v26 offset:560
	ds_read_b128 v[46:49], v25
	v_mul_f64 v[8:9], v[8:9], v[18:19]
	v_fmac_f64_e32 v[8:9], v[10:11], v[16:17]
	v_add_f64 v[18:19], v[8:9], 0
	v_add_f64 v[16:17], v[40:41], 0
	s_waitcnt lgkmcnt(0)
	v_mul_f64 v[8:9], v[22:23], v[48:49]
	v_fma_f64 v[40:41], v[20:21], v[46:47], -v[8:9]
	v_mul_f64 v[20:21], v[20:21], v[48:49]
	ds_read_b128 v[8:11], v25 offset:528
	v_fmac_f64_e32 v[20:21], v[22:23], v[46:47]
	v_add_f64 v[22:23], v[16:17], v[40:41]
	v_add_f64 v[20:21], v[18:19], v[20:21]
	ds_read_b128 v[16:19], v15
	s_waitcnt lgkmcnt(1)
	v_mul_f64 v[40:41], v[30:31], v[10:11]
	v_mul_f64 v[10:11], v[28:29], v[10:11]
	v_fmac_f64_e32 v[10:11], v[30:31], v[8:9]
	v_fma_f64 v[40:41], v[28:29], v[8:9], -v[40:41]
	v_add_f64 v[10:11], v[20:21], v[10:11]
	s_waitcnt lgkmcnt(0)
	v_mul_f64 v[20:21], v[34:35], v[18:19]
	v_mul_f64 v[18:19], v[32:33], v[18:19]
	v_add_f64 v[8:9], v[22:23], v[40:41]
	v_fma_f64 v[20:21], v[32:33], v[16:17], -v[20:21]
	v_fmac_f64_e32 v[18:19], v[34:35], v[16:17]
	v_add_f64 v[8:9], v[8:9], v[20:21]
	v_add_f64 v[10:11], v[10:11], v[18:19]
	s_barrier
	ds_write_b128 v44, v[8:11]
	s_waitcnt lgkmcnt(0)
	s_barrier
	s_and_saveexec_b64 s[8:9], s[4:5]
	s_cbranch_execz .LBB122_67
; %bb.66:
	ds_read_b128 v[0:3], v43
	ds_read_b128 v[8:11], v43 offset:16
	ds_read_b128 v[16:19], v43 offset:32
	ds_read_b128 v[20:23], v43 offset:48
	s_waitcnt lgkmcnt(2)
	v_add_f64 v[0:1], v[8:9], v[0:1]
	v_add_f64 v[8:9], v[10:11], v[2:3]
	s_waitcnt lgkmcnt(1)
	v_add_f64 v[10:11], v[0:1], v[16:17]
	ds_read_b128 v[0:3], v43 offset:64
	v_add_f64 v[8:9], v[8:9], v[18:19]
	s_waitcnt lgkmcnt(1)
	v_add_f64 v[16:17], v[10:11], v[20:21]
	v_add_f64 v[20:21], v[8:9], v[22:23]
	ds_read_b128 v[8:11], v43 offset:80
	s_waitcnt lgkmcnt(1)
	v_add_f64 v[22:23], v[16:17], v[0:1]
	ds_read_b128 v[16:19], v43 offset:96
	v_add_f64 v[20:21], v[20:21], v[2:3]
	ds_read_b128 v[0:3], v43 offset:112
	s_waitcnt lgkmcnt(2)
	v_add_f64 v[8:9], v[22:23], v[8:9]
	v_add_f64 v[10:11], v[20:21], v[10:11]
	s_waitcnt lgkmcnt(1)
	v_add_f64 v[8:9], v[8:9], v[16:17]
	v_add_f64 v[10:11], v[10:11], v[18:19]
	;; [unrolled: 3-line block ×3, first 2 shown]
.LBB122_67:
	s_or_b64 exec, exec, s[8:9]
	v_add_co_u32_e32 v8, vcc, 0xfffffe00, v6
	v_addc_co_u32_e32 v9, vcc, -1, v7, vcc
	s_and_b64 vcc, exec, s[26:27]
	s_barrier
	s_cbranch_vccz .LBB122_88
; %bb.68:
	v_sub_co_u32_e32 v10, vcc, v6, v13
	s_ashr_i32 s21, s20, 31
	v_subbrev_co_u32_e32 v11, vcc, 0, v7, vcc
	s_lshl_b64 s[10:11], s[20:21], 4
	v_mov_b32_e32 v16, s11
	v_add_co_u32_e32 v10, vcc, s10, v10
	v_addc_co_u32_e32 v11, vcc, v11, v16, vcc
	v_add_co_u32_e32 v10, vcc, 0xfffffdf0, v10
	v_addc_co_u32_e32 v11, vcc, -1, v11, vcc
	v_cmp_gt_i32_e32 vcc, s20, v4
	s_sub_i32 s14, s20, 32
	v_cndmask_b32_e32 v11, v11, v9, vcc
	v_cndmask_b32_e32 v10, v10, v8, vcc
	v_cmp_le_i32_e64 s[8:9], s14, v12
	v_add_lshl_u32 v19, v5, v4, 4
	s_and_saveexec_b64 s[12:13], s[8:9]
	s_xor_b64 s[8:9], exec, s[12:13]
	s_cbranch_execz .LBB122_70
; %bb.69:
	v_mov_b32_e32 v20, 0
	v_mov_b32_e32 v21, v20
	v_mov_b32_e32 v22, v20
	v_mov_b32_e32 v23, v20
	ds_write_b128 v19, v[20:23]
.LBB122_70:
	s_andn2_saveexec_b64 s[8:9], s[8:9]
	s_cbranch_execz .LBB122_72
; %bb.71:
	global_load_dwordx4 v[20:23], v[10:11], off
	s_waitcnt vmcnt(0)
	ds_write2_b64 v19, v[20:21], v[22:23] offset1:1
.LBB122_72:
	s_or_b64 exec, exec, s[8:9]
	v_add_u32_e32 v16, 8, v12
	v_cmp_le_i32_e64 s[8:9], s14, v16
	s_and_saveexec_b64 s[12:13], s[8:9]
	s_xor_b64 s[8:9], exec, s[12:13]
	s_cbranch_execz .LBB122_74
; %bb.73:
	v_mul_u32_u24_e32 v17, 33, v16
	v_mov_b32_e32 v20, 0
	v_add_lshl_u32 v17, v17, v4, 4
	v_mov_b32_e32 v21, v20
	v_mov_b32_e32 v22, v20
	;; [unrolled: 1-line block ×3, first 2 shown]
	ds_write_b128 v17, v[20:23]
.LBB122_74:
	s_andn2_saveexec_b64 s[12:13], s[8:9]
	s_cbranch_execz .LBB122_76
; %bb.75:
	s_lshl_b64 s[8:9], s[16:17], 7
	v_mov_b32_e32 v17, s9
	v_add_co_u32_e64 v20, s[8:9], s8, v10
	v_addc_co_u32_e64 v21, s[8:9], v11, v17, s[8:9]
	global_load_dwordx4 v[20:23], v[20:21], off
	v_add_u32_e32 v17, 0x1080, v19
	s_waitcnt vmcnt(0)
	ds_write2_b64 v17, v[20:21], v[22:23] offset1:1
.LBB122_76:
	s_or_b64 exec, exec, s[12:13]
	v_add_u32_e32 v17, 16, v12
	v_cmp_le_i32_e64 s[8:9], s14, v17
	s_and_saveexec_b64 s[12:13], s[8:9]
	s_xor_b64 s[8:9], exec, s[12:13]
	s_cbranch_execz .LBB122_78
; %bb.77:
	v_mov_b32_e32 v20, 0
	v_mov_b32_e32 v21, v20
	;; [unrolled: 1-line block ×4, first 2 shown]
	ds_write_b128 v19, v[20:23] offset:8448
.LBB122_78:
	s_andn2_saveexec_b64 s[12:13], s[8:9]
	s_cbranch_execz .LBB122_80
; %bb.79:
	s_lshl_b64 s[8:9], s[16:17], 8
	v_mov_b32_e32 v18, s9
	v_add_co_u32_e64 v20, s[8:9], s8, v10
	v_addc_co_u32_e64 v21, s[8:9], v11, v18, s[8:9]
	global_load_dwordx4 v[20:23], v[20:21], off
	v_add_u32_e32 v18, 0x2100, v19
	s_waitcnt vmcnt(0)
	ds_write2_b64 v18, v[20:21], v[22:23] offset1:1
.LBB122_80:
	s_or_b64 exec, exec, s[12:13]
	v_add_u32_e32 v18, 24, v12
	v_cmp_le_i32_e64 s[8:9], s14, v18
	s_and_saveexec_b64 s[12:13], s[8:9]
	s_xor_b64 s[8:9], exec, s[12:13]
	s_cbranch_execz .LBB122_82
; %bb.81:
	v_mov_b32_e32 v20, 0
	v_mov_b32_e32 v21, v20
	;; [unrolled: 1-line block ×4, first 2 shown]
	ds_write_b128 v19, v[20:23] offset:12672
                                        ; implicit-def: $vgpr19
.LBB122_82:
	s_andn2_saveexec_b64 s[8:9], s[8:9]
	s_cbranch_execz .LBB122_84
; %bb.83:
	v_mov_b32_e32 v20, 0x180
	v_mad_u64_u32 v[20:21], s[12:13], s16, v20, v[10:11]
	v_add_u32_e32 v21, s39, v21
	global_load_dwordx4 v[20:23], v[20:21], off
	v_add_u32_e32 v19, 0x3180, v19
	s_waitcnt vmcnt(0)
	ds_write2_b64 v19, v[20:21], v[22:23] offset1:1
.LBB122_84:
	s_or_b64 exec, exec, s[8:9]
	v_add_co_u32_e64 v10, s[8:9], v10, v13
	v_addc_co_u32_e64 v11, s[8:9], 0, v11, s[8:9]
	v_mov_b32_e32 v13, s11
	v_subrev_co_u32_e64 v10, s[8:9], s10, v10
	v_subb_co_u32_e64 v11, s[8:9], v11, v13, s[8:9]
	v_add_co_u32_e64 v10, s[8:9], 16, v10
	v_addc_co_u32_e64 v11, s[8:9], 0, v11, s[8:9]
	v_cndmask_b32_e32 v41, v11, v9, vcc
	v_cndmask_b32_e32 v40, v10, v8, vcc
	s_branch .LBB122_90
.LBB122_85:
	ds_read_b128 v[8:11], v24
	s_waitcnt lgkmcnt(0)
	ds_write_b128 v16, v[8:11]
	s_or_b64 exec, exec, s[12:13]
	s_and_saveexec_b64 s[4:5], s[14:15]
	s_cbranch_execz .LBB122_62
.LBB122_86:
	ds_read_b128 v[8:11], v25
	s_waitcnt lgkmcnt(0)
	ds_write_b128 v16, v[8:11] offset:16
	s_or_b64 exec, exec, s[4:5]
	s_and_saveexec_b64 s[4:5], s[8:9]
	s_cbranch_execz .LBB122_63
.LBB122_87:
	v_add_u32_e32 v8, 0x210, v25
	ds_read_b128 v[8:11], v8
	s_waitcnt lgkmcnt(0)
	ds_write_b128 v16, v[8:11] offset:32
	s_or_b64 exec, exec, s[4:5]
	v_add_u32_e32 v26, 0x4700, v17
	s_and_saveexec_b64 s[4:5], s[10:11]
	s_cbranch_execnz .LBB122_64
	s_branch .LBB122_65
.LBB122_88:
                                        ; implicit-def: $vgpr40_vgpr41
                                        ; implicit-def: $vgpr16
                                        ; implicit-def: $vgpr17
                                        ; implicit-def: $vgpr18
	s_cbranch_execz .LBB122_90
; %bb.89:
	s_lshl_b64 s[8:9], s[16:17], 7
	v_mov_b32_e32 v13, s9
	v_add_co_u32_e32 v10, vcc, s8, v6
	v_addc_co_u32_e32 v11, vcc, v7, v13, vcc
	global_load_dwordx4 v[20:23], v[8:9], off
	global_load_dwordx4 v[28:31], v[10:11], off offset:-512
	v_add_co_u32_e32 v10, vcc, s8, v10
	v_addc_co_u32_e32 v11, vcc, v11, v13, vcc
	v_mov_b32_e32 v13, 0x180
	v_mad_u64_u32 v[6:7], s[8:9], s16, v13, v[6:7]
	v_add_u32_e32 v7, s39, v7
	global_load_dwordx4 v[32:35], v[10:11], off offset:-512
	global_load_dwordx4 v[46:49], v[6:7], off offset:-512
	v_add_lshl_u32 v4, v5, v4, 4
	v_add_u32_e32 v16, 8, v12
	v_add_u32_e32 v17, 16, v12
	;; [unrolled: 1-line block ×3, first 2 shown]
	v_pk_mov_b32 v[40:41], v[8:9], v[8:9] op_sel:[0,1]
	v_add_u32_e32 v5, 0x1080, v4
	v_add_u32_e32 v6, 0x2100, v4
	;; [unrolled: 1-line block ×3, first 2 shown]
	s_waitcnt vmcnt(3)
	ds_write2_b64 v4, v[20:21], v[22:23] offset1:1
	s_waitcnt vmcnt(2)
	ds_write2_b64 v5, v[28:29], v[30:31] offset1:1
	;; [unrolled: 2-line block ×4, first 2 shown]
.LBB122_90:
	v_lshlrev_b32_e32 v4, 4, v12
	s_waitcnt lgkmcnt(0)
	s_barrier
	ds_read_b128 v[46:49], v44
	ds_read_b128 v[50:53], v4 offset:18176
	v_add_lshl_u32 v4, v16, v14, 4
	v_lshlrev_b32_e32 v10, 4, v16
	ds_read_b128 v[54:57], v4
	ds_read_b128 v[4:7], v25 offset:528
	ds_read_b128 v[58:61], v10 offset:18176
	s_waitcnt lgkmcnt(3)
	v_mul_f64 v[8:9], v[48:49], v[52:53]
	v_add_lshl_u32 v10, v17, v14, 4
	v_lshlrev_b32_e32 v12, 4, v17
	v_fma_f64 v[8:9], v[46:47], v[50:51], -v[8:9]
	ds_read_b128 v[62:65], v10
	ds_read_b128 v[66:69], v12 offset:18176
	s_waitcnt lgkmcnt(2)
	v_mul_f64 v[10:11], v[56:57], v[60:61]
	v_add_f64 v[8:9], v[8:9], 0
	v_fma_f64 v[10:11], v[54:55], v[58:59], -v[10:11]
	v_add_f64 v[8:9], v[8:9], v[10:11]
	v_add_lshl_u32 v10, v18, v14, 4
	v_lshlrev_b32_e32 v12, 4, v18
	v_mul_f64 v[74:75], v[46:47], v[52:53]
	v_mul_f64 v[60:61], v[54:55], v[60:61]
	ds_read_b128 v[52:55], v10
	ds_read_b128 v[70:73], v12 offset:18176
	s_waitcnt lgkmcnt(2)
	v_mul_f64 v[10:11], v[64:65], v[68:69]
	v_fma_f64 v[10:11], v[62:63], v[66:67], -v[10:11]
	v_add_f64 v[12:13], v[8:9], v[10:11]
	ds_read_b128 v[8:11], v15
	s_waitcnt lgkmcnt(1)
	v_mul_f64 v[14:15], v[54:55], v[72:73]
	v_fma_f64 v[14:15], v[52:53], v[70:71], -v[14:15]
	v_add_f64 v[46:47], v[12:13], v[14:15]
	ds_read_b128 v[20:23], v26 offset:528
	ds_read_b128 v[16:19], v26 offset:544
	;; [unrolled: 1-line block ×3, first 2 shown]
	ds_read_b128 v[32:35], v24
	ds_read_b128 v[12:15], v26 offset:560
	ds_read_b128 v[24:27], v25
	v_fmac_f64_e32 v[74:75], v[48:49], v[50:51]
	v_mul_f64 v[62:63], v[62:63], v[68:69]
	v_add_f64 v[48:49], v[74:75], 0
	v_fmac_f64_e32 v[60:61], v[56:57], v[58:59]
	v_mul_f64 v[52:53], v[52:53], v[72:73]
	v_add_f64 v[48:49], v[48:49], v[60:61]
	v_fmac_f64_e32 v[62:63], v[64:65], v[66:67]
	v_add_f64 v[48:49], v[48:49], v[62:63]
	v_fmac_f64_e32 v[52:53], v[54:55], v[70:71]
	v_add_f64 v[48:49], v[48:49], v[52:53]
	s_waitcnt lgkmcnt(0)
	s_barrier
	ds_write_b128 v44, v[46:49]
	s_waitcnt lgkmcnt(0)
	s_barrier
	s_and_saveexec_b64 s[8:9], s[4:5]
	s_cbranch_execz .LBB122_92
; %bb.91:
	ds_read_b128 v[46:49], v43
	ds_read_b128 v[50:53], v43 offset:16
	ds_read_b128 v[54:57], v43 offset:32
	;; [unrolled: 1-line block ×3, first 2 shown]
	s_waitcnt lgkmcnt(3)
	v_add_f64 v[0:1], v[0:1], v[46:47]
	v_add_f64 v[2:3], v[2:3], v[48:49]
	s_waitcnt lgkmcnt(2)
	v_add_f64 v[0:1], v[0:1], v[50:51]
	v_add_f64 v[46:47], v[2:3], v[52:53]
	s_waitcnt lgkmcnt(1)
	v_add_f64 v[48:49], v[0:1], v[54:55]
	ds_read_b128 v[0:3], v43 offset:64
	v_add_f64 v[46:47], v[46:47], v[56:57]
	s_waitcnt lgkmcnt(1)
	v_add_f64 v[50:51], v[48:49], v[58:59]
	v_add_f64 v[54:55], v[46:47], v[60:61]
	ds_read_b128 v[46:49], v43 offset:80
	s_waitcnt lgkmcnt(1)
	v_add_f64 v[56:57], v[50:51], v[0:1]
	ds_read_b128 v[50:53], v43 offset:96
	v_add_f64 v[54:55], v[54:55], v[2:3]
	ds_read_b128 v[0:3], v43 offset:112
	s_waitcnt lgkmcnt(2)
	v_add_f64 v[46:47], v[56:57], v[46:47]
	v_add_f64 v[48:49], v[54:55], v[48:49]
	s_waitcnt lgkmcnt(1)
	v_add_f64 v[46:47], v[46:47], v[50:51]
	v_add_f64 v[48:49], v[48:49], v[52:53]
	s_waitcnt lgkmcnt(0)
	v_add_f64 v[0:1], v[46:47], v[0:1]
	v_add_f64 v[2:3], v[48:49], v[2:3]
.LBB122_92:
	s_or_b64 exec, exec, s[8:9]
	v_mul_f64 v[46:47], v[30:31], v[34:35]
	v_fma_f64 v[46:47], v[28:29], v[32:33], -v[46:47]
	v_mul_f64 v[28:29], v[28:29], v[34:35]
	v_fmac_f64_e32 v[28:29], v[30:31], v[32:33]
	v_mul_f64 v[32:33], v[22:23], v[26:27]
	v_fma_f64 v[32:33], v[20:21], v[24:25], -v[32:33]
	v_mul_f64 v[20:21], v[20:21], v[26:27]
	v_add_f64 v[30:31], v[46:47], 0
	v_add_f64 v[28:29], v[28:29], 0
	v_fmac_f64_e32 v[20:21], v[22:23], v[24:25]
	v_mul_f64 v[24:25], v[18:19], v[6:7]
	v_mul_f64 v[6:7], v[16:17], v[6:7]
	v_add_f64 v[22:23], v[30:31], v[32:33]
	v_add_f64 v[20:21], v[28:29], v[20:21]
	v_fma_f64 v[24:25], v[16:17], v[4:5], -v[24:25]
	v_fmac_f64_e32 v[6:7], v[18:19], v[4:5]
	v_mul_f64 v[16:17], v[14:15], v[10:11]
	v_mul_f64 v[10:11], v[12:13], v[10:11]
	v_add_f64 v[4:5], v[22:23], v[24:25]
	v_add_f64 v[6:7], v[20:21], v[6:7]
	v_fma_f64 v[16:17], v[12:13], v[8:9], -v[16:17]
	v_fmac_f64_e32 v[10:11], v[14:15], v[8:9]
	v_add_f64 v[4:5], v[4:5], v[16:17]
	v_add_f64 v[6:7], v[6:7], v[10:11]
	s_barrier
	ds_write_b128 v44, v[4:7]
	s_waitcnt lgkmcnt(0)
	s_barrier
	s_and_saveexec_b64 s[4:5], s[2:3]
	s_cbranch_execz .LBB122_94
; %bb.93:
	ds_read_b128 v[4:7], v43
	ds_read_b128 v[8:11], v43 offset:16
	ds_read_b128 v[12:15], v43 offset:32
	;; [unrolled: 1-line block ×3, first 2 shown]
	s_waitcnt lgkmcnt(3)
	v_add_f64 v[0:1], v[0:1], v[4:5]
	v_add_f64 v[2:3], v[2:3], v[6:7]
	s_waitcnt lgkmcnt(2)
	v_add_f64 v[0:1], v[0:1], v[8:9]
	v_add_f64 v[4:5], v[2:3], v[10:11]
	s_waitcnt lgkmcnt(1)
	v_add_f64 v[6:7], v[0:1], v[12:13]
	ds_read_b128 v[0:3], v43 offset:64
	v_add_f64 v[4:5], v[4:5], v[14:15]
	s_waitcnt lgkmcnt(1)
	v_add_f64 v[8:9], v[6:7], v[16:17]
	v_add_f64 v[12:13], v[4:5], v[18:19]
	ds_read_b128 v[4:7], v43 offset:80
	s_waitcnt lgkmcnt(1)
	v_add_f64 v[14:15], v[8:9], v[0:1]
	ds_read_b128 v[8:11], v43 offset:96
	v_add_f64 v[12:13], v[12:13], v[2:3]
	ds_read_b128 v[0:3], v43 offset:112
	s_waitcnt lgkmcnt(2)
	v_add_f64 v[4:5], v[14:15], v[4:5]
	v_add_f64 v[6:7], v[12:13], v[6:7]
	s_waitcnt lgkmcnt(1)
	v_add_f64 v[4:5], v[4:5], v[8:9]
	v_add_f64 v[6:7], v[6:7], v[10:11]
	;; [unrolled: 3-line block ×3, first 2 shown]
.LBB122_94:
	s_or_b64 exec, exec, s[4:5]
	s_mul_hi_u32 s2, s37, s7
	s_mul_i32 s38, s38, s7
	s_add_i32 s2, s2, s38
	s_mul_i32 s4, s37, s7
	s_mul_i32 s2, s2, s33
	s_mul_hi_u32 s3, s4, s33
	s_add_i32 s3, s3, s2
	s_mul_i32 s2, s4, s33
	s_lshl_b64 s[2:3], s[2:3], 4
	s_add_u32 s4, s34, s2
	s_addc_u32 s5, s35, s3
	s_mul_hi_i32 s3, s37, s6
	s_mul_i32 s2, s37, s6
	s_lshl_b64 s[2:3], s[2:3], 4
	s_add_u32 s7, s4, s2
	s_addc_u32 s21, s5, s3
	s_add_i32 s2, s6, 1
	s_cmp_ge_u32 s2, s33
	v_lshlrev_b32_e32 v168, 4, v201
	s_barrier
	s_cbranch_scc1 .LBB122_152
; %bb.95:
	s_mul_i32 s2, s22, s25
	s_mul_hi_u32 s3, s22, s24
	s_add_i32 s2, s3, s2
	s_mul_i32 s3, s23, s24
	s_add_i32 s3, s2, s3
	s_mul_i32 s2, s22, s24
	s_lshl_b64 s[2:3], s[2:3], 4
	v_mov_b32_e32 v4, s3
	v_subrev_co_u32_e32 v204, vcc, s2, v38
	v_and_b32_e32 v6, 48, v201
	v_subb_co_u32_e32 v205, vcc, v39, v4, vcc
	v_and_b32_e32 v4, 15, v201
	v_lshlrev_b32_e32 v7, 4, v6
	s_movk_i32 s4, 0x430
	v_lshrrev_b32_e32 v5, 4, v42
	v_mad_u32_u24 v208, v4, s4, v7
	v_or_b32_e32 v7, 0xf0, v168
	v_mad_u32_u24 v209, v4, s4, v7
	v_lshlrev_b32_e32 v7, 6, v5
	v_lshlrev_b32_e32 v10, 6, v202
	v_mad_u32_u24 v210, v4, s4, v7
	s_movk_i32 s4, 0x10c0
	v_mul_i32_i24_e32 v11, 0xffffffd0, v5
	v_add_u32_e32 v5, 0x200, v10
	v_mad_u32_u24 v215, v202, s4, v168
	v_or_b32_e32 v228, v6, v4
	v_mad_u64_u32 v[6:7], s[4:5], s16, v5, 0
	v_mov_b32_e32 v8, v7
	v_mad_u64_u32 v[8:9], s[4:5], s17, v5, v[8:9]
	v_mov_b32_e32 v5, v8
	v_sub_co_u32_e32 v6, vcc, v6, v36
	v_subb_co_u32_e32 v5, vcc, v5, v37, vcc
	v_add_co_u32_e32 v6, vcc, v40, v6
	v_addc_co_u32_e32 v5, vcc, v41, v5, vcc
	v_add_co_u32_e32 v170, vcc, 8, v6
	v_addc_co_u32_e32 v169, vcc, 0, v5, vcc
	v_add_u32_e32 v5, 0x530, v10
	v_mad_u64_u32 v[6:7], s[4:5], s16, v5, 0
	v_mov_b32_e32 v8, v7
	v_mad_u64_u32 v[8:9], s[4:5], s17, v5, v[8:9]
	v_mov_b32_e32 v5, v8
	v_sub_co_u32_e32 v6, vcc, v6, v36
	v_subb_co_u32_e32 v5, vcc, v5, v37, vcc
	v_add_co_u32_e32 v172, vcc, v40, v6
	v_addc_co_u32_e32 v171, vcc, v41, v5, vcc
	v_add_u32_e32 v5, 0x220, v10
	v_mad_u64_u32 v[6:7], s[4:5], s16, v5, 0
	v_mov_b32_e32 v8, v7
	v_mad_u64_u32 v[8:9], s[4:5], s17, v5, v[8:9]
	v_mov_b32_e32 v5, v8
	v_sub_co_u32_e32 v6, vcc, v6, v36
	v_subb_co_u32_e32 v5, vcc, v5, v37, vcc
	;; [unrolled: 9-line block ×4, first 2 shown]
	v_add_co_u32_e32 v6, vcc, v40, v6
	v_addc_co_u32_e32 v5, vcc, v41, v5, vcc
	v_add_co_u32_e32 v178, vcc, 8, v6
	v_addc_co_u32_e32 v177, vcc, 0, v5, vcc
	v_add_u32_e32 v5, 0x510, v10
	v_mad_u64_u32 v[6:7], s[4:5], s16, v5, 0
	v_mov_b32_e32 v8, v7
	v_mad_u64_u32 v[8:9], s[4:5], s17, v5, v[8:9]
	v_mov_b32_e32 v5, v8
	v_sub_co_u32_e32 v6, vcc, v6, v36
	v_subb_co_u32_e32 v5, vcc, v5, v37, vcc
	v_add_co_u32_e32 v180, vcc, v40, v6
	v_addc_co_u32_e32 v179, vcc, v41, v5, vcc
	v_add_u32_e32 v5, 0x230, v10
	v_mad_u64_u32 v[6:7], s[4:5], s16, v5, 0
	v_mov_b32_e32 v8, v7
	v_mad_u64_u32 v[8:9], s[4:5], s17, v5, v[8:9]
	v_mov_b32_e32 v5, v8
	v_sub_co_u32_e32 v6, vcc, v6, v36
	v_subb_co_u32_e32 v5, vcc, v5, v37, vcc
	v_add_co_u32_e32 v6, vcc, v40, v6
	v_addc_co_u32_e32 v5, vcc, v41, v5, vcc
	v_add_co_u32_e32 v182, vcc, 8, v6
	v_addc_co_u32_e32 v181, vcc, 0, v5, vcc
	v_add_u32_e32 v5, 0x500, v10
	v_mad_u64_u32 v[6:7], s[4:5], s16, v5, 0
	v_mov_b32_e32 v8, v7
	v_mad_u64_u32 v[8:9], s[4:5], s17, v5, v[8:9]
	v_mov_b32_e32 v5, v8
	v_sub_co_u32_e32 v6, vcc, v6, v36
	v_subb_co_u32_e32 v5, vcc, v5, v37, vcc
	v_add_co_u32_e32 v184, vcc, v40, v6
	v_addc_co_u32_e32 v183, vcc, v41, v5, vcc
	v_add_u32_e32 v5, 0x300, v10
	v_mad_u64_u32 v[6:7], s[4:5], s16, v5, 0
	v_mov_b32_e32 v8, v7
	v_mad_u64_u32 v[8:9], s[4:5], s17, v5, v[8:9]
	v_mov_b32_e32 v5, v8
	v_sub_co_u32_e32 v6, vcc, v6, v36
	v_subb_co_u32_e32 v5, vcc, v5, v37, vcc
	;; [unrolled: 20-line block ×5, first 2 shown]
	v_add_co_u32_e32 v6, vcc, v40, v6
	v_addc_co_u32_e32 v5, vcc, v41, v5, vcc
	v_add_co_u32_e32 v198, vcc, 8, v6
	v_addc_co_u32_e32 v197, vcc, 0, v5, vcc
	v_add_u32_e32 v5, 0x400, v10
	v_mad_u64_u32 v[6:7], s[4:5], s16, v5, 0
	v_mov_b32_e32 v8, v7
	v_mad_u64_u32 v[8:9], s[4:5], s17, v5, v[8:9]
	v_mov_b32_e32 v5, v8
	v_sub_co_u32_e32 v6, vcc, v6, v36
	v_subb_co_u32_e32 v5, vcc, v5, v37, vcc
	v_add_co_u32_e32 v6, vcc, v40, v6
	v_addc_co_u32_e32 v5, vcc, v41, v5, vcc
	v_lshlrev_b32_e32 v203, 2, v202
	v_add_co_u32_e32 v200, vcc, 8, v6
	s_add_i32 s23, s33, -2
	v_add_u32_e32 v206, 0x4300, v168
	v_add_u32_e32 v207, 0x4700, v168
	v_cmp_gt_u32_e64 s[2:3], 64, v42
	v_or_b32_e32 v211, 1, v203
	v_or_b32_e32 v212, 2, v203
	;; [unrolled: 1-line block ×3, first 2 shown]
	v_add_u32_e32 v214, 0x4300, v10
	v_add_u32_e32 v216, 16, v203
	;; [unrolled: 1-line block ×13, first 2 shown]
	s_add_i32 s22, s22, 64
	v_mov_b32_e32 v4, 0
	s_lshl_b64 s[10:11], s[16:17], 10
	v_addc_co_u32_e32 v199, vcc, 0, v5, vcc
	v_add_u32_e32 v229, v210, v11
	s_cmp_eq_u32 s23, s6
	s_cselect_b32 s26, s36, 0
	s_and_saveexec_b64 s[4:5], s[0:1]
	s_cbranch_execz .LBB122_100
.LBB122_96:
	s_cmp_lg_u32 s26, 0
	s_cselect_b64 s[8:9], -1, 0
	v_cmp_le_i32_e32 vcc, s26, v201
	s_and_b64 s[8:9], s[8:9], vcc
	s_and_saveexec_b64 s[12:13], s[8:9]
	s_xor_b64 s[8:9], exec, s[12:13]
	s_cbranch_execz .LBB122_98
; %bb.97:
	v_mov_b32_e32 v5, v4
	v_mov_b32_e32 v6, v4
	;; [unrolled: 1-line block ×3, first 2 shown]
	ds_write_b128 v206, v[4:7]
.LBB122_98:
	s_andn2_saveexec_b64 s[8:9], s[8:9]
	s_cbranch_execz .LBB122_100
; %bb.99:
	s_ashr_i32 s8, s22, 31
	s_mul_i32 s9, s22, s25
	s_mul_hi_u32 s12, s22, s24
	s_add_i32 s9, s12, s9
	s_mul_i32 s8, s8, s24
	s_add_i32 s9, s9, s8
	s_mul_i32 s8, s22, s24
	s_lshl_b64 s[8:9], s[8:9], 4
	v_mov_b32_e32 v5, s9
	v_add_co_u32_e32 v6, vcc, s8, v204
	v_addc_co_u32_e32 v7, vcc, v205, v5, vcc
	global_load_dwordx4 v[6:9], v[6:7], off
	s_waitcnt vmcnt(0)
	ds_write2_b64 v206, v[6:7], v[8:9] offset1:1
.LBB122_100:                            ; =>This Inner Loop Header: Depth=1
	s_or_b64 exec, exec, s[4:5]
	s_cmp_eq_u32 s26, 0
	v_add_co_u32_e32 v18, vcc, v170, v168
	s_cselect_b64 s[12:13], -1, 0
	s_cmp_lg_u32 s26, 0
	v_addc_co_u32_e32 v19, vcc, 0, v169, vcc
	s_cselect_b64 s[8:9], -1, 0
	s_and_b64 vcc, exec, s[8:9]
	s_waitcnt lgkmcnt(0)
	s_barrier
	s_cbranch_vccz .LBB122_108
; %bb.101:                              ;   in Loop: Header=BB122_100 Depth=1
	v_pk_mov_b32 v[10:11], 0, 0
	v_cmp_gt_i32_e32 vcc, s26, v203
	v_pk_mov_b32 v[6:7], v[10:11], v[10:11] op_sel:[0,1]
	v_pk_mov_b32 v[8:9], v[10:11], v[10:11] op_sel:[0,1]
	s_and_saveexec_b64 s[4:5], vcc
	s_cbranch_execz .LBB122_103
; %bb.102:                              ;   in Loop: Header=BB122_100 Depth=1
	global_load_dwordx4 v[6:9], v[18:19], off offset:-8
.LBB122_103:                            ;   in Loop: Header=BB122_100 Depth=1
	s_or_b64 exec, exec, s[4:5]
	v_cmp_gt_i32_e32 vcc, s26, v211
	v_pk_mov_b32 v[12:13], v[10:11], v[10:11] op_sel:[0,1]
	s_and_saveexec_b64 s[4:5], vcc
	s_cbranch_execz .LBB122_105
; %bb.104:                              ;   in Loop: Header=BB122_100 Depth=1
	v_add_co_u32_e32 v10, vcc, v178, v168
	v_addc_co_u32_e32 v11, vcc, 0, v177, vcc
	global_load_dwordx4 v[10:13], v[10:11], off offset:-8
.LBB122_105:                            ;   in Loop: Header=BB122_100 Depth=1
	s_or_b64 exec, exec, s[4:5]
	v_pk_mov_b32 v[14:15], 0, 0
	v_cmp_gt_i32_e32 vcc, s26, v212
	s_mov_b64 s[16:17], 0
	v_pk_mov_b32 v[16:17], v[14:15], v[14:15] op_sel:[0,1]
	s_and_saveexec_b64 s[4:5], vcc
	s_cbranch_execz .LBB122_107
; %bb.106:                              ;   in Loop: Header=BB122_100 Depth=1
	v_add_co_u32_e32 v14, vcc, v174, v168
	v_addc_co_u32_e32 v15, vcc, 0, v173, vcc
	global_load_dwordx4 v[14:17], v[14:15], off
.LBB122_107:                            ;   in Loop: Header=BB122_100 Depth=1
	s_or_b64 exec, exec, s[4:5]
	v_cmp_gt_i32_e64 s[4:5], s26, v213
	s_mov_b64 s[14:15], 0
	s_and_b64 vcc, exec, s[16:17]
	s_cbranch_vccnz .LBB122_109
	s_branch .LBB122_110
.LBB122_108:                            ;   in Loop: Header=BB122_100 Depth=1
	s_mov_b64 s[4:5], 0
                                        ; implicit-def: $sgpr14_sgpr15
                                        ; implicit-def: $vgpr16_vgpr17
                                        ; implicit-def: $vgpr12_vgpr13
                                        ; implicit-def: $vgpr8_vgpr9
	s_cbranch_execz .LBB122_110
.LBB122_109:                            ;   in Loop: Header=BB122_100 Depth=1
	s_waitcnt vmcnt(0)
	v_add_co_u32_e32 v10, vcc, v178, v168
	v_addc_co_u32_e32 v11, vcc, 0, v177, vcc
	v_add_co_u32_e32 v14, vcc, v174, v168
	v_addc_co_u32_e32 v15, vcc, 0, v173, vcc
	global_load_dwordx4 v[6:9], v[18:19], off offset:-8
	s_or_b64 s[4:5], s[4:5], exec
	global_load_dwordx4 v[10:13], v[10:11], off offset:-8
                                        ; implicit-def: $sgpr14_sgpr15
	s_nop 0
	global_load_dwordx4 v[14:17], v[14:15], off
.LBB122_110:                            ;   in Loop: Header=BB122_100 Depth=1
	v_pk_mov_b32 v[18:19], s[14:15], s[14:15] op_sel:[0,1]
	v_pk_mov_b32 v[20:21], s[14:15], s[14:15] op_sel:[0,1]
	s_and_saveexec_b64 s[14:15], s[4:5]
	s_cbranch_execz .LBB122_112
; %bb.111:                              ;   in Loop: Header=BB122_100 Depth=1
	v_add_co_u32_e32 v18, vcc, v182, v168
	v_addc_co_u32_e32 v19, vcc, 0, v181, vcc
	global_load_dwordx4 v[18:21], v[18:19], off offset:-8
.LBB122_112:                            ;   in Loop: Header=BB122_100 Depth=1
	s_or_b64 exec, exec, s[14:15]
	ds_read_b128 v[34:37], v207
	ds_read_b128 v[22:25], v214
	v_cndmask_b32_e64 v5, 0, 1, s[8:9]
	s_andn2_b64 vcc, exec, s[8:9]
	v_add_co_u32_e64 v50, s[8:9], v186, v168
	s_waitcnt vmcnt(0) lgkmcnt(1)
	v_mul_f64 v[26:27], v[8:9], v[36:37]
	v_mul_f64 v[28:29], v[6:7], v[36:37]
	;; [unrolled: 1-line block ×3, first 2 shown]
	v_fma_f64 v[26:27], v[6:7], v[34:35], -v[26:27]
	v_fmac_f64_e32 v[28:29], v[8:9], v[34:35]
	v_mul_f64 v[32:33], v[10:11], v[36:37]
	ds_write_b128 v215, v[26:29]
	v_fma_f64 v[30:31], v[10:11], v[34:35], -v[30:31]
	v_fmac_f64_e32 v[32:33], v[12:13], v[34:35]
	v_mul_f64 v[38:39], v[16:17], v[36:37]
	v_mul_f64 v[40:41], v[14:15], v[36:37]
	ds_read_b128 v[26:29], v214 offset:16
	ds_write_b128 v215, v[30:33] offset:1072
	v_fma_f64 v[38:39], v[14:15], v[34:35], -v[38:39]
	v_fmac_f64_e32 v[40:41], v[16:17], v[34:35]
	v_mul_f64 v[42:43], v[20:21], v[36:37]
	v_mul_f64 v[44:45], v[18:19], v[36:37]
	ds_read_b128 v[30:33], v214 offset:32
	ds_write_b128 v215, v[38:41] offset:2144
	v_fma_f64 v[42:43], v[18:19], v[34:35], -v[42:43]
	v_fmac_f64_e32 v[44:45], v[20:21], v[34:35]
	ds_read_b128 v[38:41], v214 offset:48
	ds_write_b128 v215, v[42:45] offset:3216
	s_waitcnt lgkmcnt(0)
	s_barrier
	ds_read_b128 v[94:97], v210
	ds_read_b128 v[90:93], v210 offset:16
	ds_read_b128 v[86:89], v210 offset:32
	;; [unrolled: 1-line block ×3, first 2 shown]
	v_cmp_ne_u32_e64 s[4:5], 1, v5
	v_addc_co_u32_e64 v51, s[8:9], 0, v185, s[8:9]
	s_waitcnt lgkmcnt(0)
	s_barrier
	s_cbranch_vccnz .LBB122_120
; %bb.113:                              ;   in Loop: Header=BB122_100 Depth=1
	v_pk_mov_b32 v[42:43], 0, 0
	v_cmp_gt_i32_e32 vcc, s26, v216
	v_pk_mov_b32 v[34:35], v[42:43], v[42:43] op_sel:[0,1]
	v_pk_mov_b32 v[36:37], v[42:43], v[42:43] op_sel:[0,1]
	s_and_saveexec_b64 s[8:9], vcc
	s_cbranch_execz .LBB122_115
; %bb.114:                              ;   in Loop: Header=BB122_100 Depth=1
	global_load_dwordx4 v[34:37], v[50:51], off offset:-8
.LBB122_115:                            ;   in Loop: Header=BB122_100 Depth=1
	s_or_b64 exec, exec, s[8:9]
	v_cmp_gt_i32_e32 vcc, s26, v217
	v_pk_mov_b32 v[44:45], v[42:43], v[42:43] op_sel:[0,1]
	s_and_saveexec_b64 s[8:9], vcc
	s_cbranch_execz .LBB122_117
; %bb.116:                              ;   in Loop: Header=BB122_100 Depth=1
	v_add_co_u32_e32 v42, vcc, v190, v168
	v_addc_co_u32_e32 v43, vcc, 0, v189, vcc
	global_load_dwordx4 v[42:45], v[42:43], off offset:-8
.LBB122_117:                            ;   in Loop: Header=BB122_100 Depth=1
	s_or_b64 exec, exec, s[8:9]
	v_pk_mov_b32 v[46:47], 0, 0
	v_cmp_gt_i32_e32 vcc, s26, v218
	s_mov_b64 s[16:17], 0
	v_pk_mov_b32 v[48:49], v[46:47], v[46:47] op_sel:[0,1]
	s_and_saveexec_b64 s[8:9], vcc
	s_cbranch_execz .LBB122_119
; %bb.118:                              ;   in Loop: Header=BB122_100 Depth=1
	v_add_co_u32_e32 v46, vcc, v194, v168
	v_addc_co_u32_e32 v47, vcc, 0, v193, vcc
	global_load_dwordx4 v[46:49], v[46:47], off offset:-8
.LBB122_119:                            ;   in Loop: Header=BB122_100 Depth=1
	s_or_b64 exec, exec, s[8:9]
	v_cmp_gt_i32_e64 s[8:9], s26, v219
	s_mov_b64 s[14:15], 0
	s_and_b64 vcc, exec, s[16:17]
	s_cbranch_vccnz .LBB122_121
	s_branch .LBB122_122
.LBB122_120:                            ;   in Loop: Header=BB122_100 Depth=1
	s_mov_b64 s[8:9], 0
                                        ; implicit-def: $sgpr14_sgpr15
                                        ; implicit-def: $vgpr48_vgpr49
                                        ; implicit-def: $vgpr44_vgpr45
                                        ; implicit-def: $vgpr36_vgpr37
	s_cbranch_execz .LBB122_122
.LBB122_121:                            ;   in Loop: Header=BB122_100 Depth=1
	s_waitcnt vmcnt(0)
	v_add_co_u32_e32 v42, vcc, v190, v168
	v_addc_co_u32_e32 v43, vcc, 0, v189, vcc
	v_add_co_u32_e32 v46, vcc, v194, v168
	v_addc_co_u32_e32 v47, vcc, 0, v193, vcc
	global_load_dwordx4 v[34:37], v[50:51], off offset:-8
	s_or_b64 s[8:9], s[8:9], exec
	global_load_dwordx4 v[42:45], v[42:43], off offset:-8
                                        ; implicit-def: $sgpr14_sgpr15
	s_nop 0
	global_load_dwordx4 v[46:49], v[46:47], off offset:-8
.LBB122_122:                            ;   in Loop: Header=BB122_100 Depth=1
	v_pk_mov_b32 v[50:51], s[14:15], s[14:15] op_sel:[0,1]
	v_pk_mov_b32 v[52:53], s[14:15], s[14:15] op_sel:[0,1]
	s_and_saveexec_b64 s[14:15], s[8:9]
	s_cbranch_execz .LBB122_124
; %bb.123:                              ;   in Loop: Header=BB122_100 Depth=1
	v_add_co_u32_e32 v50, vcc, v198, v168
	v_addc_co_u32_e32 v51, vcc, 0, v197, vcc
	global_load_dwordx4 v[50:53], v[50:51], off offset:-8
.LBB122_124:                            ;   in Loop: Header=BB122_100 Depth=1
	s_or_b64 exec, exec, s[14:15]
	ds_read_b128 v[66:69], v207
	ds_read_b128 v[54:57], v214 offset:256
	v_add_co_u32_e64 v98, s[8:9], v200, v168
	s_and_b64 vcc, exec, s[4:5]
	s_waitcnt vmcnt(0) lgkmcnt(1)
	v_mul_f64 v[58:59], v[36:37], v[68:69]
	v_mul_f64 v[60:61], v[34:35], v[68:69]
	;; [unrolled: 1-line block ×3, first 2 shown]
	v_fma_f64 v[58:59], v[34:35], v[66:67], -v[58:59]
	v_fmac_f64_e32 v[60:61], v[36:37], v[66:67]
	v_mul_f64 v[64:65], v[42:43], v[68:69]
	ds_write_b128 v215, v[58:61]
	v_fma_f64 v[62:63], v[42:43], v[66:67], -v[62:63]
	v_fmac_f64_e32 v[64:65], v[44:45], v[66:67]
	v_mul_f64 v[70:71], v[48:49], v[68:69]
	v_mul_f64 v[72:73], v[46:47], v[68:69]
	ds_read_b128 v[58:61], v214 offset:272
	ds_write_b128 v215, v[62:65] offset:1072
	v_fma_f64 v[70:71], v[46:47], v[66:67], -v[70:71]
	v_fmac_f64_e32 v[72:73], v[48:49], v[66:67]
	v_mul_f64 v[74:75], v[52:53], v[68:69]
	v_mul_f64 v[76:77], v[50:51], v[68:69]
	ds_read_b128 v[62:65], v214 offset:288
	ds_write_b128 v215, v[70:73] offset:2144
	v_fma_f64 v[74:75], v[50:51], v[66:67], -v[74:75]
	v_fmac_f64_e32 v[76:77], v[52:53], v[66:67]
	ds_read_b128 v[70:73], v214 offset:304
	ds_write_b128 v215, v[74:77] offset:3216
	s_waitcnt lgkmcnt(0)
	s_barrier
	ds_read_b128 v[146:149], v210
	ds_read_b128 v[142:145], v210 offset:16
	ds_read_b128 v[138:141], v210 offset:32
	;; [unrolled: 1-line block ×3, first 2 shown]
	v_addc_co_u32_e64 v99, s[8:9], 0, v199, s[8:9]
	s_waitcnt lgkmcnt(0)
	s_barrier
	s_cbranch_vccnz .LBB122_132
; %bb.125:                              ;   in Loop: Header=BB122_100 Depth=1
	v_pk_mov_b32 v[74:75], 0, 0
	v_cmp_gt_i32_e32 vcc, s26, v220
	v_pk_mov_b32 v[66:67], v[74:75], v[74:75] op_sel:[0,1]
	v_pk_mov_b32 v[68:69], v[74:75], v[74:75] op_sel:[0,1]
	s_and_saveexec_b64 s[8:9], vcc
	s_cbranch_execz .LBB122_127
; %bb.126:                              ;   in Loop: Header=BB122_100 Depth=1
	global_load_dwordx4 v[66:69], v[98:99], off offset:-8
.LBB122_127:                            ;   in Loop: Header=BB122_100 Depth=1
	s_or_b64 exec, exec, s[8:9]
	v_cmp_gt_i32_e32 vcc, s26, v221
	v_pk_mov_b32 v[76:77], v[74:75], v[74:75] op_sel:[0,1]
	s_and_saveexec_b64 s[8:9], vcc
	s_cbranch_execz .LBB122_129
; %bb.128:                              ;   in Loop: Header=BB122_100 Depth=1
	v_add_co_u32_e32 v74, vcc, v196, v168
	v_addc_co_u32_e32 v75, vcc, 0, v195, vcc
	global_load_dwordx4 v[74:77], v[74:75], off
.LBB122_129:                            ;   in Loop: Header=BB122_100 Depth=1
	s_or_b64 exec, exec, s[8:9]
	v_pk_mov_b32 v[78:79], 0, 0
	v_cmp_gt_i32_e32 vcc, s26, v222
	s_mov_b64 s[16:17], 0
	v_pk_mov_b32 v[80:81], v[78:79], v[78:79] op_sel:[0,1]
	s_and_saveexec_b64 s[8:9], vcc
	s_cbranch_execz .LBB122_131
; %bb.130:                              ;   in Loop: Header=BB122_100 Depth=1
	v_add_co_u32_e32 v78, vcc, v192, v168
	v_addc_co_u32_e32 v79, vcc, 0, v191, vcc
	global_load_dwordx4 v[78:81], v[78:79], off
.LBB122_131:                            ;   in Loop: Header=BB122_100 Depth=1
	s_or_b64 exec, exec, s[8:9]
	v_cmp_gt_i32_e64 s[8:9], s26, v223
	s_mov_b64 s[14:15], 0
	s_and_b64 vcc, exec, s[16:17]
	s_cbranch_vccnz .LBB122_133
	s_branch .LBB122_134
.LBB122_132:                            ;   in Loop: Header=BB122_100 Depth=1
	s_mov_b64 s[8:9], 0
                                        ; implicit-def: $sgpr14_sgpr15
                                        ; implicit-def: $vgpr80_vgpr81
                                        ; implicit-def: $vgpr76_vgpr77
                                        ; implicit-def: $vgpr68_vgpr69
	s_cbranch_execz .LBB122_134
.LBB122_133:                            ;   in Loop: Header=BB122_100 Depth=1
	s_waitcnt vmcnt(0)
	v_add_co_u32_e32 v74, vcc, v196, v168
	v_addc_co_u32_e32 v75, vcc, 0, v195, vcc
	v_add_co_u32_e32 v78, vcc, v192, v168
	v_addc_co_u32_e32 v79, vcc, 0, v191, vcc
	global_load_dwordx4 v[66:69], v[98:99], off offset:-8
	s_or_b64 s[8:9], s[8:9], exec
	global_load_dwordx4 v[74:77], v[74:75], off
                                        ; implicit-def: $sgpr14_sgpr15
	s_nop 0
	global_load_dwordx4 v[78:81], v[78:79], off
.LBB122_134:                            ;   in Loop: Header=BB122_100 Depth=1
	v_pk_mov_b32 v[98:99], s[14:15], s[14:15] op_sel:[0,1]
	v_pk_mov_b32 v[100:101], s[14:15], s[14:15] op_sel:[0,1]
	s_and_saveexec_b64 s[14:15], s[8:9]
	s_cbranch_execz .LBB122_136
; %bb.135:                              ;   in Loop: Header=BB122_100 Depth=1
	v_add_co_u32_e32 v98, vcc, v188, v168
	v_addc_co_u32_e32 v99, vcc, 0, v187, vcc
	global_load_dwordx4 v[98:101], v[98:99], off
.LBB122_136:                            ;   in Loop: Header=BB122_100 Depth=1
	s_or_b64 exec, exec, s[14:15]
	ds_read_b128 v[114:117], v207
	ds_read_b128 v[102:105], v214 offset:512
	s_and_b64 vcc, exec, s[4:5]
	v_add_co_u32_e64 v130, s[4:5], v184, v168
	s_waitcnt vmcnt(0) lgkmcnt(1)
	v_mul_f64 v[106:107], v[68:69], v[116:117]
	v_mul_f64 v[108:109], v[66:67], v[116:117]
	;; [unrolled: 1-line block ×3, first 2 shown]
	v_fma_f64 v[106:107], v[66:67], v[114:115], -v[106:107]
	v_fmac_f64_e32 v[108:109], v[68:69], v[114:115]
	v_mul_f64 v[112:113], v[74:75], v[116:117]
	ds_write_b128 v215, v[106:109]
	v_fma_f64 v[110:111], v[74:75], v[114:115], -v[110:111]
	v_fmac_f64_e32 v[112:113], v[76:77], v[114:115]
	v_mul_f64 v[118:119], v[80:81], v[116:117]
	v_mul_f64 v[120:121], v[78:79], v[116:117]
	ds_read_b128 v[106:109], v214 offset:528
	ds_write_b128 v215, v[110:113] offset:1072
	v_fma_f64 v[118:119], v[78:79], v[114:115], -v[118:119]
	v_fmac_f64_e32 v[120:121], v[80:81], v[114:115]
	v_mul_f64 v[122:123], v[100:101], v[116:117]
	v_mul_f64 v[124:125], v[98:99], v[116:117]
	ds_read_b128 v[110:113], v214 offset:544
	ds_write_b128 v215, v[118:121] offset:2144
	v_fma_f64 v[122:123], v[98:99], v[114:115], -v[122:123]
	v_fmac_f64_e32 v[124:125], v[100:101], v[114:115]
	ds_read_b128 v[118:121], v214 offset:560
	ds_write_b128 v215, v[122:125] offset:3216
	s_waitcnt lgkmcnt(0)
	s_barrier
	ds_read_b128 v[162:165], v210
	ds_read_b128 v[158:161], v210 offset:16
	ds_read_b128 v[154:157], v210 offset:32
	;; [unrolled: 1-line block ×3, first 2 shown]
	v_addc_co_u32_e64 v131, s[4:5], 0, v183, s[4:5]
	s_waitcnt lgkmcnt(0)
	s_barrier
	s_cbranch_vccnz .LBB122_144
; %bb.137:                              ;   in Loop: Header=BB122_100 Depth=1
	v_pk_mov_b32 v[122:123], 0, 0
	v_cmp_gt_i32_e32 vcc, s26, v224
	v_pk_mov_b32 v[114:115], v[122:123], v[122:123] op_sel:[0,1]
	v_pk_mov_b32 v[116:117], v[122:123], v[122:123] op_sel:[0,1]
	s_and_saveexec_b64 s[4:5], vcc
	s_cbranch_execz .LBB122_139
; %bb.138:                              ;   in Loop: Header=BB122_100 Depth=1
	global_load_dwordx4 v[114:117], v[130:131], off
.LBB122_139:                            ;   in Loop: Header=BB122_100 Depth=1
	s_or_b64 exec, exec, s[4:5]
	v_cmp_gt_i32_e32 vcc, s26, v225
	v_pk_mov_b32 v[124:125], v[122:123], v[122:123] op_sel:[0,1]
	s_and_saveexec_b64 s[4:5], vcc
	s_cbranch_execz .LBB122_141
; %bb.140:                              ;   in Loop: Header=BB122_100 Depth=1
	v_add_co_u32_e32 v122, vcc, v180, v168
	v_addc_co_u32_e32 v123, vcc, 0, v179, vcc
	global_load_dwordx4 v[122:125], v[122:123], off
.LBB122_141:                            ;   in Loop: Header=BB122_100 Depth=1
	s_or_b64 exec, exec, s[4:5]
	v_pk_mov_b32 v[126:127], 0, 0
	v_cmp_gt_i32_e32 vcc, s26, v226
	s_mov_b64 s[14:15], 0
	v_pk_mov_b32 v[128:129], v[126:127], v[126:127] op_sel:[0,1]
	s_and_saveexec_b64 s[4:5], vcc
	s_cbranch_execz .LBB122_143
; %bb.142:                              ;   in Loop: Header=BB122_100 Depth=1
	v_add_co_u32_e32 v126, vcc, v176, v168
	v_addc_co_u32_e32 v127, vcc, 0, v175, vcc
	global_load_dwordx4 v[126:129], v[126:127], off
.LBB122_143:                            ;   in Loop: Header=BB122_100 Depth=1
	s_or_b64 exec, exec, s[4:5]
	v_cmp_gt_i32_e64 s[4:5], s26, v227
	s_mov_b64 s[8:9], 0
	s_and_b64 vcc, exec, s[14:15]
	s_cbranch_vccnz .LBB122_145
	s_branch .LBB122_146
.LBB122_144:                            ;   in Loop: Header=BB122_100 Depth=1
	s_mov_b64 s[4:5], 0
                                        ; implicit-def: $sgpr8_sgpr9
                                        ; implicit-def: $vgpr128_vgpr129
                                        ; implicit-def: $vgpr124_vgpr125
                                        ; implicit-def: $vgpr116_vgpr117
	s_cbranch_execz .LBB122_146
.LBB122_145:                            ;   in Loop: Header=BB122_100 Depth=1
	s_waitcnt vmcnt(0)
	v_add_co_u32_e32 v122, vcc, v180, v168
	v_addc_co_u32_e32 v123, vcc, 0, v179, vcc
	v_add_co_u32_e32 v126, vcc, v176, v168
	v_addc_co_u32_e32 v127, vcc, 0, v175, vcc
	global_load_dwordx4 v[114:117], v[130:131], off
	s_or_b64 s[4:5], s[4:5], exec
	global_load_dwordx4 v[122:125], v[122:123], off
                                        ; implicit-def: $sgpr8_sgpr9
	s_nop 0
	global_load_dwordx4 v[126:129], v[126:127], off
.LBB122_146:                            ;   in Loop: Header=BB122_100 Depth=1
	v_pk_mov_b32 v[130:131], s[8:9], s[8:9] op_sel:[0,1]
	v_pk_mov_b32 v[132:133], s[8:9], s[8:9] op_sel:[0,1]
	s_and_saveexec_b64 s[8:9], s[4:5]
	s_cbranch_execz .LBB122_148
; %bb.147:                              ;   in Loop: Header=BB122_100 Depth=1
	v_add_co_u32_e32 v130, vcc, v172, v168
	v_addc_co_u32_e32 v131, vcc, 0, v171, vcc
	global_load_dwordx4 v[130:133], v[130:131], off
.LBB122_148:                            ;   in Loop: Header=BB122_100 Depth=1
	s_or_b64 exec, exec, s[8:9]
	v_add_f64 v[146:147], v[146:147], 0
	v_add_f64 v[148:149], v[148:149], 0
	;; [unrolled: 1-line block ×6, first 2 shown]
	ds_read_b128 v[142:145], v207
	v_add_f64 v[162:163], v[162:163], 0
	v_add_f64 v[94:95], v[94:95], 0
	;; [unrolled: 1-line block ×11, first 2 shown]
	ds_read_b128 v[86:89], v214 offset:768
	s_waitcnt vmcnt(0) lgkmcnt(1)
	v_mul_f64 v[90:91], v[116:117], v[144:145]
	v_mul_f64 v[92:93], v[114:115], v[144:145]
	v_fma_f64 v[90:91], v[114:115], v[142:143], -v[90:91]
	v_fmac_f64_e32 v[92:93], v[116:117], v[142:143]
	v_mul_f64 v[94:95], v[124:125], v[144:145]
	v_mul_f64 v[96:97], v[122:123], v[144:145]
	v_add_f64 v[138:139], v[138:139], v[134:135]
	v_add_f64 v[140:141], v[140:141], v[136:137]
	ds_write_b128 v215, v[90:93]
	v_fma_f64 v[94:95], v[122:123], v[142:143], -v[94:95]
	v_fmac_f64_e32 v[96:97], v[124:125], v[142:143]
	v_mul_f64 v[134:135], v[128:129], v[144:145]
	v_mul_f64 v[136:137], v[126:127], v[144:145]
	ds_read_b128 v[90:93], v214 offset:784
	ds_write_b128 v215, v[94:97] offset:1072
	v_fma_f64 v[134:135], v[126:127], v[142:143], -v[134:135]
	v_fmac_f64_e32 v[136:137], v[128:129], v[142:143]
	v_mul_f64 v[146:147], v[132:133], v[144:145]
	v_mul_f64 v[148:149], v[130:131], v[144:145]
	ds_read_b128 v[94:97], v214 offset:800
	ds_write_b128 v215, v[134:137] offset:2144
	v_fma_f64 v[146:147], v[130:131], v[142:143], -v[146:147]
	v_fmac_f64_e32 v[148:149], v[132:133], v[142:143]
	v_add_f64 v[164:165], v[164:165], 0
	ds_read_b128 v[134:137], v214 offset:816
	ds_write_b128 v215, v[146:149] offset:3216
	s_waitcnt lgkmcnt(0)
	s_barrier
	ds_read_b128 v[142:145], v210
	v_add_f64 v[160:161], v[164:165], v[160:161]
	v_add_f64 v[156:157], v[160:161], v[156:157]
	;; [unrolled: 1-line block ×4, first 2 shown]
	ds_read_b128 v[146:149], v210 offset:16
	ds_read_b128 v[154:157], v210 offset:32
	;; [unrolled: 1-line block ×3, first 2 shown]
	s_waitcnt lgkmcnt(3)
	v_add_f64 v[142:143], v[142:143], 0
	v_add_f64 v[144:145], v[144:145], 0
	v_cmp_gt_i32_e32 vcc, s26, v201
	s_waitcnt lgkmcnt(2)
	v_add_f64 v[142:143], v[142:143], v[146:147]
	v_add_f64 v[144:145], v[144:145], v[148:149]
	s_or_b64 s[4:5], s[12:13], vcc
	s_waitcnt lgkmcnt(1)
	v_add_f64 v[142:143], v[142:143], v[154:155]
	v_add_f64 v[144:145], v[144:145], v[156:157]
	s_and_b64 s[8:9], s[2:3], s[4:5]
	s_waitcnt lgkmcnt(0)
	v_add_f64 v[142:143], v[142:143], v[158:159]
	v_add_f64 v[144:145], v[144:145], v[160:161]
	s_barrier
	ds_write_b128 v229, v[82:85]
	ds_write_b128 v229, v[138:141] offset:256
	ds_write_b128 v229, v[150:153] offset:512
	;; [unrolled: 1-line block ×3, first 2 shown]
	s_waitcnt lgkmcnt(0)
	s_barrier
	s_and_saveexec_b64 s[4:5], s[8:9]
	s_cbranch_execz .LBB122_150
; %bb.149:                              ;   in Loop: Header=BB122_100 Depth=1
	ds_read_b128 v[82:85], v208
	ds_read_b128 v[138:141], v208 offset:16
	ds_read_b128 v[142:145], v208 offset:32
	;; [unrolled: 1-line block ×3, first 2 shown]
	v_mov_b32_e32 v5, s21
	s_waitcnt lgkmcnt(2)
	v_add_f64 v[82:83], v[138:139], v[82:83]
	v_add_f64 v[138:139], v[140:141], v[84:85]
	s_waitcnt lgkmcnt(1)
	v_add_f64 v[140:141], v[82:83], v[142:143]
	ds_read_b128 v[82:85], v208 offset:64
	v_add_f64 v[142:143], v[138:139], v[144:145]
	s_waitcnt lgkmcnt(1)
	v_add_f64 v[144:145], v[140:141], v[146:147]
	ds_read_b128 v[138:141], v208 offset:80
	;; [unrolled: 4-line block ×9, first 2 shown]
	v_add_f64 v[84:85], v[146:147], v[84:85]
	s_waitcnt lgkmcnt(1)
	v_add_f64 v[138:139], v[82:83], v[138:139]
	v_add_f64 v[146:147], v[84:85], v[140:141]
	ds_read_b128 v[82:85], v208 offset:208
	s_waitcnt lgkmcnt(1)
	v_add_f64 v[148:149], v[138:139], v[142:143]
	ds_read_b128 v[138:141], v208 offset:224
	v_add_f64 v[146:147], v[146:147], v[144:145]
	ds_read_b128 v[142:145], v209
	s_waitcnt lgkmcnt(2)
	v_add_f64 v[82:83], v[148:149], v[82:83]
	v_add_f64 v[84:85], v[146:147], v[84:85]
	s_waitcnt lgkmcnt(1)
	v_add_f64 v[82:83], v[82:83], v[138:139]
	v_add_u32_e32 v138, s22, v228
	v_ashrrev_i32_e32 v139, 31, v138
	v_lshlrev_b64 v[138:139], 4, v[138:139]
	v_add_f64 v[84:85], v[84:85], v[140:141]
	v_add_co_u32_e32 v138, vcc, s7, v138
	s_waitcnt lgkmcnt(0)
	v_add_f64 v[82:83], v[82:83], v[142:143]
	v_add_f64 v[84:85], v[84:85], v[144:145]
	v_addc_co_u32_e32 v139, vcc, v5, v139, vcc
	global_store_dwordx4 v[138:139], v[82:85], off
.LBB122_150:                            ;   in Loop: Header=BB122_100 Depth=1
	s_or_b64 exec, exec, s[4:5]
	v_mov_b32_e32 v5, s11
	v_add_co_u32_e32 v170, vcc, s10, v170
	v_mul_f64 v[82:83], v[8:9], v[24:25]
	v_addc_co_u32_e32 v169, vcc, v169, v5, vcc
	v_fma_f64 v[82:83], v[6:7], v[22:23], -v[82:83]
	v_mul_f64 v[6:7], v[6:7], v[24:25]
	v_mul_f64 v[24:25], v[12:13], v[28:29]
	v_add_co_u32_e32 v172, vcc, s10, v172
	v_add_f64 v[0:1], v[0:1], v[82:83]
	v_fma_f64 v[24:25], v[10:11], v[26:27], -v[24:25]
	v_addc_co_u32_e32 v171, vcc, v171, v5, vcc
	v_add_f64 v[0:1], v[0:1], v[24:25]
	v_mul_f64 v[24:25], v[16:17], v[32:33]
	v_add_co_u32_e32 v174, vcc, s10, v174
	v_fma_f64 v[24:25], v[14:15], v[30:31], -v[24:25]
	v_addc_co_u32_e32 v173, vcc, v173, v5, vcc
	v_add_f64 v[0:1], v[0:1], v[24:25]
	v_mul_f64 v[24:25], v[20:21], v[40:41]
	v_fmac_f64_e32 v[6:7], v[8:9], v[22:23]
	v_add_co_u32_e32 v176, vcc, s10, v176
	v_fma_f64 v[24:25], v[18:19], v[38:39], -v[24:25]
	v_add_f64 v[2:3], v[2:3], v[6:7]
	v_mul_f64 v[6:7], v[36:37], v[56:57]
	v_addc_co_u32_e32 v175, vcc, v175, v5, vcc
	v_add_f64 v[0:1], v[0:1], v[24:25]
	v_fma_f64 v[6:7], v[34:35], v[54:55], -v[6:7]
	v_add_co_u32_e32 v178, vcc, s10, v178
	v_add_f64 v[0:1], v[0:1], v[6:7]
	v_mul_f64 v[6:7], v[44:45], v[60:61]
	v_addc_co_u32_e32 v177, vcc, v177, v5, vcc
	v_fma_f64 v[6:7], v[42:43], v[58:59], -v[6:7]
	v_add_co_u32_e32 v180, vcc, s10, v180
	v_add_f64 v[0:1], v[0:1], v[6:7]
	v_mul_f64 v[6:7], v[48:49], v[64:65]
	v_addc_co_u32_e32 v179, vcc, v179, v5, vcc
	;; [unrolled: 5-line block ×3, first 2 shown]
	v_fma_f64 v[6:7], v[50:51], v[70:71], -v[6:7]
	v_add_co_u32_e32 v184, vcc, s10, v184
	v_mul_f64 v[10:11], v[10:11], v[28:29]
	v_add_f64 v[0:1], v[0:1], v[6:7]
	v_mul_f64 v[6:7], v[68:69], v[104:105]
	v_addc_co_u32_e32 v183, vcc, v183, v5, vcc
	v_mul_f64 v[14:15], v[14:15], v[32:33]
	v_fmac_f64_e32 v[10:11], v[12:13], v[26:27]
	v_fma_f64 v[6:7], v[66:67], v[102:103], -v[6:7]
	v_add_co_u32_e32 v186, vcc, s10, v186
	v_mul_f64 v[18:19], v[18:19], v[40:41]
	v_add_f64 v[2:3], v[2:3], v[10:11]
	v_fmac_f64_e32 v[14:15], v[16:17], v[30:31]
	v_add_f64 v[0:1], v[0:1], v[6:7]
	v_mul_f64 v[6:7], v[76:77], v[108:109]
	v_addc_co_u32_e32 v185, vcc, v185, v5, vcc
	v_add_f64 v[2:3], v[2:3], v[14:15]
	v_fmac_f64_e32 v[18:19], v[20:21], v[38:39]
	v_mul_f64 v[8:9], v[34:35], v[56:57]
	v_fma_f64 v[6:7], v[74:75], v[106:107], -v[6:7]
	v_add_co_u32_e32 v188, vcc, s10, v188
	v_add_f64 v[2:3], v[2:3], v[18:19]
	v_mul_f64 v[10:11], v[42:43], v[60:61]
	v_fmac_f64_e32 v[8:9], v[36:37], v[54:55]
	v_add_f64 v[0:1], v[0:1], v[6:7]
	v_mul_f64 v[6:7], v[80:81], v[112:113]
	v_addc_co_u32_e32 v187, vcc, v187, v5, vcc
	v_mul_f64 v[12:13], v[46:47], v[64:65]
	v_add_f64 v[2:3], v[2:3], v[8:9]
	v_fmac_f64_e32 v[10:11], v[44:45], v[58:59]
	v_fma_f64 v[6:7], v[78:79], v[110:111], -v[6:7]
	v_add_co_u32_e32 v190, vcc, s10, v190
	v_mul_f64 v[14:15], v[50:51], v[72:73]
	v_add_f64 v[2:3], v[2:3], v[10:11]
	v_fmac_f64_e32 v[12:13], v[48:49], v[62:63]
	v_add_f64 v[0:1], v[0:1], v[6:7]
	v_mul_f64 v[6:7], v[100:101], v[120:121]
	v_addc_co_u32_e32 v189, vcc, v189, v5, vcc
	v_add_f64 v[2:3], v[2:3], v[12:13]
	v_fmac_f64_e32 v[14:15], v[52:53], v[70:71]
	v_mul_f64 v[8:9], v[66:67], v[104:105]
	v_fma_f64 v[6:7], v[98:99], v[118:119], -v[6:7]
	v_add_co_u32_e32 v192, vcc, s10, v192
	v_add_f64 v[2:3], v[2:3], v[14:15]
	v_mul_f64 v[10:11], v[74:75], v[108:109]
	v_add_f64 v[0:1], v[0:1], v[6:7]
	v_fmac_f64_e32 v[8:9], v[68:69], v[102:103]
	v_mul_f64 v[6:7], v[116:117], v[88:89]
	v_addc_co_u32_e32 v191, vcc, v191, v5, vcc
	v_mul_f64 v[12:13], v[78:79], v[112:113]
	v_add_f64 v[2:3], v[2:3], v[8:9]
	v_fmac_f64_e32 v[10:11], v[76:77], v[106:107]
	v_fma_f64 v[6:7], v[114:115], v[86:87], -v[6:7]
	v_add_co_u32_e32 v194, vcc, s10, v194
	v_mul_f64 v[14:15], v[98:99], v[120:121]
	v_add_f64 v[2:3], v[2:3], v[10:11]
	v_fmac_f64_e32 v[12:13], v[80:81], v[110:111]
	v_add_f64 v[0:1], v[0:1], v[6:7]
	v_mul_f64 v[6:7], v[124:125], v[92:93]
	v_addc_co_u32_e32 v193, vcc, v193, v5, vcc
	v_add_f64 v[2:3], v[2:3], v[12:13]
	v_fmac_f64_e32 v[14:15], v[100:101], v[118:119]
	v_mul_f64 v[8:9], v[114:115], v[88:89]
	v_fma_f64 v[6:7], v[122:123], v[90:91], -v[6:7]
	v_add_co_u32_e32 v196, vcc, s10, v196
	v_add_f64 v[2:3], v[2:3], v[14:15]
	v_mul_f64 v[10:11], v[122:123], v[92:93]
	v_add_f64 v[0:1], v[0:1], v[6:7]
	v_mul_f64 v[6:7], v[128:129], v[96:97]
	v_fmac_f64_e32 v[8:9], v[116:117], v[86:87]
	v_addc_co_u32_e32 v195, vcc, v195, v5, vcc
	v_fma_f64 v[6:7], v[126:127], v[94:95], -v[6:7]
	v_mul_f64 v[12:13], v[126:127], v[96:97]
	v_fmac_f64_e32 v[10:11], v[124:125], v[90:91]
	v_add_f64 v[2:3], v[2:3], v[8:9]
	v_add_co_u32_e32 v198, vcc, s10, v198
	v_add_f64 v[0:1], v[0:1], v[6:7]
	v_mul_f64 v[6:7], v[132:133], v[136:137]
	v_mul_f64 v[14:15], v[130:131], v[136:137]
	v_fmac_f64_e32 v[12:13], v[128:129], v[94:95]
	v_add_f64 v[2:3], v[2:3], v[10:11]
	v_addc_co_u32_e32 v197, vcc, v197, v5, vcc
	v_fma_f64 v[6:7], v[130:131], v[134:135], -v[6:7]
	v_fmac_f64_e32 v[14:15], v[132:133], v[134:135]
	v_add_f64 v[2:3], v[2:3], v[12:13]
	s_add_i32 s4, s6, 1
	s_add_i32 s22, s22, 64
	;; [unrolled: 1-line block ×3, first 2 shown]
	v_add_co_u32_e32 v200, vcc, s10, v200
	v_add_f64 v[0:1], v[0:1], v[6:7]
	v_add_f64 v[2:3], v[2:3], v[14:15]
	s_cmp_ge_u32 s5, s33
	v_addc_co_u32_e32 v199, vcc, v199, v5, vcc
	s_barrier
	s_cbranch_scc1 .LBB122_152
; %bb.151:                              ;   in Loop: Header=BB122_100 Depth=1
	s_mov_b32 s6, s4
	s_cmp_eq_u32 s23, s6
	s_cselect_b32 s26, s36, 0
	s_and_saveexec_b64 s[4:5], s[0:1]
	s_cbranch_execnz .LBB122_96
	s_branch .LBB122_100
.LBB122_152:
	s_movk_i32 s2, 0x430
	v_cmp_gt_i32_e32 vcc, s20, v201
	v_mad_u32_u24 v4, v202, s2, v168
	s_or_b64 s[2:3], s[18:19], vcc
	s_and_b64 s[0:1], s[0:1], s[2:3]
	ds_write_b128 v4, v[0:3]
	s_waitcnt lgkmcnt(0)
	s_barrier
	s_and_saveexec_b64 s[2:3], s[0:1]
	s_cbranch_execz .LBB122_154
; %bb.153:
	ds_read_b128 v[0:3], v168 offset:1072
	ds_read_b128 v[4:7], v168
	ds_read_b128 v[8:11], v168 offset:2144
	ds_read_b128 v[12:15], v168 offset:3216
	s_waitcnt lgkmcnt(2)
	v_add_f64 v[0:1], v[0:1], v[4:5]
	v_add_f64 v[2:3], v[2:3], v[6:7]
	v_lshlrev_b64 v[4:5], 4, v[166:167]
	s_waitcnt lgkmcnt(1)
	v_add_f64 v[0:1], v[0:1], v[8:9]
	v_add_f64 v[2:3], v[2:3], v[10:11]
	v_mov_b32_e32 v6, s21
	v_add_co_u32_e32 v4, vcc, s7, v4
	s_waitcnt lgkmcnt(0)
	v_add_f64 v[0:1], v[0:1], v[12:13]
	v_add_f64 v[2:3], v[2:3], v[14:15]
	v_addc_co_u32_e32 v5, vcc, v6, v5, vcc
	global_store_dwordx4 v[4:5], v[0:3], off
.LBB122_154:
	s_endpgm
	.section	.rodata,"a",@progbits
	.p2align	6, 0x0
	.amdhsa_kernel _ZL26rocblas_hemvn_kernel_upperILb0ELi64ELi4ELi33ELi32ELi16ElPK19rocblas_complex_numIdES3_PS1_EviT6_lT7_lT5_lS6_lS7_lS5_lT8_i
		.amdhsa_group_segment_fixed_size 19200
		.amdhsa_private_segment_fixed_size 0
		.amdhsa_kernarg_size 376
		.amdhsa_user_sgpr_count 6
		.amdhsa_user_sgpr_private_segment_buffer 1
		.amdhsa_user_sgpr_dispatch_ptr 0
		.amdhsa_user_sgpr_queue_ptr 0
		.amdhsa_user_sgpr_kernarg_segment_ptr 1
		.amdhsa_user_sgpr_dispatch_id 0
		.amdhsa_user_sgpr_flat_scratch_init 0
		.amdhsa_user_sgpr_kernarg_preload_length 0
		.amdhsa_user_sgpr_kernarg_preload_offset 0
		.amdhsa_user_sgpr_private_segment_size 0
		.amdhsa_uses_dynamic_stack 0
		.amdhsa_system_sgpr_private_segment_wavefront_offset 0
		.amdhsa_system_sgpr_workgroup_id_x 1
		.amdhsa_system_sgpr_workgroup_id_y 0
		.amdhsa_system_sgpr_workgroup_id_z 1
		.amdhsa_system_sgpr_workgroup_info 0
		.amdhsa_system_vgpr_workitem_id 1
		.amdhsa_next_free_vgpr 230
		.amdhsa_next_free_sgpr 42
		.amdhsa_accum_offset 232
		.amdhsa_reserve_vcc 1
		.amdhsa_reserve_flat_scratch 0
		.amdhsa_float_round_mode_32 0
		.amdhsa_float_round_mode_16_64 0
		.amdhsa_float_denorm_mode_32 3
		.amdhsa_float_denorm_mode_16_64 3
		.amdhsa_dx10_clamp 1
		.amdhsa_ieee_mode 1
		.amdhsa_fp16_overflow 0
		.amdhsa_tg_split 0
		.amdhsa_exception_fp_ieee_invalid_op 0
		.amdhsa_exception_fp_denorm_src 0
		.amdhsa_exception_fp_ieee_div_zero 0
		.amdhsa_exception_fp_ieee_overflow 0
		.amdhsa_exception_fp_ieee_underflow 0
		.amdhsa_exception_fp_ieee_inexact 0
		.amdhsa_exception_int_div_zero 0
	.end_amdhsa_kernel
	.section	.text._ZL26rocblas_hemvn_kernel_upperILb0ELi64ELi4ELi33ELi32ELi16ElPK19rocblas_complex_numIdES3_PS1_EviT6_lT7_lT5_lS6_lS7_lS5_lT8_i,"axG",@progbits,_ZL26rocblas_hemvn_kernel_upperILb0ELi64ELi4ELi33ELi32ELi16ElPK19rocblas_complex_numIdES3_PS1_EviT6_lT7_lT5_lS6_lS7_lS5_lT8_i,comdat
.Lfunc_end122:
	.size	_ZL26rocblas_hemvn_kernel_upperILb0ELi64ELi4ELi33ELi32ELi16ElPK19rocblas_complex_numIdES3_PS1_EviT6_lT7_lT5_lS6_lS7_lS5_lT8_i, .Lfunc_end122-_ZL26rocblas_hemvn_kernel_upperILb0ELi64ELi4ELi33ELi32ELi16ElPK19rocblas_complex_numIdES3_PS1_EviT6_lT7_lT5_lS6_lS7_lS5_lT8_i
                                        ; -- End function
	.section	.AMDGPU.csdata,"",@progbits
; Kernel info:
; codeLenInByte = 10744
; NumSgprs: 46
; NumVgprs: 230
; NumAgprs: 0
; TotalNumVgprs: 230
; ScratchSize: 0
; MemoryBound: 1
; FloatMode: 240
; IeeeMode: 1
; LDSByteSize: 19200 bytes/workgroup (compile time only)
; SGPRBlocks: 5
; VGPRBlocks: 28
; NumSGPRsForWavesPerEU: 46
; NumVGPRsForWavesPerEU: 230
; AccumOffset: 232
; Occupancy: 2
; WaveLimiterHint : 0
; COMPUTE_PGM_RSRC2:SCRATCH_EN: 0
; COMPUTE_PGM_RSRC2:USER_SGPR: 6
; COMPUTE_PGM_RSRC2:TRAP_HANDLER: 0
; COMPUTE_PGM_RSRC2:TGID_X_EN: 1
; COMPUTE_PGM_RSRC2:TGID_Y_EN: 0
; COMPUTE_PGM_RSRC2:TGID_Z_EN: 1
; COMPUTE_PGM_RSRC2:TIDIG_COMP_CNT: 1
; COMPUTE_PGM_RSRC3_GFX90A:ACCUM_OFFSET: 57
; COMPUTE_PGM_RSRC3_GFX90A:TG_SPLIT: 0
	.section	.text._ZL26rocblas_hemvn_kernel_upperILb0ELi64ELi4ELi33ELi32ELi16EiPK19rocblas_complex_numIdES3_PS1_EviT6_lT7_lT5_lS6_lS7_lS5_lT8_i,"axG",@progbits,_ZL26rocblas_hemvn_kernel_upperILb0ELi64ELi4ELi33ELi32ELi16EiPK19rocblas_complex_numIdES3_PS1_EviT6_lT7_lT5_lS6_lS7_lS5_lT8_i,comdat
	.globl	_ZL26rocblas_hemvn_kernel_upperILb0ELi64ELi4ELi33ELi32ELi16EiPK19rocblas_complex_numIdES3_PS1_EviT6_lT7_lT5_lS6_lS7_lS5_lT8_i ; -- Begin function _ZL26rocblas_hemvn_kernel_upperILb0ELi64ELi4ELi33ELi32ELi16EiPK19rocblas_complex_numIdES3_PS1_EviT6_lT7_lT5_lS6_lS7_lS5_lT8_i
	.p2align	8
	.type	_ZL26rocblas_hemvn_kernel_upperILb0ELi64ELi4ELi33ELi32ELi16EiPK19rocblas_complex_numIdES3_PS1_EviT6_lT7_lT5_lS6_lS7_lS5_lT8_i,@function
_ZL26rocblas_hemvn_kernel_upperILb0ELi64ELi4ELi33ELi32ELi16EiPK19rocblas_complex_numIdES3_PS1_EviT6_lT7_lT5_lS6_lS7_lS5_lT8_i: ; @_ZL26rocblas_hemvn_kernel_upperILb0ELi64ELi4ELi33ELi32ELi16EiPK19rocblas_complex_numIdES3_PS1_EviT6_lT7_lT5_lS6_lS7_lS5_lT8_i
; %bb.0:
	s_load_dwordx2 s[2:3], s[4:5], 0x84
	s_add_u32 s0, s4, 0x78
	s_addc_u32 s1, s5, 0
	s_waitcnt lgkmcnt(0)
	s_lshr_b32 s8, s2, 16
	s_and_b32 s2, s2, 0xffff
	s_and_b32 s3, s3, 0xffff
	s_mul_i32 s2, s8, s2
	s_mul_i32 s2, s2, s3
	s_cmpk_lg_i32 s2, 0x100
	s_cbranch_scc1 .LBB123_154
; %bb.1:
	s_load_dwordx8 s[16:23], s[4:5], 0x8
	s_waitcnt lgkmcnt(0)
	s_mul_i32 s3, s7, s19
	s_mul_hi_u32 s8, s7, s18
	s_mul_i32 s2, s7, s18
	s_add_i32 s3, s8, s3
	s_lshl_b64 s[2:3], s[2:3], 4
	s_add_u32 s2, s16, s2
	s_addc_u32 s3, s17, s3
	s_load_dwordx4 s[8:11], s[2:3], 0x0
	s_load_dwordx8 s[12:19], s[4:5], 0x50
	s_waitcnt lgkmcnt(0)
	v_cmp_neq_f64_e64 s[2:3], s[8:9], 0
	v_cmp_neq_f64_e64 s[8:9], s[10:11], 0
	s_or_b64 s[2:3], s[2:3], s[8:9]
	s_mov_b64 s[8:9], -1
	s_and_b64 vcc, exec, s[2:3]
	s_cbranch_vccnz .LBB123_3
; %bb.2:
	s_mul_i32 s8, s7, s17
	s_mul_hi_u32 s9, s7, s16
	s_add_i32 s9, s9, s8
	s_mul_i32 s8, s7, s16
	s_lshl_b64 s[8:9], s[8:9], 4
	s_add_u32 s8, s14, s8
	s_addc_u32 s9, s15, s9
	s_load_dwordx4 s[8:11], s[8:9], 0x0
	s_waitcnt lgkmcnt(0)
	v_cmp_neq_f64_e64 s[8:9], s[8:9], 1.0
	v_cmp_neq_f64_e64 s[10:11], s[10:11], 0
	s_or_b64 s[8:9], s[8:9], s[10:11]
.LBB123_3:
	s_andn2_b64 vcc, exec, s[8:9]
	s_cbranch_vccnz .LBB123_154
; %bb.4:
	s_andn2_b64 vcc, exec, s[2:3]
	s_cbranch_vccnz .LBB123_154
; %bb.5:
	s_load_dword s33, s[0:1], 0x0
	s_load_dword s40, s[4:5], 0x0
	s_load_dwordx4 s[8:11], s[4:5], 0x30
	s_load_dwordx2 s[2:3], s[4:5], 0x40
	s_load_dword s39, s[4:5], 0x48
	s_mul_i32 s0, s7, s13
	s_mul_hi_u32 s1, s7, s12
	s_add_i32 s1, s1, s0
	s_mul_i32 s0, s7, s12
	s_lshl_b64 s[0:1], s[0:1], 4
	s_waitcnt lgkmcnt(0)
	s_add_u32 s10, s10, s0
	s_addc_u32 s11, s11, s1
	s_lshl_b64 s[0:1], s[2:3], 4
	s_add_u32 s0, s10, s0
	s_addc_u32 s1, s11, s1
	v_and_b32_e32 v168, 0x3ff, v0
	s_lshl_b32 s24, s6, 6
	s_ashr_i32 s41, s40, 31
	s_lshr_b32 s3, s41, 26
	v_add_u32_e32 v166, s24, v168
	v_bfe_u32 v209, v0, 10, 10
	s_add_i32 s3, s40, s3
	v_mul_lo_u32 v0, v166, s39
	s_andn2_b32 s3, s3, 63
	v_ashrrev_i32_e32 v1, 31, v0
	s_add_i32 s2, s33, -1
	s_sub_i32 s38, s40, s3
	v_lshlrev_b64 v[0:1], 4, v[0:1]
	s_cmp_eq_u32 s6, s2
	v_mov_b32_e32 v2, s1
	v_add_co_u32_e32 v36, vcc, s0, v0
	s_cselect_b32 s16, s38, 0
	v_addc_co_u32_e32 v37, vcc, v2, v1, vcc
	v_cmp_eq_u32_e64 s[0:1], 0, v209
	s_and_saveexec_b64 s[2:3], s[0:1]
	s_cbranch_execz .LBB123_10
; %bb.6:
	s_cmp_lg_u32 s16, 0
	s_cselect_b64 s[10:11], -1, 0
	v_cmp_le_i32_e32 vcc, s16, v168
	v_mov_b32_e32 v0, 0x4700
	s_and_b64 s[10:11], s[10:11], vcc
	v_lshl_add_u32 v0, v168, 4, v0
	s_and_saveexec_b64 s[12:13], s[10:11]
	s_xor_b64 s[10:11], exec, s[12:13]
	s_cbranch_execz .LBB123_8
; %bb.7:
	v_mov_b32_e32 v2, 0
	v_mov_b32_e32 v3, v2
	;; [unrolled: 1-line block ×4, first 2 shown]
	ds_write_b128 v0, v[2:5]
                                        ; implicit-def: $vgpr0
.LBB123_8:
	s_andn2_saveexec_b64 s[10:11], s[10:11]
	s_cbranch_execz .LBB123_10
; %bb.9:
	global_load_dwordx4 v[2:5], v[36:37], off
	s_waitcnt vmcnt(0)
	ds_write2_b64 v0, v[2:3], v[4:5] offset1:1
.LBB123_10:
	s_or_b64 exec, exec, s[2:3]
	s_mul_i32 s2, s7, s9
	s_mul_hi_u32 s3, s7, s8
	s_add_i32 s3, s3, s2
	s_mul_i32 s2, s7, s8
	s_lshl_b64 s[2:3], s[2:3], 4
	s_add_u32 s8, s20, s2
	s_addc_u32 s9, s21, s3
	s_lshl_b64 s[2:3], s[22:23], 4
	s_load_dword s22, s[4:5], 0x28
	s_add_u32 s8, s8, s2
	s_addc_u32 s9, s9, s3
	s_ashr_i32 s25, s24, 31
	v_lshl_add_u32 v42, v209, 6, v168
	s_lshl_b64 s[2:3], s[24:25], 4
	v_and_b32_e32 v4, 31, v168
	v_lshrrev_b32_e32 v5, 5, v42
	s_add_u32 s4, s8, s2
	s_addc_u32 s5, s9, s3
	s_waitcnt lgkmcnt(0)
	v_mad_u64_u32 v[0:1], s[2:3], v5, s22, v[4:5]
	s_mul_i32 s2, s24, s22
	s_ashr_i32 s3, s2, 31
	s_lshl_b64 s[2:3], s[2:3], 4
	s_add_u32 s2, s2, s4
	v_ashrrev_i32_e32 v1, 31, v0
	s_addc_u32 s3, s3, s5
	v_lshlrev_b64 v[38:39], 4, v[0:1]
	s_cmp_eq_u32 s16, 0
	v_mov_b32_e32 v1, s3
	v_add_co_u32_e32 v0, vcc, s2, v38
	s_cselect_b64 s[20:21], -1, 0
	s_cmp_lg_u32 s16, 0
	v_addc_co_u32_e32 v1, vcc, v1, v39, vcc
	s_cselect_b64 s[30:31], -1, 0
	s_and_b64 vcc, exec, s[30:31]
	v_cmp_gt_i32_e64 s[2:3], s16, v4
	v_lshlrev_b32_e32 v13, 4, v4
	v_mul_u32_u24_e32 v12, 33, v5
	s_cbranch_vccz .LBB123_28
; %bb.11:
	v_sub_co_u32_e32 v2, vcc, v0, v13
	s_ashr_i32 s17, s16, 31
	v_subbrev_co_u32_e32 v3, vcc, 0, v1, vcc
	s_lshl_b64 s[4:5], s[16:17], 4
	v_mov_b32_e32 v6, s5
	v_add_co_u32_e32 v2, vcc, s4, v2
	v_addc_co_u32_e32 v3, vcc, v3, v6, vcc
	v_add_co_u32_e32 v2, vcc, -16, v2
	v_addc_co_u32_e32 v3, vcc, -1, v3, vcc
	v_cndmask_b32_e64 v3, v3, v1, s[2:3]
	v_cndmask_b32_e64 v2, v2, v0, s[2:3]
	v_cmp_le_i32_e32 vcc, s16, v5
	v_add_lshl_u32 v6, v12, v4, 4
	s_and_saveexec_b64 s[8:9], vcc
	s_xor_b64 s[8:9], exec, s[8:9]
	s_cbranch_execz .LBB123_13
; %bb.12:
	v_mov_b32_e32 v8, 0
	v_mov_b32_e32 v9, v8
	;; [unrolled: 1-line block ×4, first 2 shown]
	ds_write_b128 v6, v[8:11]
.LBB123_13:
	s_andn2_saveexec_b64 s[8:9], s[8:9]
	s_cbranch_execz .LBB123_15
; %bb.14:
	global_load_dwordx4 v[8:11], v[2:3], off
	s_waitcnt vmcnt(0)
	ds_write2_b64 v6, v[8:9], v[10:11] offset1:1
.LBB123_15:
	s_or_b64 exec, exec, s[8:9]
	v_add_u32_e32 v7, 8, v5
	v_cmp_le_i32_e32 vcc, s16, v7
	s_and_saveexec_b64 s[8:9], vcc
	s_xor_b64 s[8:9], exec, s[8:9]
	s_cbranch_execz .LBB123_17
; %bb.16:
	v_mul_u32_u24_e32 v7, 33, v7
	v_mov_b32_e32 v8, 0
	v_add_lshl_u32 v7, v7, v4, 4
	v_mov_b32_e32 v9, v8
	v_mov_b32_e32 v10, v8
	;; [unrolled: 1-line block ×3, first 2 shown]
	ds_write_b128 v7, v[8:11]
.LBB123_17:
	s_andn2_saveexec_b64 s[8:9], s[8:9]
	s_cbranch_execz .LBB123_19
; %bb.18:
	s_lshl_b32 s10, s22, 3
	s_ashr_i32 s11, s10, 31
	s_lshl_b64 s[10:11], s[10:11], 4
	v_mov_b32_e32 v7, s11
	v_add_co_u32_e32 v8, vcc, s10, v2
	v_addc_co_u32_e32 v9, vcc, v3, v7, vcc
	global_load_dwordx4 v[8:11], v[8:9], off
	v_add_u32_e32 v7, 0x1080, v6
	s_waitcnt vmcnt(0)
	ds_write2_b64 v7, v[8:9], v[10:11] offset1:1
.LBB123_19:
	s_or_b64 exec, exec, s[8:9]
	v_add_u32_e32 v7, 16, v5
	v_cmp_le_i32_e32 vcc, s16, v7
	s_and_saveexec_b64 s[8:9], vcc
	s_xor_b64 s[8:9], exec, s[8:9]
	s_cbranch_execz .LBB123_21
; %bb.20:
	v_mul_u32_u24_e32 v7, 33, v7
	v_mov_b32_e32 v8, 0
	v_add_lshl_u32 v7, v7, v4, 4
	v_mov_b32_e32 v9, v8
	v_mov_b32_e32 v10, v8
	;; [unrolled: 1-line block ×3, first 2 shown]
	ds_write_b128 v7, v[8:11]
.LBB123_21:
	s_andn2_saveexec_b64 s[8:9], s[8:9]
	s_cbranch_execz .LBB123_23
; %bb.22:
	s_lshl_b32 s10, s22, 4
	s_ashr_i32 s11, s10, 31
	s_lshl_b64 s[10:11], s[10:11], 4
	v_mov_b32_e32 v7, s11
	v_add_co_u32_e32 v8, vcc, s10, v2
	v_addc_co_u32_e32 v9, vcc, v3, v7, vcc
	global_load_dwordx4 v[8:11], v[8:9], off
	v_add_u32_e32 v7, 0x2100, v6
	s_waitcnt vmcnt(0)
	ds_write2_b64 v7, v[8:9], v[10:11] offset1:1
.LBB123_23:
	s_or_b64 exec, exec, s[8:9]
	v_add_u32_e32 v7, 24, v5
	v_cmp_le_i32_e32 vcc, s16, v7
	s_and_saveexec_b64 s[8:9], vcc
	s_xor_b64 s[8:9], exec, s[8:9]
	s_cbranch_execz .LBB123_25
; %bb.24:
	v_mov_b32_e32 v8, 0
	v_mov_b32_e32 v9, v8
	;; [unrolled: 1-line block ×4, first 2 shown]
	ds_write_b128 v6, v[8:11] offset:12672
                                        ; implicit-def: $vgpr6
.LBB123_25:
	s_andn2_saveexec_b64 s[8:9], s[8:9]
	s_cbranch_execz .LBB123_27
; %bb.26:
	s_mul_i32 s10, s22, 24
	s_ashr_i32 s11, s10, 31
	s_lshl_b64 s[10:11], s[10:11], 4
	v_mov_b32_e32 v7, s11
	v_add_co_u32_e32 v8, vcc, s10, v2
	v_addc_co_u32_e32 v9, vcc, v3, v7, vcc
	global_load_dwordx4 v[8:11], v[8:9], off
	v_add_u32_e32 v6, 0x3180, v6
	s_waitcnt vmcnt(0)
	ds_write2_b64 v6, v[8:9], v[10:11] offset1:1
.LBB123_27:
	s_or_b64 exec, exec, s[8:9]
	v_add_co_u32_e32 v2, vcc, v2, v13
	v_addc_co_u32_e32 v3, vcc, 0, v3, vcc
	v_mov_b32_e32 v6, s5
	v_subrev_co_u32_e32 v2, vcc, s4, v2
	v_subb_co_u32_e32 v3, vcc, v3, v6, vcc
	v_add_co_u32_e32 v2, vcc, 16, v2
	v_addc_co_u32_e32 v3, vcc, 0, v3, vcc
	v_cndmask_b32_e64 v7, v3, v1, s[2:3]
	v_cndmask_b32_e64 v6, v2, v0, s[2:3]
	s_branch .LBB123_30
.LBB123_28:
                                        ; implicit-def: $vgpr6_vgpr7
	s_cbranch_execz .LBB123_30
; %bb.29:
	s_lshl_b32 s2, s22, 3
	s_ashr_i32 s3, s2, 31
	s_lshl_b64 s[2:3], s[2:3], 4
	v_mov_b32_e32 v3, s3
	v_add_co_u32_e32 v2, vcc, s2, v0
	s_ashr_i32 s23, s22, 31
	v_addc_co_u32_e32 v3, vcc, v1, v3, vcc
	s_lshl_b64 s[2:3], s[22:23], 7
	global_load_dwordx4 v[6:9], v[0:1], off
	global_load_dwordx4 v[14:17], v[2:3], off
	v_mov_b32_e32 v10, s3
	v_add_co_u32_e32 v2, vcc, s2, v2
	v_addc_co_u32_e32 v3, vcc, v3, v10, vcc
	global_load_dwordx4 v[18:21], v[2:3], off
	v_add_co_u32_e32 v2, vcc, s2, v2
	v_addc_co_u32_e32 v3, vcc, v3, v10, vcc
	global_load_dwordx4 v[22:25], v[2:3], off
	v_add_lshl_u32 v2, v12, v4, 4
	v_add_u32_e32 v3, 0x1080, v2
	v_add_u32_e32 v10, 0x2100, v2
	;; [unrolled: 1-line block ×3, first 2 shown]
	s_waitcnt vmcnt(3)
	ds_write2_b64 v2, v[6:7], v[8:9] offset1:1
	s_waitcnt vmcnt(2)
	ds_write2_b64 v3, v[14:15], v[16:17] offset1:1
	;; [unrolled: 2-line block ×4, first 2 shown]
	v_pk_mov_b32 v[6:7], v[0:1], v[0:1] op_sel:[0,1]
.LBB123_30:
	v_lshlrev_b32_e32 v0, 2, v5
	v_mul_u32_u24_e32 v14, 33, v4
	v_cmp_gt_u32_e64 s[4:5], v0, v4
	v_add_lshl_u32 v10, v0, v14, 4
	s_waitcnt lgkmcnt(0)
	s_barrier
	s_and_saveexec_b64 s[2:3], s[4:5]
	s_cbranch_execz .LBB123_32
; %bb.31:
	v_mul_u32_u24_e32 v1, 0x84, v5
	v_add_lshl_u32 v1, v1, v4, 4
	ds_read_b128 v[16:19], v1
	s_waitcnt lgkmcnt(0)
	ds_write_b128 v10, v[16:19]
.LBB123_32:
	s_or_b64 exec, exec, s[2:3]
	v_cmp_ge_u32_e64 s[14:15], v0, v4
	s_and_saveexec_b64 s[2:3], s[14:15]
	s_cbranch_execz .LBB123_34
; %bb.33:
	v_or_b32_e32 v1, 1, v0
	v_mul_u32_u24_e32 v1, 33, v1
	v_add_lshl_u32 v1, v1, v4, 4
	ds_read_b128 v[16:19], v1
	s_waitcnt lgkmcnt(0)
	ds_write_b128 v10, v[16:19] offset:16
.LBB123_34:
	s_or_b64 exec, exec, s[2:3]
	v_or_b32_e32 v1, 2, v0
	v_cmp_gt_u32_e64 s[8:9], v1, v4
	s_and_saveexec_b64 s[2:3], s[8:9]
	s_cbranch_execz .LBB123_36
; %bb.35:
	v_mul_u32_u24_e32 v1, 33, v1
	v_add_lshl_u32 v1, v1, v4, 4
	ds_read_b128 v[16:19], v1
	s_waitcnt lgkmcnt(0)
	ds_write_b128 v10, v[16:19] offset:32
.LBB123_36:
	s_or_b64 exec, exec, s[2:3]
	v_or_b32_e32 v1, 3, v0
	v_cmp_gt_u32_e64 s[10:11], v1, v4
	v_mad_u32_u24 v1, v1, 33, v4
	v_lshlrev_b32_e32 v15, 4, v1
	s_and_saveexec_b64 s[2:3], s[10:11]
	s_cbranch_execz .LBB123_38
; %bb.37:
	ds_read_b128 v[16:19], v15
	s_waitcnt lgkmcnt(0)
	ds_write_b128 v10, v[16:19] offset:48
.LBB123_38:
	s_or_b64 exec, exec, s[2:3]
	v_mul_u32_u24_e32 v1, 0x84, v5
	v_lshlrev_b32_e32 v11, 4, v0
	s_waitcnt lgkmcnt(0)
	s_barrier
	v_add_lshl_u32 v24, v1, v4, 4
	ds_read_b128 v[0:3], v11 offset:18176
	ds_read_b128 v[16:19], v24
	ds_read_b128 v[20:23], v11 offset:18192
	ds_read_b128 v[26:29], v11 offset:18208
	v_add_u32_e32 v25, 0xfffffbe0, v15
	ds_read_b128 v[30:33], v25
	ds_read_b128 v[44:47], v25 offset:528
	s_waitcnt lgkmcnt(4)
	v_mul_f64 v[8:9], v[2:3], v[18:19]
	v_fma_f64 v[8:9], v[0:1], v[16:17], -v[8:9]
	v_mul_f64 v[0:1], v[0:1], v[18:19]
	v_fmac_f64_e32 v[0:1], v[2:3], v[16:17]
	s_waitcnt lgkmcnt(1)
	v_mul_f64 v[16:17], v[20:21], v[32:33]
	v_add_f64 v[2:3], v[8:9], 0
	v_add_f64 v[0:1], v[0:1], 0
	v_mul_f64 v[8:9], v[22:23], v[32:33]
	v_fmac_f64_e32 v[16:17], v[22:23], v[30:31]
	v_fma_f64 v[8:9], v[20:21], v[30:31], -v[8:9]
	v_add_f64 v[20:21], v[0:1], v[16:17]
	s_waitcnt lgkmcnt(0)
	v_mul_f64 v[0:1], v[28:29], v[46:47]
	v_add_f64 v[8:9], v[2:3], v[8:9]
	v_fma_f64 v[22:23], v[26:27], v[44:45], -v[0:1]
	ds_read_b128 v[0:3], v11 offset:18224
	ds_read_b128 v[16:19], v15
	v_mul_f64 v[26:27], v[26:27], v[46:47]
	v_fmac_f64_e32 v[26:27], v[28:29], v[44:45]
	v_add_f64 v[8:9], v[8:9], v[22:23]
	v_add_f64 v[20:21], v[20:21], v[26:27]
	s_waitcnt lgkmcnt(0)
	v_mul_f64 v[22:23], v[2:3], v[18:19]
	v_mul_f64 v[18:19], v[0:1], v[18:19]
	v_fma_f64 v[22:23], v[0:1], v[16:17], -v[22:23]
	v_fmac_f64_e32 v[18:19], v[2:3], v[16:17]
	v_add_f64 v[0:1], v[8:9], v[22:23]
	v_add_f64 v[2:3], v[20:21], v[18:19]
	v_add_lshl_u32 v44, v5, v14, 4
	s_barrier
	ds_write_b128 v44, v[0:3]
	v_pk_mov_b32 v[0:1], 0, 0
	v_cmp_gt_u32_e64 s[2:3], 32, v42
	v_lshlrev_b32_e32 v43, 4, v14
	v_pk_mov_b32 v[2:3], v[0:1], v[0:1] op_sel:[0,1]
	s_waitcnt lgkmcnt(0)
	s_barrier
	s_and_saveexec_b64 s[12:13], s[2:3]
	s_cbranch_execz .LBB123_40
; %bb.39:
	ds_read_b128 v[0:3], v43
	ds_read_b128 v[16:19], v43 offset:16
	ds_read_b128 v[20:23], v43 offset:32
	;; [unrolled: 1-line block ×3, first 2 shown]
	s_waitcnt lgkmcnt(2)
	v_add_f64 v[0:1], v[16:17], v[0:1]
	v_add_f64 v[8:9], v[18:19], v[2:3]
	s_waitcnt lgkmcnt(1)
	v_add_f64 v[16:17], v[0:1], v[20:21]
	ds_read_b128 v[0:3], v43 offset:64
	v_add_f64 v[8:9], v[8:9], v[22:23]
	s_waitcnt lgkmcnt(1)
	v_add_f64 v[20:21], v[16:17], v[26:27]
	ds_read_b128 v[16:19], v43 offset:80
	;; [unrolled: 4-line block ×3, first 2 shown]
	v_add_f64 v[8:9], v[8:9], v[2:3]
	ds_read_b128 v[0:3], v43 offset:112
	s_waitcnt lgkmcnt(2)
	v_add_f64 v[16:17], v[26:27], v[16:17]
	v_add_f64 v[8:9], v[8:9], v[18:19]
	s_waitcnt lgkmcnt(1)
	v_add_f64 v[16:17], v[16:17], v[20:21]
	v_add_f64 v[8:9], v[8:9], v[22:23]
	;; [unrolled: 3-line block ×3, first 2 shown]
.LBB123_40:
	s_or_b64 exec, exec, s[12:13]
	s_lshl_b32 s28, s22, 5
	s_ashr_i32 s29, s28, 31
	s_lshl_b64 s[26:27], s[28:29], 4
	v_mov_b32_e32 v8, s27
	v_add_co_u32_e32 v16, vcc, s26, v6
	v_addc_co_u32_e32 v17, vcc, v7, v8, vcc
	v_add_co_u32_e32 v8, vcc, 0x200, v16
	v_addc_co_u32_e32 v9, vcc, 0, v17, vcc
	s_and_b64 vcc, exec, s[30:31]
	s_barrier
	s_cbranch_vccz .LBB123_58
; %bb.41:
	v_sub_co_u32_e32 v7, vcc, v8, v13
	s_ashr_i32 s17, s16, 31
	v_subbrev_co_u32_e32 v18, vcc, 0, v9, vcc
	s_lshl_b64 s[34:35], s[16:17], 4
	v_mov_b32_e32 v19, s35
	v_add_co_u32_e32 v7, vcc, s34, v7
	v_addc_co_u32_e32 v18, vcc, v18, v19, vcc
	v_or_b32_e32 v6, 32, v4
	v_add_co_u32_e32 v19, vcc, 0xfffffdf0, v7
	v_addc_co_u32_e32 v7, vcc, -1, v18, vcc
	v_cmp_gt_i32_e64 s[12:13], s16, v6
	s_sub_i32 s17, s16, 32
	v_cndmask_b32_e64 v7, v7, v9, s[12:13]
	v_cndmask_b32_e64 v6, v19, v8, s[12:13]
	v_cmp_le_i32_e32 vcc, s17, v5
	v_add_lshl_u32 v18, v12, v4, 4
	s_and_saveexec_b64 s[36:37], vcc
	s_xor_b64 s[36:37], exec, s[36:37]
	s_cbranch_execz .LBB123_43
; %bb.42:
	v_mov_b32_e32 v20, 0
	v_mov_b32_e32 v21, v20
	;; [unrolled: 1-line block ×4, first 2 shown]
	ds_write_b128 v18, v[20:23]
.LBB123_43:
	s_andn2_saveexec_b64 s[36:37], s[36:37]
	s_cbranch_execz .LBB123_45
; %bb.44:
	global_load_dwordx4 v[20:23], v[6:7], off
	s_waitcnt vmcnt(0)
	ds_write2_b64 v18, v[20:21], v[22:23] offset1:1
.LBB123_45:
	s_or_b64 exec, exec, s[36:37]
	v_add_u32_e32 v19, 8, v5
	v_cmp_le_i32_e32 vcc, s17, v19
	s_and_saveexec_b64 s[36:37], vcc
	s_xor_b64 s[36:37], exec, s[36:37]
	s_cbranch_execz .LBB123_47
; %bb.46:
	v_mul_u32_u24_e32 v19, 33, v19
	v_mov_b32_e32 v20, 0
	v_add_lshl_u32 v19, v19, v4, 4
	v_mov_b32_e32 v21, v20
	v_mov_b32_e32 v22, v20
	;; [unrolled: 1-line block ×3, first 2 shown]
	ds_write_b128 v19, v[20:23]
.LBB123_47:
	s_andn2_saveexec_b64 s[36:37], s[36:37]
	s_cbranch_execz .LBB123_49
; %bb.48:
	s_lshl_b32 s42, s22, 3
	s_ashr_i32 s43, s42, 31
	s_lshl_b64 s[42:43], s[42:43], 4
	v_mov_b32_e32 v19, s43
	v_add_co_u32_e32 v20, vcc, s42, v6
	v_addc_co_u32_e32 v21, vcc, v7, v19, vcc
	global_load_dwordx4 v[20:23], v[20:21], off
	v_add_u32_e32 v19, 0x1080, v18
	s_waitcnt vmcnt(0)
	ds_write2_b64 v19, v[20:21], v[22:23] offset1:1
.LBB123_49:
	s_or_b64 exec, exec, s[36:37]
	v_add_u32_e32 v19, 16, v5
	v_cmp_le_i32_e32 vcc, s17, v19
	s_and_saveexec_b64 s[36:37], vcc
	s_xor_b64 s[36:37], exec, s[36:37]
	s_cbranch_execz .LBB123_51
; %bb.50:
	v_mul_u32_u24_e32 v19, 33, v19
	v_mov_b32_e32 v20, 0
	v_add_lshl_u32 v19, v19, v4, 4
	v_mov_b32_e32 v21, v20
	v_mov_b32_e32 v22, v20
	;; [unrolled: 1-line block ×3, first 2 shown]
	ds_write_b128 v19, v[20:23]
.LBB123_51:
	s_andn2_saveexec_b64 s[36:37], s[36:37]
	s_cbranch_execz .LBB123_53
; %bb.52:
	s_lshl_b32 s42, s22, 4
	s_ashr_i32 s43, s42, 31
	s_lshl_b64 s[42:43], s[42:43], 4
	v_mov_b32_e32 v19, s43
	v_add_co_u32_e32 v20, vcc, s42, v6
	v_addc_co_u32_e32 v21, vcc, v7, v19, vcc
	global_load_dwordx4 v[20:23], v[20:21], off
	v_add_u32_e32 v19, 0x2100, v18
	s_waitcnt vmcnt(0)
	ds_write2_b64 v19, v[20:21], v[22:23] offset1:1
.LBB123_53:
	s_or_b64 exec, exec, s[36:37]
	v_add_u32_e32 v19, 24, v5
	v_cmp_le_i32_e32 vcc, s17, v19
	s_and_saveexec_b64 s[36:37], vcc
	s_xor_b64 s[36:37], exec, s[36:37]
	s_cbranch_execz .LBB123_55
; %bb.54:
	v_mov_b32_e32 v20, 0
	v_mov_b32_e32 v21, v20
	;; [unrolled: 1-line block ×4, first 2 shown]
	ds_write_b128 v18, v[20:23] offset:12672
                                        ; implicit-def: $vgpr18
.LBB123_55:
	s_andn2_saveexec_b64 s[36:37], s[36:37]
	s_cbranch_execz .LBB123_57
; %bb.56:
	s_mul_i32 s42, s22, 24
	s_ashr_i32 s43, s42, 31
	s_lshl_b64 s[42:43], s[42:43], 4
	v_mov_b32_e32 v19, s43
	v_add_co_u32_e32 v20, vcc, s42, v6
	v_addc_co_u32_e32 v21, vcc, v7, v19, vcc
	global_load_dwordx4 v[20:23], v[20:21], off
	v_add_u32_e32 v18, 0x3180, v18
	s_waitcnt vmcnt(0)
	ds_write2_b64 v18, v[20:21], v[22:23] offset1:1
.LBB123_57:
	s_or_b64 exec, exec, s[36:37]
	v_add_co_u32_e32 v6, vcc, v6, v13
	v_addc_co_u32_e32 v7, vcc, 0, v7, vcc
	v_mov_b32_e32 v18, s35
	v_subrev_co_u32_e32 v6, vcc, s34, v6
	v_subb_co_u32_e32 v7, vcc, v7, v18, vcc
	v_add_co_u32_e32 v6, vcc, 0x210, v6
	v_addc_co_u32_e32 v7, vcc, 0, v7, vcc
	v_cndmask_b32_e64 v7, v7, v9, s[12:13]
	v_cndmask_b32_e64 v6, v6, v8, s[12:13]
	s_branch .LBB123_60
.LBB123_58:
                                        ; implicit-def: $vgpr6_vgpr7
	s_cbranch_execz .LBB123_60
; %bb.59:
	s_lshl_b32 s12, s22, 3
	s_ashr_i32 s13, s12, 31
	s_lshl_b64 s[12:13], s[12:13], 4
	v_mov_b32_e32 v7, s13
	v_add_co_u32_e32 v6, vcc, s12, v16
	s_ashr_i32 s23, s22, 31
	v_addc_co_u32_e32 v7, vcc, v17, v7, vcc
	s_lshl_b64 s[12:13], s[22:23], 7
	global_load_dwordx4 v[16:19], v[8:9], off
	global_load_dwordx4 v[20:23], v[6:7], off offset:512
	v_mov_b32_e32 v26, s13
	v_add_co_u32_e32 v6, vcc, s12, v6
	v_addc_co_u32_e32 v7, vcc, v7, v26, vcc
	v_add_co_u32_e32 v34, vcc, s12, v6
	v_addc_co_u32_e32 v35, vcc, v7, v26, vcc
	global_load_dwordx4 v[26:29], v[6:7], off offset:512
	global_load_dwordx4 v[30:33], v[34:35], off offset:512
	v_add_lshl_u32 v6, v12, v4, 4
	v_add_u32_e32 v7, 0x1080, v6
	v_add_u32_e32 v34, 0x2100, v6
	;; [unrolled: 1-line block ×3, first 2 shown]
	s_waitcnt vmcnt(3)
	ds_write2_b64 v6, v[16:17], v[18:19] offset1:1
	s_waitcnt vmcnt(2)
	ds_write2_b64 v7, v[20:21], v[22:23] offset1:1
	;; [unrolled: 2-line block ×4, first 2 shown]
	v_pk_mov_b32 v[6:7], v[8:9], v[8:9] op_sel:[0,1]
.LBB123_60:
	s_waitcnt lgkmcnt(0)
	s_barrier
	s_and_saveexec_b64 s[12:13], s[4:5]
	s_cbranch_execnz .LBB123_85
; %bb.61:
	s_or_b64 exec, exec, s[12:13]
	s_and_saveexec_b64 s[4:5], s[14:15]
	s_cbranch_execnz .LBB123_86
.LBB123_62:
	s_or_b64 exec, exec, s[4:5]
	s_and_saveexec_b64 s[4:5], s[8:9]
	s_cbranch_execnz .LBB123_87
.LBB123_63:
	s_or_b64 exec, exec, s[4:5]
	v_add_u32_e32 v26, 0x4700, v11
	s_and_saveexec_b64 s[4:5], s[10:11]
	s_cbranch_execz .LBB123_65
.LBB123_64:
	ds_read_b128 v[16:19], v15
	s_waitcnt lgkmcnt(0)
	ds_write_b128 v10, v[16:19] offset:48
.LBB123_65:
	s_or_b64 exec, exec, s[4:5]
	s_waitcnt lgkmcnt(0)
	s_barrier
	ds_read_b128 v[8:11], v26 offset:512
	ds_read_b128 v[16:19], v24
	ds_read_b128 v[20:23], v26 offset:528
	ds_read_b128 v[28:31], v26 offset:544
	v_cmp_eq_u32_e64 s[4:5], 1, v5
	s_waitcnt lgkmcnt(2)
	v_mul_f64 v[32:33], v[10:11], v[18:19]
	v_fma_f64 v[40:41], v[8:9], v[16:17], -v[32:33]
	ds_read_b128 v[32:35], v26 offset:560
	ds_read_b128 v[46:49], v25
	v_mul_f64 v[8:9], v[8:9], v[18:19]
	v_fmac_f64_e32 v[8:9], v[10:11], v[16:17]
	v_add_f64 v[18:19], v[8:9], 0
	v_add_f64 v[16:17], v[40:41], 0
	s_waitcnt lgkmcnt(0)
	v_mul_f64 v[8:9], v[22:23], v[48:49]
	v_fma_f64 v[40:41], v[20:21], v[46:47], -v[8:9]
	v_mul_f64 v[20:21], v[20:21], v[48:49]
	ds_read_b128 v[8:11], v25 offset:528
	v_fmac_f64_e32 v[20:21], v[22:23], v[46:47]
	v_add_f64 v[22:23], v[16:17], v[40:41]
	v_add_f64 v[20:21], v[18:19], v[20:21]
	ds_read_b128 v[16:19], v15
	s_waitcnt lgkmcnt(1)
	v_mul_f64 v[40:41], v[30:31], v[10:11]
	v_mul_f64 v[10:11], v[28:29], v[10:11]
	v_fmac_f64_e32 v[10:11], v[30:31], v[8:9]
	v_fma_f64 v[40:41], v[28:29], v[8:9], -v[40:41]
	v_add_f64 v[10:11], v[20:21], v[10:11]
	s_waitcnt lgkmcnt(0)
	v_mul_f64 v[20:21], v[34:35], v[18:19]
	v_mul_f64 v[18:19], v[32:33], v[18:19]
	v_add_f64 v[8:9], v[22:23], v[40:41]
	v_fma_f64 v[20:21], v[32:33], v[16:17], -v[20:21]
	v_fmac_f64_e32 v[18:19], v[34:35], v[16:17]
	v_add_f64 v[8:9], v[8:9], v[20:21]
	v_add_f64 v[10:11], v[10:11], v[18:19]
	s_barrier
	ds_write_b128 v44, v[8:11]
	s_waitcnt lgkmcnt(0)
	s_barrier
	s_and_saveexec_b64 s[8:9], s[4:5]
	s_cbranch_execz .LBB123_67
; %bb.66:
	ds_read_b128 v[0:3], v43
	ds_read_b128 v[8:11], v43 offset:16
	ds_read_b128 v[16:19], v43 offset:32
	;; [unrolled: 1-line block ×3, first 2 shown]
	s_waitcnt lgkmcnt(2)
	v_add_f64 v[0:1], v[8:9], v[0:1]
	v_add_f64 v[8:9], v[10:11], v[2:3]
	s_waitcnt lgkmcnt(1)
	v_add_f64 v[10:11], v[0:1], v[16:17]
	ds_read_b128 v[0:3], v43 offset:64
	v_add_f64 v[8:9], v[8:9], v[18:19]
	s_waitcnt lgkmcnt(1)
	v_add_f64 v[16:17], v[10:11], v[20:21]
	v_add_f64 v[20:21], v[8:9], v[22:23]
	ds_read_b128 v[8:11], v43 offset:80
	s_waitcnt lgkmcnt(1)
	v_add_f64 v[22:23], v[16:17], v[0:1]
	ds_read_b128 v[16:19], v43 offset:96
	v_add_f64 v[20:21], v[20:21], v[2:3]
	ds_read_b128 v[0:3], v43 offset:112
	s_waitcnt lgkmcnt(2)
	v_add_f64 v[8:9], v[22:23], v[8:9]
	v_add_f64 v[10:11], v[20:21], v[10:11]
	s_waitcnt lgkmcnt(1)
	v_add_f64 v[8:9], v[8:9], v[16:17]
	v_add_f64 v[10:11], v[10:11], v[18:19]
	;; [unrolled: 3-line block ×3, first 2 shown]
.LBB123_67:
	s_or_b64 exec, exec, s[8:9]
	v_add_co_u32_e32 v8, vcc, 0xfffffe00, v6
	v_addc_co_u32_e32 v9, vcc, -1, v7, vcc
	s_and_b64 vcc, exec, s[30:31]
	s_barrier
	s_cbranch_vccz .LBB123_88
; %bb.68:
	v_sub_co_u32_e32 v10, vcc, v6, v13
	s_ashr_i32 s17, s16, 31
	v_subbrev_co_u32_e32 v11, vcc, 0, v7, vcc
	s_lshl_b64 s[10:11], s[16:17], 4
	v_mov_b32_e32 v16, s11
	v_add_co_u32_e32 v10, vcc, s10, v10
	v_addc_co_u32_e32 v11, vcc, v11, v16, vcc
	v_add_co_u32_e32 v10, vcc, 0xfffffdf0, v10
	v_addc_co_u32_e32 v11, vcc, -1, v11, vcc
	v_cmp_gt_i32_e32 vcc, s16, v4
	s_sub_i32 s14, s16, 32
	v_cndmask_b32_e32 v11, v11, v9, vcc
	v_cndmask_b32_e32 v10, v10, v8, vcc
	v_cmp_le_i32_e64 s[8:9], s14, v5
	v_add_lshl_u32 v19, v12, v4, 4
	s_and_saveexec_b64 s[12:13], s[8:9]
	s_xor_b64 s[8:9], exec, s[12:13]
	s_cbranch_execz .LBB123_70
; %bb.69:
	v_mov_b32_e32 v20, 0
	v_mov_b32_e32 v21, v20
	;; [unrolled: 1-line block ×4, first 2 shown]
	ds_write_b128 v19, v[20:23]
.LBB123_70:
	s_andn2_saveexec_b64 s[8:9], s[8:9]
	s_cbranch_execz .LBB123_72
; %bb.71:
	global_load_dwordx4 v[20:23], v[10:11], off
	s_waitcnt vmcnt(0)
	ds_write2_b64 v19, v[20:21], v[22:23] offset1:1
.LBB123_72:
	s_or_b64 exec, exec, s[8:9]
	v_add_u32_e32 v16, 8, v5
	v_cmp_le_i32_e64 s[8:9], s14, v16
	s_and_saveexec_b64 s[12:13], s[8:9]
	s_xor_b64 s[8:9], exec, s[12:13]
	s_cbranch_execz .LBB123_74
; %bb.73:
	v_mul_u32_u24_e32 v17, 33, v16
	v_mov_b32_e32 v20, 0
	v_add_lshl_u32 v17, v17, v4, 4
	v_mov_b32_e32 v21, v20
	v_mov_b32_e32 v22, v20
	;; [unrolled: 1-line block ×3, first 2 shown]
	ds_write_b128 v17, v[20:23]
.LBB123_74:
	s_andn2_saveexec_b64 s[12:13], s[8:9]
	s_cbranch_execz .LBB123_76
; %bb.75:
	s_lshl_b32 s8, s22, 3
	s_ashr_i32 s9, s8, 31
	s_lshl_b64 s[8:9], s[8:9], 4
	v_mov_b32_e32 v17, s9
	v_add_co_u32_e64 v20, s[8:9], s8, v10
	v_addc_co_u32_e64 v21, s[8:9], v11, v17, s[8:9]
	global_load_dwordx4 v[20:23], v[20:21], off
	v_add_u32_e32 v17, 0x1080, v19
	s_waitcnt vmcnt(0)
	ds_write2_b64 v17, v[20:21], v[22:23] offset1:1
.LBB123_76:
	s_or_b64 exec, exec, s[12:13]
	v_add_u32_e32 v17, 16, v5
	v_cmp_le_i32_e64 s[8:9], s14, v17
	s_and_saveexec_b64 s[12:13], s[8:9]
	s_xor_b64 s[8:9], exec, s[12:13]
	s_cbranch_execz .LBB123_78
; %bb.77:
	v_mul_u32_u24_e32 v18, 33, v17
	v_mov_b32_e32 v20, 0
	v_add_lshl_u32 v18, v18, v4, 4
	v_mov_b32_e32 v21, v20
	v_mov_b32_e32 v22, v20
	;; [unrolled: 1-line block ×3, first 2 shown]
	ds_write_b128 v18, v[20:23]
.LBB123_78:
	s_andn2_saveexec_b64 s[12:13], s[8:9]
	s_cbranch_execz .LBB123_80
; %bb.79:
	s_lshl_b32 s8, s22, 4
	s_ashr_i32 s9, s8, 31
	s_lshl_b64 s[8:9], s[8:9], 4
	v_mov_b32_e32 v18, s9
	v_add_co_u32_e64 v20, s[8:9], s8, v10
	v_addc_co_u32_e64 v21, s[8:9], v11, v18, s[8:9]
	global_load_dwordx4 v[20:23], v[20:21], off
	v_add_u32_e32 v18, 0x2100, v19
	s_waitcnt vmcnt(0)
	ds_write2_b64 v18, v[20:21], v[22:23] offset1:1
.LBB123_80:
	s_or_b64 exec, exec, s[12:13]
	v_add_u32_e32 v18, 24, v5
	v_cmp_le_i32_e64 s[8:9], s14, v18
	s_and_saveexec_b64 s[12:13], s[8:9]
	s_xor_b64 s[8:9], exec, s[12:13]
	s_cbranch_execz .LBB123_82
; %bb.81:
	v_mov_b32_e32 v20, 0
	v_mov_b32_e32 v21, v20
	;; [unrolled: 1-line block ×4, first 2 shown]
	ds_write_b128 v19, v[20:23] offset:12672
                                        ; implicit-def: $vgpr19
.LBB123_82:
	s_andn2_saveexec_b64 s[12:13], s[8:9]
	s_cbranch_execz .LBB123_84
; %bb.83:
	s_mul_i32 s8, s22, 24
	s_ashr_i32 s9, s8, 31
	s_lshl_b64 s[8:9], s[8:9], 4
	v_mov_b32_e32 v21, s9
	v_add_co_u32_e64 v20, s[8:9], s8, v10
	v_addc_co_u32_e64 v21, s[8:9], v11, v21, s[8:9]
	global_load_dwordx4 v[20:23], v[20:21], off
	v_add_u32_e32 v19, 0x3180, v19
	s_waitcnt vmcnt(0)
	ds_write2_b64 v19, v[20:21], v[22:23] offset1:1
.LBB123_84:
	s_or_b64 exec, exec, s[12:13]
	v_add_co_u32_e64 v10, s[8:9], v10, v13
	v_addc_co_u32_e64 v11, s[8:9], 0, v11, s[8:9]
	v_mov_b32_e32 v13, s11
	v_subrev_co_u32_e64 v10, s[8:9], s10, v10
	v_subb_co_u32_e64 v11, s[8:9], v11, v13, s[8:9]
	v_add_co_u32_e64 v10, s[8:9], 16, v10
	v_addc_co_u32_e64 v11, s[8:9], 0, v11, s[8:9]
	v_cndmask_b32_e32 v41, v11, v9, vcc
	v_cndmask_b32_e32 v40, v10, v8, vcc
	s_branch .LBB123_90
.LBB123_85:
	ds_read_b128 v[16:19], v24
	s_waitcnt lgkmcnt(0)
	ds_write_b128 v10, v[16:19]
	s_or_b64 exec, exec, s[12:13]
	s_and_saveexec_b64 s[4:5], s[14:15]
	s_cbranch_execz .LBB123_62
.LBB123_86:
	ds_read_b128 v[16:19], v25
	s_waitcnt lgkmcnt(0)
	ds_write_b128 v10, v[16:19] offset:16
	s_or_b64 exec, exec, s[4:5]
	s_and_saveexec_b64 s[4:5], s[8:9]
	s_cbranch_execz .LBB123_63
.LBB123_87:
	v_add_u32_e32 v8, 0x210, v25
	ds_read_b128 v[16:19], v8
	s_waitcnt lgkmcnt(0)
	ds_write_b128 v10, v[16:19] offset:32
	s_or_b64 exec, exec, s[4:5]
	v_add_u32_e32 v26, 0x4700, v11
	s_and_saveexec_b64 s[4:5], s[10:11]
	s_cbranch_execnz .LBB123_64
	s_branch .LBB123_65
.LBB123_88:
                                        ; implicit-def: $vgpr40_vgpr41
                                        ; implicit-def: $vgpr16
                                        ; implicit-def: $vgpr17
                                        ; implicit-def: $vgpr18
	s_cbranch_execz .LBB123_90
; %bb.89:
	s_lshl_b32 s8, s22, 3
	s_ashr_i32 s9, s8, 31
	s_lshl_b64 s[8:9], s[8:9], 4
	v_mov_b32_e32 v10, s9
	v_add_co_u32_e32 v6, vcc, s8, v6
	s_ashr_i32 s23, s22, 31
	v_addc_co_u32_e32 v7, vcc, v7, v10, vcc
	s_lshl_b64 s[8:9], s[22:23], 7
	global_load_dwordx4 v[20:23], v[8:9], off
	global_load_dwordx4 v[28:31], v[6:7], off offset:-512
	v_mov_b32_e32 v11, s9
	v_add_co_u32_e32 v6, vcc, s8, v6
	v_addc_co_u32_e32 v7, vcc, v7, v11, vcc
	v_add_co_u32_e32 v10, vcc, s8, v6
	v_addc_co_u32_e32 v11, vcc, v7, v11, vcc
	global_load_dwordx4 v[32:35], v[6:7], off offset:-512
	global_load_dwordx4 v[46:49], v[10:11], off offset:-512
	v_add_lshl_u32 v4, v12, v4, 4
	v_add_u32_e32 v16, 8, v5
	v_add_u32_e32 v17, 16, v5
	;; [unrolled: 1-line block ×3, first 2 shown]
	v_pk_mov_b32 v[40:41], v[8:9], v[8:9] op_sel:[0,1]
	v_add_u32_e32 v6, 0x1080, v4
	v_add_u32_e32 v7, 0x2100, v4
	;; [unrolled: 1-line block ×3, first 2 shown]
	s_waitcnt vmcnt(3)
	ds_write2_b64 v4, v[20:21], v[22:23] offset1:1
	s_waitcnt vmcnt(2)
	ds_write2_b64 v6, v[28:29], v[30:31] offset1:1
	;; [unrolled: 2-line block ×4, first 2 shown]
.LBB123_90:
	v_lshlrev_b32_e32 v4, 4, v5
	s_waitcnt lgkmcnt(0)
	s_barrier
	ds_read_b128 v[46:49], v44
	ds_read_b128 v[50:53], v4 offset:18176
	v_add_lshl_u32 v4, v16, v14, 4
	v_lshlrev_b32_e32 v10, 4, v16
	ds_read_b128 v[54:57], v4
	ds_read_b128 v[4:7], v25 offset:528
	ds_read_b128 v[58:61], v10 offset:18176
	s_waitcnt lgkmcnt(3)
	v_mul_f64 v[8:9], v[48:49], v[52:53]
	v_add_lshl_u32 v10, v17, v14, 4
	v_lshlrev_b32_e32 v12, 4, v17
	v_fma_f64 v[8:9], v[46:47], v[50:51], -v[8:9]
	ds_read_b128 v[62:65], v10
	ds_read_b128 v[66:69], v12 offset:18176
	s_waitcnt lgkmcnt(2)
	v_mul_f64 v[10:11], v[56:57], v[60:61]
	v_add_f64 v[8:9], v[8:9], 0
	v_fma_f64 v[10:11], v[54:55], v[58:59], -v[10:11]
	v_add_f64 v[8:9], v[8:9], v[10:11]
	v_add_lshl_u32 v10, v18, v14, 4
	v_lshlrev_b32_e32 v12, 4, v18
	v_mul_f64 v[74:75], v[46:47], v[52:53]
	v_mul_f64 v[60:61], v[54:55], v[60:61]
	ds_read_b128 v[52:55], v10
	ds_read_b128 v[70:73], v12 offset:18176
	s_waitcnt lgkmcnt(2)
	v_mul_f64 v[10:11], v[64:65], v[68:69]
	v_fma_f64 v[10:11], v[62:63], v[66:67], -v[10:11]
	v_add_f64 v[12:13], v[8:9], v[10:11]
	ds_read_b128 v[8:11], v15
	s_waitcnt lgkmcnt(1)
	v_mul_f64 v[14:15], v[54:55], v[72:73]
	v_fma_f64 v[14:15], v[52:53], v[70:71], -v[14:15]
	v_add_f64 v[46:47], v[12:13], v[14:15]
	ds_read_b128 v[20:23], v26 offset:528
	ds_read_b128 v[16:19], v26 offset:544
	;; [unrolled: 1-line block ×3, first 2 shown]
	ds_read_b128 v[32:35], v24
	ds_read_b128 v[12:15], v26 offset:560
	ds_read_b128 v[24:27], v25
	v_fmac_f64_e32 v[74:75], v[48:49], v[50:51]
	v_mul_f64 v[62:63], v[62:63], v[68:69]
	v_add_f64 v[48:49], v[74:75], 0
	v_fmac_f64_e32 v[60:61], v[56:57], v[58:59]
	v_mul_f64 v[52:53], v[52:53], v[72:73]
	v_add_f64 v[48:49], v[48:49], v[60:61]
	v_fmac_f64_e32 v[62:63], v[64:65], v[66:67]
	v_add_f64 v[48:49], v[48:49], v[62:63]
	v_fmac_f64_e32 v[52:53], v[54:55], v[70:71]
	v_add_f64 v[48:49], v[48:49], v[52:53]
	s_waitcnt lgkmcnt(0)
	s_barrier
	ds_write_b128 v44, v[46:49]
	s_waitcnt lgkmcnt(0)
	s_barrier
	s_and_saveexec_b64 s[8:9], s[4:5]
	s_cbranch_execz .LBB123_92
; %bb.91:
	ds_read_b128 v[46:49], v43
	ds_read_b128 v[50:53], v43 offset:16
	ds_read_b128 v[54:57], v43 offset:32
	;; [unrolled: 1-line block ×3, first 2 shown]
	s_waitcnt lgkmcnt(3)
	v_add_f64 v[0:1], v[0:1], v[46:47]
	v_add_f64 v[2:3], v[2:3], v[48:49]
	s_waitcnt lgkmcnt(2)
	v_add_f64 v[0:1], v[0:1], v[50:51]
	v_add_f64 v[46:47], v[2:3], v[52:53]
	s_waitcnt lgkmcnt(1)
	v_add_f64 v[48:49], v[0:1], v[54:55]
	ds_read_b128 v[0:3], v43 offset:64
	v_add_f64 v[46:47], v[46:47], v[56:57]
	s_waitcnt lgkmcnt(1)
	v_add_f64 v[50:51], v[48:49], v[58:59]
	v_add_f64 v[54:55], v[46:47], v[60:61]
	ds_read_b128 v[46:49], v43 offset:80
	s_waitcnt lgkmcnt(1)
	v_add_f64 v[56:57], v[50:51], v[0:1]
	ds_read_b128 v[50:53], v43 offset:96
	v_add_f64 v[54:55], v[54:55], v[2:3]
	ds_read_b128 v[0:3], v43 offset:112
	s_waitcnt lgkmcnt(2)
	v_add_f64 v[46:47], v[56:57], v[46:47]
	v_add_f64 v[48:49], v[54:55], v[48:49]
	s_waitcnt lgkmcnt(1)
	v_add_f64 v[46:47], v[46:47], v[50:51]
	v_add_f64 v[48:49], v[48:49], v[52:53]
	;; [unrolled: 3-line block ×3, first 2 shown]
.LBB123_92:
	s_or_b64 exec, exec, s[8:9]
	v_mul_f64 v[46:47], v[30:31], v[34:35]
	v_fma_f64 v[46:47], v[28:29], v[32:33], -v[46:47]
	v_mul_f64 v[28:29], v[28:29], v[34:35]
	v_fmac_f64_e32 v[28:29], v[30:31], v[32:33]
	v_mul_f64 v[32:33], v[22:23], v[26:27]
	v_fma_f64 v[32:33], v[20:21], v[24:25], -v[32:33]
	v_mul_f64 v[20:21], v[20:21], v[26:27]
	v_add_f64 v[30:31], v[46:47], 0
	v_add_f64 v[28:29], v[28:29], 0
	v_fmac_f64_e32 v[20:21], v[22:23], v[24:25]
	v_mul_f64 v[24:25], v[18:19], v[6:7]
	v_mul_f64 v[6:7], v[16:17], v[6:7]
	v_add_f64 v[22:23], v[30:31], v[32:33]
	v_add_f64 v[20:21], v[28:29], v[20:21]
	v_fma_f64 v[24:25], v[16:17], v[4:5], -v[24:25]
	v_fmac_f64_e32 v[6:7], v[18:19], v[4:5]
	v_mul_f64 v[16:17], v[14:15], v[10:11]
	v_mul_f64 v[10:11], v[12:13], v[10:11]
	v_add_f64 v[4:5], v[22:23], v[24:25]
	v_add_f64 v[6:7], v[20:21], v[6:7]
	v_fma_f64 v[16:17], v[12:13], v[8:9], -v[16:17]
	v_fmac_f64_e32 v[10:11], v[14:15], v[8:9]
	v_add_f64 v[4:5], v[4:5], v[16:17]
	v_add_f64 v[6:7], v[6:7], v[10:11]
	s_barrier
	ds_write_b128 v44, v[4:7]
	s_waitcnt lgkmcnt(0)
	s_barrier
	s_and_saveexec_b64 s[4:5], s[2:3]
	s_cbranch_execz .LBB123_94
; %bb.93:
	ds_read_b128 v[4:7], v43
	ds_read_b128 v[8:11], v43 offset:16
	ds_read_b128 v[12:15], v43 offset:32
	;; [unrolled: 1-line block ×3, first 2 shown]
	s_waitcnt lgkmcnt(3)
	v_add_f64 v[0:1], v[0:1], v[4:5]
	v_add_f64 v[2:3], v[2:3], v[6:7]
	s_waitcnt lgkmcnt(2)
	v_add_f64 v[0:1], v[0:1], v[8:9]
	v_add_f64 v[4:5], v[2:3], v[10:11]
	s_waitcnt lgkmcnt(1)
	v_add_f64 v[6:7], v[0:1], v[12:13]
	ds_read_b128 v[0:3], v43 offset:64
	v_add_f64 v[4:5], v[4:5], v[14:15]
	s_waitcnt lgkmcnt(1)
	v_add_f64 v[8:9], v[6:7], v[16:17]
	v_add_f64 v[12:13], v[4:5], v[18:19]
	ds_read_b128 v[4:7], v43 offset:80
	s_waitcnt lgkmcnt(1)
	v_add_f64 v[14:15], v[8:9], v[0:1]
	ds_read_b128 v[8:11], v43 offset:96
	v_add_f64 v[12:13], v[12:13], v[2:3]
	ds_read_b128 v[0:3], v43 offset:112
	s_waitcnt lgkmcnt(2)
	v_add_f64 v[4:5], v[14:15], v[4:5]
	v_add_f64 v[6:7], v[12:13], v[6:7]
	s_waitcnt lgkmcnt(1)
	v_add_f64 v[4:5], v[4:5], v[8:9]
	v_add_f64 v[6:7], v[6:7], v[10:11]
	;; [unrolled: 3-line block ×3, first 2 shown]
.LBB123_94:
	s_or_b64 exec, exec, s[4:5]
	s_mul_hi_u32 s2, s40, s7
	s_mul_i32 s41, s41, s7
	s_add_i32 s2, s2, s41
	s_mul_i32 s4, s40, s7
	s_mul_i32 s2, s2, s33
	s_mul_hi_u32 s3, s4, s33
	s_add_i32 s3, s3, s2
	s_mul_i32 s2, s4, s33
	s_lshl_b64 s[2:3], s[2:3], 4
	s_add_u32 s4, s18, s2
	s_addc_u32 s5, s19, s3
	s_mul_hi_i32 s3, s40, s6
	s_mul_i32 s2, s40, s6
	s_lshl_b64 s[2:3], s[2:3], 4
	s_add_u32 s7, s4, s2
	s_addc_u32 s17, s5, s3
	s_add_i32 s8, s6, 1
	s_cmp_ge_u32 s8, s33
	v_lshlrev_b32_e32 v211, 4, v168
	s_barrier
	s_cbranch_scc1 .LBB123_152
; %bb.95:
	s_mul_i32 s2, s24, s39
	s_ashr_i32 s3, s2, 31
	s_lshl_b64 s[2:3], s[2:3], 4
	v_and_b32_e32 v8, 48, v168
	v_lshlrev_b32_e32 v212, 2, v209
	v_mov_b32_e32 v4, s3
	v_subrev_co_u32_e32 v213, vcc, s2, v36
	v_and_b32_e32 v6, 15, v168
	v_lshlrev_b32_e32 v9, 4, v8
	s_movk_i32 s4, 0x430
	v_subb_co_u32_e32 v214, vcc, v37, v4, vcc
	v_lshrrev_b32_e32 v7, 4, v42
	v_mad_u64_u32 v[4:5], s[2:3], v212, s22, v[168:169]
	v_mad_u32_u24 v217, v6, s4, v9
	v_or_b32_e32 v9, 0xf0, v211
	v_ashrrev_i32_e32 v5, 31, v4
	v_mad_u32_u24 v218, v6, s4, v9
	v_lshlrev_b32_e32 v9, 6, v7
	v_mul_i32_i24_e32 v10, 0xffffffd0, v7
	v_add_u32_e32 v7, s24, v8
	v_sub_co_u32_e32 v237, vcc, 0, v38
	v_mad_u32_u24 v219, v6, s4, v9
	v_mov_b32_e32 v9, 0x4300
	v_add3_u32 v170, v7, v6, 64
	v_subb_co_u32_e32 v238, vcc, 0, v39, vcc
	v_lshlrev_b64 v[6:7], 4, v[4:5]
	v_lshl_add_u32 v223, v209, 6, v9
	v_mov_b32_e32 v8, s27
	v_add_co_u32_e32 v9, vcc, s26, v6
	v_addc_co_u32_e32 v8, vcc, v8, v7, vcc
	v_add_co_u32_e32 v9, vcc, v9, v40
	v_addc_co_u32_e32 v8, vcc, v8, v41, vcc
	;; [unrolled: 2-line block ×3, first 2 shown]
	v_mov_b32_e32 v8, s29
	v_add_co_u32_e32 v4, vcc, s28, v4
	v_addc_co_u32_e32 v5, vcc, v8, v5, vcc
	s_lshl_b32 s14, s22, 4
	s_mul_i32 s34, s22, 3
	v_lshlrev_b64 v[4:5], 4, v[4:5]
	s_lshl_b32 s30, s39, 6
	s_ashr_i32 s35, s34, 31
	s_mul_i32 s39, s39, s8
	v_mad_i64_i32 v[8:9], s[8:9], s14, 48, v[4:5]
	s_lshl_b64 s[8:9], s[34:35], 4
	s_ashr_i32 s15, s14, 31
	s_ashr_i32 s23, s22, 31
	s_lshl_b32 s18, s22, 1
	s_movk_i32 s4, 0x10c0
	v_mov_b32_e32 v11, s9
	v_add_co_u32_e32 v12, vcc, s8, v8
	s_add_i32 s25, s33, -2
	s_ashr_i32 s19, s18, 31
	v_mad_u32_u24 v224, v209, s4, v211
	s_lshl_b64 s[4:5], s[22:23], 4
	s_lshl_b32 s10, s39, 6
	s_lshl_b64 s[12:13], s[14:15], 6
	s_mul_i32 s11, s22, 0x300
	v_addc_co_u32_e32 v11, vcc, v9, v11, vcc
	s_lshl_b64 s[22:23], s[22:23], 5
	v_add_co_u32_e32 v174, vcc, v40, v12
	s_add_u32 s28, s22, s26
	v_addc_co_u32_e32 v169, vcc, v41, v11, vcc
	s_addc_u32 s29, s23, s27
	v_mov_b32_e32 v11, s29
	v_add_co_u32_e32 v12, vcc, s28, v6
	v_addc_co_u32_e32 v11, vcc, v11, v7, vcc
	s_mul_hi_i32 s24, s14, 48
	v_add_co_u32_e32 v176, vcc, v40, v12
	s_add_u32 s11, s11, s22
	v_addc_co_u32_e32 v173, vcc, v41, v11, vcc
	s_addc_u32 s22, s24, s23
	v_mov_b32_e32 v11, s22
	v_add_co_u32_e32 v4, vcc, s11, v4
	v_addc_co_u32_e32 v5, vcc, v11, v5, vcc
	v_add_co_u32_e32 v4, vcc, v4, v40
	v_addc_co_u32_e32 v5, vcc, v5, v41, vcc
	v_add_co_u32_e32 v178, vcc, 8, v4
	s_add_u32 s11, s4, s26
	v_addc_co_u32_e32 v175, vcc, 0, v5, vcc
	s_addc_u32 s24, s5, s27
	v_mov_b32_e32 v4, s24
	v_add_co_u32_e32 v5, vcc, s11, v6
	v_addc_co_u32_e32 v4, vcc, v4, v7, vcc
	v_add_co_u32_e32 v5, vcc, v5, v40
	v_addc_co_u32_e32 v4, vcc, v4, v41, vcc
	v_add_co_u32_e32 v180, vcc, 8, v5
	v_addc_co_u32_e32 v177, vcc, 0, v4, vcc
	s_lshl_b64 s[18:19], s[18:19], 4
	v_mov_b32_e32 v4, s19
	v_add_co_u32_e32 v5, vcc, s18, v8
	v_addc_co_u32_e32 v4, vcc, v9, v4, vcc
	v_add_co_u32_e32 v182, vcc, v40, v5
	s_add_u32 s22, s26, s18
	v_addc_co_u32_e32 v179, vcc, v41, v4, vcc
	s_addc_u32 s23, s27, s19
	v_mov_b32_e32 v4, s23
	v_add_co_u32_e32 v5, vcc, s22, v6
	v_addc_co_u32_e32 v4, vcc, v4, v7, vcc
	v_add_co_u32_e32 v5, vcc, v5, v40
	v_addc_co_u32_e32 v4, vcc, v4, v41, vcc
	;; [unrolled: 2-line block ×3, first 2 shown]
	v_mov_b32_e32 v4, s5
	v_add_co_u32_e32 v5, vcc, s4, v8
	v_addc_co_u32_e32 v4, vcc, v9, v4, vcc
	v_add_co_u32_e32 v186, vcc, v40, v5
	s_add_u32 s22, s26, s8
	v_addc_co_u32_e32 v183, vcc, v41, v4, vcc
	s_addc_u32 s23, s27, s9
	v_mov_b32_e32 v4, s23
	v_add_co_u32_e32 v5, vcc, s22, v6
	v_addc_co_u32_e32 v4, vcc, v4, v7, vcc
	v_add_co_u32_e32 v5, vcc, v5, v40
	v_addc_co_u32_e32 v4, vcc, v4, v41, vcc
	;; [unrolled: 2-line block ×3, first 2 shown]
	s_lshl_b64 s[22:23], s[14:15], 4
	v_add_co_u32_e32 v190, vcc, v40, v8
	s_add_u32 s31, s26, s22
	v_addc_co_u32_e32 v187, vcc, v41, v9, vcc
	s_addc_u32 s34, s27, s23
	v_mov_b32_e32 v4, s34
	v_add_co_u32_e32 v5, vcc, s31, v6
	v_addc_co_u32_e32 v4, vcc, v4, v7, vcc
	s_lshl_b64 s[14:15], s[14:15], 5
	v_add_co_u32_e32 v5, vcc, v5, v40
	s_add_u32 s26, s14, s26
	v_addc_co_u32_e32 v4, vcc, v4, v41, vcc
	s_addc_u32 s27, s15, s27
	v_add_co_u32_e32 v192, vcc, 8, v5
	s_add_u32 s35, s26, s8
	v_addc_co_u32_e32 v189, vcc, 0, v4, vcc
	s_addc_u32 s36, s27, s9
	v_mov_b32_e32 v4, s36
	v_add_co_u32_e32 v5, vcc, s35, v6
	v_addc_co_u32_e32 v4, vcc, v4, v7, vcc
	v_add_co_u32_e32 v194, vcc, v40, v5
	s_add_u32 s11, s11, s22
	v_addc_co_u32_e32 v191, vcc, v41, v4, vcc
	s_addc_u32 s24, s24, s23
	v_mov_b32_e32 v4, s24
	v_add_co_u32_e32 v5, vcc, s11, v6
	v_addc_co_u32_e32 v4, vcc, v4, v7, vcc
	v_add_co_u32_e32 v5, vcc, v5, v40
	v_addc_co_u32_e32 v4, vcc, v4, v41, vcc
	v_add_co_u32_e32 v196, vcc, 8, v5
	s_add_u32 s11, s28, s14
	v_addc_co_u32_e32 v193, vcc, 0, v4, vcc
	s_addc_u32 s14, s29, s15
	v_mov_b32_e32 v4, s14
	v_add_co_u32_e32 v5, vcc, s11, v6
	v_addc_co_u32_e32 v4, vcc, v4, v7, vcc
	;; [unrolled: 9-line block ×4, first 2 shown]
	v_add_co_u32_e32 v202, vcc, v40, v5
	s_add_u32 s11, s28, s22
	v_addc_co_u32_e32 v199, vcc, v41, v4, vcc
	s_addc_u32 s14, s29, s23
	v_mov_b32_e32 v4, s14
	v_add_co_u32_e32 v5, vcc, s11, v6
	v_addc_co_u32_e32 v4, vcc, v4, v7, vcc
	v_add_co_u32_e32 v204, vcc, v40, v5
	s_add_u32 s4, s26, s4
	v_addc_co_u32_e32 v201, vcc, v41, v4, vcc
	s_addc_u32 s5, s27, s5
	v_mov_b32_e32 v4, s5
	v_add_co_u32_e32 v5, vcc, s4, v6
	v_addc_co_u32_e32 v4, vcc, v4, v7, vcc
	;; [unrolled: 7-line block ×3, first 2 shown]
	v_add_co_u32_e32 v5, vcc, v5, v40
	v_addc_co_u32_e32 v4, vcc, v4, v41, vcc
	v_add_co_u32_e32 v208, vcc, 8, v5
	v_addc_co_u32_e32 v205, vcc, 0, v4, vcc
	v_mov_b32_e32 v4, s27
	v_add_co_u32_e32 v5, vcc, s26, v6
	v_addc_co_u32_e32 v4, vcc, v4, v7, vcc
	v_add_co_u32_e32 v5, vcc, v5, v40
	v_addc_co_u32_e32 v4, vcc, v4, v41, vcc
	v_add_co_u32_e32 v210, vcc, 8, v5
	v_add_u32_e32 v215, 0x4300, v211
	v_add_u32_e32 v216, 0x4700, v211
	v_cmp_gt_u32_e64 s[2:3], 64, v42
	v_or_b32_e32 v220, 1, v212
	v_or_b32_e32 v221, 2, v212
	;; [unrolled: 1-line block ×3, first 2 shown]
	v_add_u32_e32 v225, 16, v212
	v_add_u32_e32 v226, 17, v212
	;; [unrolled: 1-line block ×12, first 2 shown]
	v_addc_co_u32_e32 v207, vcc, 0, v4, vcc
	v_add_u32_e32 v239, v219, v10
	v_mov_b32_e32 v4, 0
	s_cmp_eq_u32 s25, s6
	s_cselect_b32 s24, s38, 0
	s_and_saveexec_b64 s[4:5], s[0:1]
	s_cbranch_execz .LBB123_100
.LBB123_96:
	s_cmp_lg_u32 s24, 0
	s_cselect_b64 s[8:9], -1, 0
	v_cmp_le_i32_e32 vcc, s24, v168
	s_and_b64 s[8:9], s[8:9], vcc
	s_and_saveexec_b64 s[14:15], s[8:9]
	s_xor_b64 s[8:9], exec, s[14:15]
	s_cbranch_execz .LBB123_98
; %bb.97:
	v_mov_b32_e32 v5, v4
	v_mov_b32_e32 v6, v4
	;; [unrolled: 1-line block ×3, first 2 shown]
	ds_write_b128 v215, v[4:7]
.LBB123_98:
	s_andn2_saveexec_b64 s[8:9], s[8:9]
	s_cbranch_execz .LBB123_100
; %bb.99:
	s_ashr_i32 s11, s10, 31
	s_lshl_b64 s[8:9], s[10:11], 4
	v_mov_b32_e32 v5, s9
	v_add_co_u32_e32 v6, vcc, s8, v213
	v_addc_co_u32_e32 v7, vcc, v214, v5, vcc
	global_load_dwordx4 v[6:9], v[6:7], off
	s_waitcnt vmcnt(0)
	ds_write2_b64 v215, v[6:7], v[8:9] offset1:1
.LBB123_100:                            ; =>This Inner Loop Header: Depth=1
	s_or_b64 exec, exec, s[4:5]
	s_cmp_eq_u32 s24, 0
	v_add_co_u32_e32 v18, vcc, v172, v237
	s_cselect_b64 s[14:15], -1, 0
	s_cmp_lg_u32 s24, 0
	v_addc_co_u32_e32 v19, vcc, v167, v238, vcc
	s_cselect_b64 s[8:9], -1, 0
	s_and_b64 vcc, exec, s[8:9]
	s_waitcnt lgkmcnt(0)
	s_barrier
	s_cbranch_vccz .LBB123_108
; %bb.101:                              ;   in Loop: Header=BB123_100 Depth=1
	v_pk_mov_b32 v[10:11], 0, 0
	v_cmp_gt_i32_e32 vcc, s24, v212
	v_pk_mov_b32 v[6:7], v[10:11], v[10:11] op_sel:[0,1]
	v_pk_mov_b32 v[8:9], v[10:11], v[10:11] op_sel:[0,1]
	s_and_saveexec_b64 s[4:5], vcc
	s_cbranch_execz .LBB123_103
; %bb.102:                              ;   in Loop: Header=BB123_100 Depth=1
	global_load_dwordx4 v[6:9], v[18:19], off offset:-8
.LBB123_103:                            ;   in Loop: Header=BB123_100 Depth=1
	s_or_b64 exec, exec, s[4:5]
	v_cmp_gt_i32_e32 vcc, s24, v220
	v_pk_mov_b32 v[12:13], v[10:11], v[10:11] op_sel:[0,1]
	s_and_saveexec_b64 s[4:5], vcc
	s_cbranch_execz .LBB123_105
; %bb.104:                              ;   in Loop: Header=BB123_100 Depth=1
	v_add_co_u32_e32 v10, vcc, v180, v237
	v_addc_co_u32_e32 v11, vcc, v177, v238, vcc
	global_load_dwordx4 v[10:13], v[10:11], off offset:-8
.LBB123_105:                            ;   in Loop: Header=BB123_100 Depth=1
	s_or_b64 exec, exec, s[4:5]
	v_pk_mov_b32 v[14:15], 0, 0
	v_cmp_gt_i32_e32 vcc, s24, v221
	s_mov_b64 s[22:23], 0
	v_pk_mov_b32 v[16:17], v[14:15], v[14:15] op_sel:[0,1]
	s_and_saveexec_b64 s[4:5], vcc
	s_cbranch_execz .LBB123_107
; %bb.106:                              ;   in Loop: Header=BB123_100 Depth=1
	v_add_co_u32_e32 v14, vcc, v184, v237
	v_addc_co_u32_e32 v15, vcc, v181, v238, vcc
	global_load_dwordx4 v[14:17], v[14:15], off offset:-8
.LBB123_107:                            ;   in Loop: Header=BB123_100 Depth=1
	s_or_b64 exec, exec, s[4:5]
	v_cmp_gt_i32_e64 s[4:5], s24, v222
	s_mov_b64 s[18:19], 0
	s_and_b64 vcc, exec, s[22:23]
	s_cbranch_vccnz .LBB123_109
	s_branch .LBB123_110
.LBB123_108:                            ;   in Loop: Header=BB123_100 Depth=1
	s_mov_b64 s[4:5], 0
                                        ; implicit-def: $sgpr18_sgpr19
                                        ; implicit-def: $vgpr16_vgpr17
                                        ; implicit-def: $vgpr12_vgpr13
                                        ; implicit-def: $vgpr8_vgpr9
	s_cbranch_execz .LBB123_110
.LBB123_109:                            ;   in Loop: Header=BB123_100 Depth=1
	s_waitcnt vmcnt(0)
	v_add_co_u32_e32 v10, vcc, v180, v237
	v_addc_co_u32_e32 v11, vcc, v177, v238, vcc
	v_add_co_u32_e32 v14, vcc, v176, v237
	v_addc_co_u32_e32 v15, vcc, v173, v238, vcc
	global_load_dwordx4 v[6:9], v[18:19], off offset:-8
	s_or_b64 s[4:5], s[4:5], exec
	global_load_dwordx4 v[10:13], v[10:11], off offset:-8
                                        ; implicit-def: $sgpr18_sgpr19
	s_nop 0
	global_load_dwordx4 v[14:17], v[14:15], off
.LBB123_110:                            ;   in Loop: Header=BB123_100 Depth=1
	v_pk_mov_b32 v[18:19], s[18:19], s[18:19] op_sel:[0,1]
	v_pk_mov_b32 v[20:21], s[18:19], s[18:19] op_sel:[0,1]
	s_and_saveexec_b64 s[18:19], s[4:5]
	s_cbranch_execz .LBB123_112
; %bb.111:                              ;   in Loop: Header=BB123_100 Depth=1
	v_add_co_u32_e32 v18, vcc, v188, v237
	v_addc_co_u32_e32 v19, vcc, v185, v238, vcc
	global_load_dwordx4 v[18:21], v[18:19], off offset:-8
.LBB123_112:                            ;   in Loop: Header=BB123_100 Depth=1
	s_or_b64 exec, exec, s[18:19]
	ds_read_b128 v[34:37], v216
	ds_read_b128 v[22:25], v223
	v_cndmask_b32_e64 v5, 0, 1, s[8:9]
	s_andn2_b64 vcc, exec, s[8:9]
	v_add_co_u32_e64 v50, s[8:9], v192, v237
	s_waitcnt vmcnt(0) lgkmcnt(1)
	v_mul_f64 v[26:27], v[8:9], v[36:37]
	v_mul_f64 v[28:29], v[6:7], v[36:37]
	;; [unrolled: 1-line block ×3, first 2 shown]
	v_fma_f64 v[26:27], v[6:7], v[34:35], -v[26:27]
	v_fmac_f64_e32 v[28:29], v[8:9], v[34:35]
	v_mul_f64 v[32:33], v[10:11], v[36:37]
	ds_write_b128 v224, v[26:29]
	v_fma_f64 v[30:31], v[10:11], v[34:35], -v[30:31]
	v_fmac_f64_e32 v[32:33], v[12:13], v[34:35]
	v_mul_f64 v[38:39], v[16:17], v[36:37]
	v_mul_f64 v[40:41], v[14:15], v[36:37]
	ds_read_b128 v[26:29], v223 offset:16
	ds_write_b128 v224, v[30:33] offset:1072
	v_fma_f64 v[38:39], v[14:15], v[34:35], -v[38:39]
	v_fmac_f64_e32 v[40:41], v[16:17], v[34:35]
	v_mul_f64 v[42:43], v[20:21], v[36:37]
	v_mul_f64 v[44:45], v[18:19], v[36:37]
	ds_read_b128 v[30:33], v223 offset:32
	ds_write_b128 v224, v[38:41] offset:2144
	v_fma_f64 v[42:43], v[18:19], v[34:35], -v[42:43]
	v_fmac_f64_e32 v[44:45], v[20:21], v[34:35]
	ds_read_b128 v[38:41], v223 offset:48
	ds_write_b128 v224, v[42:45] offset:3216
	s_waitcnt lgkmcnt(0)
	s_barrier
	ds_read_b128 v[94:97], v219
	ds_read_b128 v[90:93], v219 offset:16
	ds_read_b128 v[86:89], v219 offset:32
	;; [unrolled: 1-line block ×3, first 2 shown]
	v_cmp_ne_u32_e64 s[4:5], 1, v5
	v_addc_co_u32_e64 v51, s[8:9], v189, v238, s[8:9]
	s_waitcnt lgkmcnt(0)
	s_barrier
	s_cbranch_vccnz .LBB123_120
; %bb.113:                              ;   in Loop: Header=BB123_100 Depth=1
	v_pk_mov_b32 v[42:43], 0, 0
	v_cmp_gt_i32_e32 vcc, s24, v225
	v_pk_mov_b32 v[34:35], v[42:43], v[42:43] op_sel:[0,1]
	v_pk_mov_b32 v[36:37], v[42:43], v[42:43] op_sel:[0,1]
	s_and_saveexec_b64 s[8:9], vcc
	s_cbranch_execz .LBB123_115
; %bb.114:                              ;   in Loop: Header=BB123_100 Depth=1
	global_load_dwordx4 v[34:37], v[50:51], off offset:-8
.LBB123_115:                            ;   in Loop: Header=BB123_100 Depth=1
	s_or_b64 exec, exec, s[8:9]
	v_cmp_gt_i32_e32 vcc, s24, v226
	v_pk_mov_b32 v[44:45], v[42:43], v[42:43] op_sel:[0,1]
	s_and_saveexec_b64 s[8:9], vcc
	s_cbranch_execz .LBB123_117
; %bb.116:                              ;   in Loop: Header=BB123_100 Depth=1
	v_add_co_u32_e32 v42, vcc, v196, v237
	v_addc_co_u32_e32 v43, vcc, v193, v238, vcc
	global_load_dwordx4 v[42:45], v[42:43], off offset:-8
.LBB123_117:                            ;   in Loop: Header=BB123_100 Depth=1
	s_or_b64 exec, exec, s[8:9]
	v_pk_mov_b32 v[46:47], 0, 0
	v_cmp_gt_i32_e32 vcc, s24, v227
	s_mov_b64 s[22:23], 0
	v_pk_mov_b32 v[48:49], v[46:47], v[46:47] op_sel:[0,1]
	s_and_saveexec_b64 s[8:9], vcc
	s_cbranch_execz .LBB123_119
; %bb.118:                              ;   in Loop: Header=BB123_100 Depth=1
	v_add_co_u32_e32 v46, vcc, v200, v237
	v_addc_co_u32_e32 v47, vcc, v197, v238, vcc
	global_load_dwordx4 v[46:49], v[46:47], off offset:-8
.LBB123_119:                            ;   in Loop: Header=BB123_100 Depth=1
	s_or_b64 exec, exec, s[8:9]
	v_cmp_gt_i32_e64 s[8:9], s24, v228
	s_mov_b64 s[18:19], 0
	s_and_b64 vcc, exec, s[22:23]
	s_cbranch_vccnz .LBB123_121
	s_branch .LBB123_122
.LBB123_120:                            ;   in Loop: Header=BB123_100 Depth=1
	s_mov_b64 s[8:9], 0
                                        ; implicit-def: $sgpr18_sgpr19
                                        ; implicit-def: $vgpr48_vgpr49
                                        ; implicit-def: $vgpr44_vgpr45
                                        ; implicit-def: $vgpr36_vgpr37
	s_cbranch_execz .LBB123_122
.LBB123_121:                            ;   in Loop: Header=BB123_100 Depth=1
	s_waitcnt vmcnt(0)
	v_add_co_u32_e32 v42, vcc, v196, v237
	v_addc_co_u32_e32 v43, vcc, v193, v238, vcc
	v_add_co_u32_e32 v46, vcc, v204, v237
	v_addc_co_u32_e32 v47, vcc, v201, v238, vcc
	global_load_dwordx4 v[34:37], v[50:51], off offset:-8
	s_or_b64 s[8:9], s[8:9], exec
	global_load_dwordx4 v[42:45], v[42:43], off offset:-8
                                        ; implicit-def: $sgpr18_sgpr19
	s_nop 0
	global_load_dwordx4 v[46:49], v[46:47], off
.LBB123_122:                            ;   in Loop: Header=BB123_100 Depth=1
	v_pk_mov_b32 v[50:51], s[18:19], s[18:19] op_sel:[0,1]
	v_pk_mov_b32 v[52:53], s[18:19], s[18:19] op_sel:[0,1]
	s_and_saveexec_b64 s[18:19], s[8:9]
	s_cbranch_execz .LBB123_124
; %bb.123:                              ;   in Loop: Header=BB123_100 Depth=1
	v_add_co_u32_e32 v50, vcc, v208, v237
	v_addc_co_u32_e32 v51, vcc, v205, v238, vcc
	global_load_dwordx4 v[50:53], v[50:51], off offset:-8
.LBB123_124:                            ;   in Loop: Header=BB123_100 Depth=1
	s_or_b64 exec, exec, s[18:19]
	ds_read_b128 v[66:69], v216
	ds_read_b128 v[54:57], v223 offset:256
	v_add_co_u32_e64 v98, s[8:9], v210, v237
	s_and_b64 vcc, exec, s[4:5]
	s_waitcnt vmcnt(0) lgkmcnt(1)
	v_mul_f64 v[58:59], v[36:37], v[68:69]
	v_mul_f64 v[60:61], v[34:35], v[68:69]
	;; [unrolled: 1-line block ×3, first 2 shown]
	v_fma_f64 v[58:59], v[34:35], v[66:67], -v[58:59]
	v_fmac_f64_e32 v[60:61], v[36:37], v[66:67]
	v_mul_f64 v[64:65], v[42:43], v[68:69]
	ds_write_b128 v224, v[58:61]
	v_fma_f64 v[62:63], v[42:43], v[66:67], -v[62:63]
	v_fmac_f64_e32 v[64:65], v[44:45], v[66:67]
	v_mul_f64 v[70:71], v[48:49], v[68:69]
	v_mul_f64 v[72:73], v[46:47], v[68:69]
	ds_read_b128 v[58:61], v223 offset:272
	ds_write_b128 v224, v[62:65] offset:1072
	v_fma_f64 v[70:71], v[46:47], v[66:67], -v[70:71]
	v_fmac_f64_e32 v[72:73], v[48:49], v[66:67]
	v_mul_f64 v[74:75], v[52:53], v[68:69]
	v_mul_f64 v[76:77], v[50:51], v[68:69]
	ds_read_b128 v[62:65], v223 offset:288
	ds_write_b128 v224, v[70:73] offset:2144
	v_fma_f64 v[74:75], v[50:51], v[66:67], -v[74:75]
	v_fmac_f64_e32 v[76:77], v[52:53], v[66:67]
	ds_read_b128 v[70:73], v223 offset:304
	ds_write_b128 v224, v[74:77] offset:3216
	s_waitcnt lgkmcnt(0)
	s_barrier
	ds_read_b128 v[146:149], v219
	ds_read_b128 v[142:145], v219 offset:16
	ds_read_b128 v[138:141], v219 offset:32
	;; [unrolled: 1-line block ×3, first 2 shown]
	v_addc_co_u32_e64 v99, s[8:9], v207, v238, s[8:9]
	s_waitcnt lgkmcnt(0)
	s_barrier
	s_cbranch_vccnz .LBB123_132
; %bb.125:                              ;   in Loop: Header=BB123_100 Depth=1
	v_pk_mov_b32 v[74:75], 0, 0
	v_cmp_gt_i32_e32 vcc, s24, v229
	v_pk_mov_b32 v[66:67], v[74:75], v[74:75] op_sel:[0,1]
	v_pk_mov_b32 v[68:69], v[74:75], v[74:75] op_sel:[0,1]
	s_and_saveexec_b64 s[8:9], vcc
	s_cbranch_execz .LBB123_127
; %bb.126:                              ;   in Loop: Header=BB123_100 Depth=1
	global_load_dwordx4 v[66:69], v[98:99], off offset:-8
.LBB123_127:                            ;   in Loop: Header=BB123_100 Depth=1
	s_or_b64 exec, exec, s[8:9]
	v_cmp_gt_i32_e32 vcc, s24, v230
	v_pk_mov_b32 v[76:77], v[74:75], v[74:75] op_sel:[0,1]
	s_and_saveexec_b64 s[8:9], vcc
	s_cbranch_execz .LBB123_129
; %bb.128:                              ;   in Loop: Header=BB123_100 Depth=1
	v_add_co_u32_e32 v74, vcc, v206, v237
	v_addc_co_u32_e32 v75, vcc, v203, v238, vcc
	global_load_dwordx4 v[74:77], v[74:75], off
.LBB123_129:                            ;   in Loop: Header=BB123_100 Depth=1
	s_or_b64 exec, exec, s[8:9]
	v_pk_mov_b32 v[78:79], 0, 0
	v_cmp_gt_i32_e32 vcc, s24, v231
	s_mov_b64 s[22:23], 0
	v_pk_mov_b32 v[80:81], v[78:79], v[78:79] op_sel:[0,1]
	s_and_saveexec_b64 s[8:9], vcc
	s_cbranch_execz .LBB123_131
; %bb.130:                              ;   in Loop: Header=BB123_100 Depth=1
	v_add_co_u32_e32 v78, vcc, v202, v237
	v_addc_co_u32_e32 v79, vcc, v199, v238, vcc
	global_load_dwordx4 v[78:81], v[78:79], off
.LBB123_131:                            ;   in Loop: Header=BB123_100 Depth=1
	s_or_b64 exec, exec, s[8:9]
	v_cmp_gt_i32_e64 s[8:9], s24, v232
	s_mov_b64 s[18:19], 0
	s_and_b64 vcc, exec, s[22:23]
	s_cbranch_vccnz .LBB123_133
	s_branch .LBB123_134
.LBB123_132:                            ;   in Loop: Header=BB123_100 Depth=1
	s_mov_b64 s[8:9], 0
                                        ; implicit-def: $sgpr18_sgpr19
                                        ; implicit-def: $vgpr80_vgpr81
                                        ; implicit-def: $vgpr76_vgpr77
                                        ; implicit-def: $vgpr68_vgpr69
	s_cbranch_execz .LBB123_134
.LBB123_133:                            ;   in Loop: Header=BB123_100 Depth=1
	s_waitcnt vmcnt(0)
	v_add_co_u32_e32 v74, vcc, v206, v237
	v_addc_co_u32_e32 v75, vcc, v203, v238, vcc
	v_add_co_u32_e32 v78, vcc, v198, v237
	v_addc_co_u32_e32 v79, vcc, v195, v238, vcc
	global_load_dwordx4 v[66:69], v[98:99], off offset:-8
	s_or_b64 s[8:9], s[8:9], exec
	global_load_dwordx4 v[74:77], v[74:75], off
                                        ; implicit-def: $sgpr18_sgpr19
	s_nop 0
	global_load_dwordx4 v[78:81], v[78:79], off offset:-8
.LBB123_134:                            ;   in Loop: Header=BB123_100 Depth=1
	v_pk_mov_b32 v[98:99], s[18:19], s[18:19] op_sel:[0,1]
	v_pk_mov_b32 v[100:101], s[18:19], s[18:19] op_sel:[0,1]
	s_and_saveexec_b64 s[18:19], s[8:9]
	s_cbranch_execz .LBB123_136
; %bb.135:                              ;   in Loop: Header=BB123_100 Depth=1
	v_add_co_u32_e32 v98, vcc, v194, v237
	v_addc_co_u32_e32 v99, vcc, v191, v238, vcc
	global_load_dwordx4 v[98:101], v[98:99], off
.LBB123_136:                            ;   in Loop: Header=BB123_100 Depth=1
	s_or_b64 exec, exec, s[18:19]
	ds_read_b128 v[114:117], v216
	ds_read_b128 v[102:105], v223 offset:512
	s_and_b64 vcc, exec, s[4:5]
	v_add_co_u32_e64 v130, s[4:5], v190, v237
	s_waitcnt vmcnt(0) lgkmcnt(1)
	v_mul_f64 v[106:107], v[68:69], v[116:117]
	v_mul_f64 v[108:109], v[66:67], v[116:117]
	;; [unrolled: 1-line block ×3, first 2 shown]
	v_fma_f64 v[106:107], v[66:67], v[114:115], -v[106:107]
	v_fmac_f64_e32 v[108:109], v[68:69], v[114:115]
	v_mul_f64 v[112:113], v[74:75], v[116:117]
	ds_write_b128 v224, v[106:109]
	v_fma_f64 v[110:111], v[74:75], v[114:115], -v[110:111]
	v_fmac_f64_e32 v[112:113], v[76:77], v[114:115]
	v_mul_f64 v[118:119], v[80:81], v[116:117]
	v_mul_f64 v[120:121], v[78:79], v[116:117]
	ds_read_b128 v[106:109], v223 offset:528
	ds_write_b128 v224, v[110:113] offset:1072
	v_fma_f64 v[118:119], v[78:79], v[114:115], -v[118:119]
	v_fmac_f64_e32 v[120:121], v[80:81], v[114:115]
	v_mul_f64 v[122:123], v[100:101], v[116:117]
	v_mul_f64 v[124:125], v[98:99], v[116:117]
	ds_read_b128 v[110:113], v223 offset:544
	ds_write_b128 v224, v[118:121] offset:2144
	v_fma_f64 v[122:123], v[98:99], v[114:115], -v[122:123]
	v_fmac_f64_e32 v[124:125], v[100:101], v[114:115]
	ds_read_b128 v[118:121], v223 offset:560
	ds_write_b128 v224, v[122:125] offset:3216
	s_waitcnt lgkmcnt(0)
	s_barrier
	ds_read_b128 v[162:165], v219
	ds_read_b128 v[158:161], v219 offset:16
	ds_read_b128 v[154:157], v219 offset:32
	;; [unrolled: 1-line block ×3, first 2 shown]
	v_addc_co_u32_e64 v131, s[4:5], v187, v238, s[4:5]
	s_waitcnt lgkmcnt(0)
	s_barrier
	s_cbranch_vccnz .LBB123_144
; %bb.137:                              ;   in Loop: Header=BB123_100 Depth=1
	v_pk_mov_b32 v[122:123], 0, 0
	v_cmp_gt_i32_e32 vcc, s24, v233
	v_pk_mov_b32 v[114:115], v[122:123], v[122:123] op_sel:[0,1]
	v_pk_mov_b32 v[116:117], v[122:123], v[122:123] op_sel:[0,1]
	s_and_saveexec_b64 s[4:5], vcc
	s_cbranch_execz .LBB123_139
; %bb.138:                              ;   in Loop: Header=BB123_100 Depth=1
	global_load_dwordx4 v[114:117], v[130:131], off
.LBB123_139:                            ;   in Loop: Header=BB123_100 Depth=1
	s_or_b64 exec, exec, s[4:5]
	v_cmp_gt_i32_e32 vcc, s24, v234
	v_pk_mov_b32 v[124:125], v[122:123], v[122:123] op_sel:[0,1]
	s_and_saveexec_b64 s[4:5], vcc
	s_cbranch_execz .LBB123_141
; %bb.140:                              ;   in Loop: Header=BB123_100 Depth=1
	v_add_co_u32_e32 v122, vcc, v186, v237
	v_addc_co_u32_e32 v123, vcc, v183, v238, vcc
	global_load_dwordx4 v[122:125], v[122:123], off
.LBB123_141:                            ;   in Loop: Header=BB123_100 Depth=1
	s_or_b64 exec, exec, s[4:5]
	v_pk_mov_b32 v[126:127], 0, 0
	v_cmp_gt_i32_e32 vcc, s24, v235
	s_mov_b64 s[18:19], 0
	v_pk_mov_b32 v[128:129], v[126:127], v[126:127] op_sel:[0,1]
	s_and_saveexec_b64 s[4:5], vcc
	s_cbranch_execz .LBB123_143
; %bb.142:                              ;   in Loop: Header=BB123_100 Depth=1
	v_add_co_u32_e32 v126, vcc, v182, v237
	v_addc_co_u32_e32 v127, vcc, v179, v238, vcc
	global_load_dwordx4 v[126:129], v[126:127], off
.LBB123_143:                            ;   in Loop: Header=BB123_100 Depth=1
	s_or_b64 exec, exec, s[4:5]
	v_cmp_gt_i32_e64 s[4:5], s24, v236
	s_mov_b64 s[8:9], 0
	s_and_b64 vcc, exec, s[18:19]
	s_cbranch_vccnz .LBB123_145
	s_branch .LBB123_146
.LBB123_144:                            ;   in Loop: Header=BB123_100 Depth=1
	s_mov_b64 s[4:5], 0
                                        ; implicit-def: $sgpr8_sgpr9
                                        ; implicit-def: $vgpr128_vgpr129
                                        ; implicit-def: $vgpr124_vgpr125
                                        ; implicit-def: $vgpr116_vgpr117
	s_cbranch_execz .LBB123_146
.LBB123_145:                            ;   in Loop: Header=BB123_100 Depth=1
	s_waitcnt vmcnt(0)
	v_add_co_u32_e32 v122, vcc, v186, v237
	v_addc_co_u32_e32 v123, vcc, v183, v238, vcc
	v_add_co_u32_e32 v126, vcc, v178, v237
	v_addc_co_u32_e32 v127, vcc, v175, v238, vcc
	global_load_dwordx4 v[114:117], v[130:131], off
	s_or_b64 s[4:5], s[4:5], exec
	global_load_dwordx4 v[122:125], v[122:123], off
                                        ; implicit-def: $sgpr8_sgpr9
	s_nop 0
	global_load_dwordx4 v[126:129], v[126:127], off offset:-8
.LBB123_146:                            ;   in Loop: Header=BB123_100 Depth=1
	v_pk_mov_b32 v[130:131], s[8:9], s[8:9] op_sel:[0,1]
	v_pk_mov_b32 v[132:133], s[8:9], s[8:9] op_sel:[0,1]
	s_and_saveexec_b64 s[8:9], s[4:5]
	s_cbranch_execz .LBB123_148
; %bb.147:                              ;   in Loop: Header=BB123_100 Depth=1
	v_add_co_u32_e32 v130, vcc, v174, v237
	v_addc_co_u32_e32 v131, vcc, v169, v238, vcc
	global_load_dwordx4 v[130:133], v[130:131], off
.LBB123_148:                            ;   in Loop: Header=BB123_100 Depth=1
	s_or_b64 exec, exec, s[8:9]
	v_add_f64 v[146:147], v[146:147], 0
	v_add_f64 v[148:149], v[148:149], 0
	;; [unrolled: 1-line block ×6, first 2 shown]
	ds_read_b128 v[142:145], v216
	v_add_f64 v[162:163], v[162:163], 0
	v_add_f64 v[94:95], v[94:95], 0
	;; [unrolled: 1-line block ×11, first 2 shown]
	ds_read_b128 v[86:89], v223 offset:768
	s_waitcnt vmcnt(0) lgkmcnt(1)
	v_mul_f64 v[90:91], v[116:117], v[144:145]
	v_mul_f64 v[92:93], v[114:115], v[144:145]
	v_fma_f64 v[90:91], v[114:115], v[142:143], -v[90:91]
	v_fmac_f64_e32 v[92:93], v[116:117], v[142:143]
	v_mul_f64 v[94:95], v[124:125], v[144:145]
	v_mul_f64 v[96:97], v[122:123], v[144:145]
	v_add_f64 v[138:139], v[138:139], v[134:135]
	v_add_f64 v[140:141], v[140:141], v[136:137]
	ds_write_b128 v224, v[90:93]
	v_fma_f64 v[94:95], v[122:123], v[142:143], -v[94:95]
	v_fmac_f64_e32 v[96:97], v[124:125], v[142:143]
	v_mul_f64 v[134:135], v[128:129], v[144:145]
	v_mul_f64 v[136:137], v[126:127], v[144:145]
	ds_read_b128 v[90:93], v223 offset:784
	ds_write_b128 v224, v[94:97] offset:1072
	v_fma_f64 v[134:135], v[126:127], v[142:143], -v[134:135]
	v_fmac_f64_e32 v[136:137], v[128:129], v[142:143]
	v_mul_f64 v[146:147], v[132:133], v[144:145]
	v_mul_f64 v[148:149], v[130:131], v[144:145]
	ds_read_b128 v[94:97], v223 offset:800
	ds_write_b128 v224, v[134:137] offset:2144
	v_fma_f64 v[146:147], v[130:131], v[142:143], -v[146:147]
	v_fmac_f64_e32 v[148:149], v[132:133], v[142:143]
	v_add_f64 v[164:165], v[164:165], 0
	ds_read_b128 v[134:137], v223 offset:816
	ds_write_b128 v224, v[146:149] offset:3216
	s_waitcnt lgkmcnt(0)
	s_barrier
	ds_read_b128 v[142:145], v219
	v_add_f64 v[160:161], v[164:165], v[160:161]
	v_add_f64 v[156:157], v[160:161], v[156:157]
	;; [unrolled: 1-line block ×4, first 2 shown]
	ds_read_b128 v[146:149], v219 offset:16
	ds_read_b128 v[154:157], v219 offset:32
	;; [unrolled: 1-line block ×3, first 2 shown]
	s_waitcnt lgkmcnt(3)
	v_add_f64 v[142:143], v[142:143], 0
	v_add_f64 v[144:145], v[144:145], 0
	v_cmp_gt_i32_e32 vcc, s24, v168
	s_waitcnt lgkmcnt(2)
	v_add_f64 v[142:143], v[142:143], v[146:147]
	v_add_f64 v[144:145], v[144:145], v[148:149]
	s_or_b64 s[4:5], s[14:15], vcc
	s_waitcnt lgkmcnt(1)
	v_add_f64 v[142:143], v[142:143], v[154:155]
	v_add_f64 v[144:145], v[144:145], v[156:157]
	s_and_b64 s[8:9], s[2:3], s[4:5]
	s_waitcnt lgkmcnt(0)
	v_add_f64 v[142:143], v[142:143], v[158:159]
	v_add_f64 v[144:145], v[144:145], v[160:161]
	s_barrier
	ds_write_b128 v239, v[82:85]
	ds_write_b128 v239, v[138:141] offset:256
	ds_write_b128 v239, v[150:153] offset:512
	;; [unrolled: 1-line block ×3, first 2 shown]
	s_waitcnt lgkmcnt(0)
	s_barrier
	s_and_saveexec_b64 s[4:5], s[8:9]
	s_cbranch_execz .LBB123_150
; %bb.149:                              ;   in Loop: Header=BB123_100 Depth=1
	ds_read_b128 v[82:85], v217
	ds_read_b128 v[138:141], v217 offset:16
	ds_read_b128 v[142:145], v217 offset:32
	;; [unrolled: 1-line block ×3, first 2 shown]
	v_ashrrev_i32_e32 v171, 31, v170
	v_mov_b32_e32 v5, s17
	s_waitcnt lgkmcnt(2)
	v_add_f64 v[82:83], v[138:139], v[82:83]
	v_add_f64 v[138:139], v[140:141], v[84:85]
	s_waitcnt lgkmcnt(1)
	v_add_f64 v[140:141], v[82:83], v[142:143]
	ds_read_b128 v[82:85], v217 offset:64
	v_add_f64 v[142:143], v[138:139], v[144:145]
	s_waitcnt lgkmcnt(1)
	v_add_f64 v[144:145], v[140:141], v[146:147]
	ds_read_b128 v[138:141], v217 offset:80
	;; [unrolled: 4-line block ×9, first 2 shown]
	v_add_f64 v[84:85], v[146:147], v[84:85]
	s_waitcnt lgkmcnt(1)
	v_add_f64 v[138:139], v[82:83], v[138:139]
	v_add_f64 v[146:147], v[84:85], v[140:141]
	ds_read_b128 v[82:85], v217 offset:208
	s_waitcnt lgkmcnt(1)
	v_add_f64 v[148:149], v[138:139], v[142:143]
	ds_read_b128 v[138:141], v217 offset:224
	v_add_f64 v[146:147], v[146:147], v[144:145]
	ds_read_b128 v[142:145], v218
	s_waitcnt lgkmcnt(2)
	v_add_f64 v[82:83], v[148:149], v[82:83]
	v_add_f64 v[84:85], v[146:147], v[84:85]
	s_waitcnt lgkmcnt(1)
	v_add_f64 v[82:83], v[82:83], v[138:139]
	v_lshlrev_b64 v[138:139], 4, v[170:171]
	v_add_f64 v[84:85], v[84:85], v[140:141]
	v_add_co_u32_e32 v138, vcc, s7, v138
	s_waitcnt lgkmcnt(0)
	v_add_f64 v[82:83], v[82:83], v[142:143]
	v_add_f64 v[84:85], v[84:85], v[144:145]
	v_addc_co_u32_e32 v139, vcc, v5, v139, vcc
	global_store_dwordx4 v[138:139], v[82:85], off
.LBB123_150:                            ;   in Loop: Header=BB123_100 Depth=1
	s_or_b64 exec, exec, s[4:5]
	v_mov_b32_e32 v5, s13
	v_add_co_u32_e32 v172, vcc, s12, v172
	v_addc_co_u32_e32 v167, vcc, v167, v5, vcc
	v_add_co_u32_e32 v174, vcc, s12, v174
	v_addc_co_u32_e32 v169, vcc, v169, v5, vcc
	;; [unrolled: 2-line block ×4, first 2 shown]
	v_add_co_u32_e32 v180, vcc, s12, v180
	v_mul_f64 v[82:83], v[8:9], v[24:25]
	v_addc_co_u32_e32 v177, vcc, v177, v5, vcc
	v_fma_f64 v[82:83], v[6:7], v[22:23], -v[82:83]
	v_mul_f64 v[6:7], v[6:7], v[24:25]
	v_mul_f64 v[24:25], v[12:13], v[28:29]
	v_add_co_u32_e32 v182, vcc, s12, v182
	v_add_f64 v[0:1], v[0:1], v[82:83]
	v_fma_f64 v[24:25], v[10:11], v[26:27], -v[24:25]
	v_addc_co_u32_e32 v179, vcc, v179, v5, vcc
	v_add_f64 v[0:1], v[0:1], v[24:25]
	v_mul_f64 v[24:25], v[16:17], v[32:33]
	v_add_co_u32_e32 v184, vcc, s12, v184
	v_fma_f64 v[24:25], v[14:15], v[30:31], -v[24:25]
	v_addc_co_u32_e32 v181, vcc, v181, v5, vcc
	v_add_f64 v[0:1], v[0:1], v[24:25]
	v_mul_f64 v[24:25], v[20:21], v[40:41]
	v_fmac_f64_e32 v[6:7], v[8:9], v[22:23]
	v_add_co_u32_e32 v186, vcc, s12, v186
	v_fma_f64 v[24:25], v[18:19], v[38:39], -v[24:25]
	v_add_f64 v[2:3], v[2:3], v[6:7]
	v_mul_f64 v[6:7], v[36:37], v[56:57]
	v_addc_co_u32_e32 v183, vcc, v183, v5, vcc
	v_add_f64 v[0:1], v[0:1], v[24:25]
	v_fma_f64 v[6:7], v[34:35], v[54:55], -v[6:7]
	v_add_co_u32_e32 v188, vcc, s12, v188
	v_add_f64 v[0:1], v[0:1], v[6:7]
	v_mul_f64 v[6:7], v[44:45], v[60:61]
	v_addc_co_u32_e32 v185, vcc, v185, v5, vcc
	v_fma_f64 v[6:7], v[42:43], v[58:59], -v[6:7]
	v_add_co_u32_e32 v190, vcc, s12, v190
	v_add_f64 v[0:1], v[0:1], v[6:7]
	v_mul_f64 v[6:7], v[48:49], v[64:65]
	v_addc_co_u32_e32 v187, vcc, v187, v5, vcc
	;; [unrolled: 5-line block ×3, first 2 shown]
	v_fma_f64 v[6:7], v[50:51], v[70:71], -v[6:7]
	v_add_co_u32_e32 v194, vcc, s12, v194
	v_mul_f64 v[10:11], v[10:11], v[28:29]
	v_add_f64 v[0:1], v[0:1], v[6:7]
	v_mul_f64 v[6:7], v[68:69], v[104:105]
	v_addc_co_u32_e32 v191, vcc, v191, v5, vcc
	v_mul_f64 v[14:15], v[14:15], v[32:33]
	v_fmac_f64_e32 v[10:11], v[12:13], v[26:27]
	v_fma_f64 v[6:7], v[66:67], v[102:103], -v[6:7]
	v_add_co_u32_e32 v196, vcc, s12, v196
	v_mul_f64 v[18:19], v[18:19], v[40:41]
	v_add_f64 v[2:3], v[2:3], v[10:11]
	v_fmac_f64_e32 v[14:15], v[16:17], v[30:31]
	v_add_f64 v[0:1], v[0:1], v[6:7]
	v_mul_f64 v[6:7], v[76:77], v[108:109]
	v_addc_co_u32_e32 v193, vcc, v193, v5, vcc
	v_add_f64 v[2:3], v[2:3], v[14:15]
	v_fmac_f64_e32 v[18:19], v[20:21], v[38:39]
	v_mul_f64 v[8:9], v[34:35], v[56:57]
	v_fma_f64 v[6:7], v[74:75], v[106:107], -v[6:7]
	v_add_co_u32_e32 v198, vcc, s12, v198
	v_add_f64 v[2:3], v[2:3], v[18:19]
	v_mul_f64 v[10:11], v[42:43], v[60:61]
	v_fmac_f64_e32 v[8:9], v[36:37], v[54:55]
	v_add_f64 v[0:1], v[0:1], v[6:7]
	v_mul_f64 v[6:7], v[80:81], v[112:113]
	v_addc_co_u32_e32 v195, vcc, v195, v5, vcc
	v_mul_f64 v[12:13], v[46:47], v[64:65]
	v_add_f64 v[2:3], v[2:3], v[8:9]
	v_fmac_f64_e32 v[10:11], v[44:45], v[58:59]
	v_fma_f64 v[6:7], v[78:79], v[110:111], -v[6:7]
	v_add_co_u32_e32 v200, vcc, s12, v200
	v_mul_f64 v[14:15], v[50:51], v[72:73]
	v_add_f64 v[2:3], v[2:3], v[10:11]
	v_fmac_f64_e32 v[12:13], v[48:49], v[62:63]
	v_add_f64 v[0:1], v[0:1], v[6:7]
	v_mul_f64 v[6:7], v[100:101], v[120:121]
	v_addc_co_u32_e32 v197, vcc, v197, v5, vcc
	v_add_f64 v[2:3], v[2:3], v[12:13]
	v_fmac_f64_e32 v[14:15], v[52:53], v[70:71]
	v_mul_f64 v[8:9], v[66:67], v[104:105]
	v_fma_f64 v[6:7], v[98:99], v[118:119], -v[6:7]
	v_add_co_u32_e32 v202, vcc, s12, v202
	v_add_f64 v[2:3], v[2:3], v[14:15]
	v_mul_f64 v[10:11], v[74:75], v[108:109]
	v_add_f64 v[0:1], v[0:1], v[6:7]
	v_fmac_f64_e32 v[8:9], v[68:69], v[102:103]
	v_mul_f64 v[6:7], v[116:117], v[88:89]
	v_addc_co_u32_e32 v199, vcc, v199, v5, vcc
	v_mul_f64 v[12:13], v[78:79], v[112:113]
	v_add_f64 v[2:3], v[2:3], v[8:9]
	v_fmac_f64_e32 v[10:11], v[76:77], v[106:107]
	v_fma_f64 v[6:7], v[114:115], v[86:87], -v[6:7]
	v_add_co_u32_e32 v204, vcc, s12, v204
	v_mul_f64 v[14:15], v[98:99], v[120:121]
	v_add_f64 v[2:3], v[2:3], v[10:11]
	v_fmac_f64_e32 v[12:13], v[80:81], v[110:111]
	v_add_f64 v[0:1], v[0:1], v[6:7]
	v_mul_f64 v[6:7], v[124:125], v[92:93]
	v_addc_co_u32_e32 v201, vcc, v201, v5, vcc
	v_add_f64 v[2:3], v[2:3], v[12:13]
	v_fmac_f64_e32 v[14:15], v[100:101], v[118:119]
	v_mul_f64 v[8:9], v[114:115], v[88:89]
	v_fma_f64 v[6:7], v[122:123], v[90:91], -v[6:7]
	v_add_co_u32_e32 v206, vcc, s12, v206
	v_add_f64 v[2:3], v[2:3], v[14:15]
	v_mul_f64 v[10:11], v[122:123], v[92:93]
	v_add_f64 v[0:1], v[0:1], v[6:7]
	v_mul_f64 v[6:7], v[128:129], v[96:97]
	v_fmac_f64_e32 v[8:9], v[116:117], v[86:87]
	v_addc_co_u32_e32 v203, vcc, v203, v5, vcc
	v_fma_f64 v[6:7], v[126:127], v[94:95], -v[6:7]
	v_mul_f64 v[12:13], v[126:127], v[96:97]
	v_fmac_f64_e32 v[10:11], v[124:125], v[90:91]
	v_add_f64 v[2:3], v[2:3], v[8:9]
	v_add_co_u32_e32 v208, vcc, s12, v208
	v_add_f64 v[0:1], v[0:1], v[6:7]
	v_mul_f64 v[6:7], v[132:133], v[136:137]
	v_mul_f64 v[14:15], v[130:131], v[136:137]
	v_fmac_f64_e32 v[12:13], v[128:129], v[94:95]
	v_add_f64 v[2:3], v[2:3], v[10:11]
	v_addc_co_u32_e32 v205, vcc, v205, v5, vcc
	v_fma_f64 v[6:7], v[130:131], v[134:135], -v[6:7]
	v_fmac_f64_e32 v[14:15], v[132:133], v[134:135]
	v_add_f64 v[2:3], v[2:3], v[12:13]
	s_add_i32 s4, s6, 1
	s_add_i32 s10, s10, s30
	;; [unrolled: 1-line block ×3, first 2 shown]
	v_add_co_u32_e32 v210, vcc, s12, v210
	v_add_f64 v[0:1], v[0:1], v[6:7]
	v_add_f64 v[2:3], v[2:3], v[14:15]
	v_add_u32_e32 v170, 64, v170
	s_cmp_ge_u32 s5, s33
	v_addc_co_u32_e32 v207, vcc, v207, v5, vcc
	s_barrier
	s_cbranch_scc1 .LBB123_152
; %bb.151:                              ;   in Loop: Header=BB123_100 Depth=1
	s_mov_b32 s6, s4
	s_cmp_eq_u32 s25, s6
	s_cselect_b32 s24, s38, 0
	s_and_saveexec_b64 s[4:5], s[0:1]
	s_cbranch_execnz .LBB123_96
	s_branch .LBB123_100
.LBB123_152:
	s_movk_i32 s2, 0x430
	v_cmp_gt_i32_e32 vcc, s16, v168
	v_mad_u32_u24 v4, v209, s2, v211
	s_or_b64 s[2:3], s[20:21], vcc
	s_and_b64 s[0:1], s[0:1], s[2:3]
	ds_write_b128 v4, v[0:3]
	s_waitcnt lgkmcnt(0)
	s_barrier
	s_and_saveexec_b64 s[2:3], s[0:1]
	s_cbranch_execz .LBB123_154
; %bb.153:
	ds_read_b128 v[0:3], v211 offset:1072
	ds_read_b128 v[4:7], v211
	ds_read_b128 v[8:11], v211 offset:2144
	ds_read_b128 v[12:15], v211 offset:3216
	v_ashrrev_i32_e32 v167, 31, v166
	s_waitcnt lgkmcnt(2)
	v_add_f64 v[0:1], v[0:1], v[4:5]
	v_add_f64 v[2:3], v[2:3], v[6:7]
	v_lshlrev_b64 v[4:5], 4, v[166:167]
	s_waitcnt lgkmcnt(1)
	v_add_f64 v[0:1], v[0:1], v[8:9]
	v_add_f64 v[2:3], v[2:3], v[10:11]
	v_mov_b32_e32 v6, s17
	v_add_co_u32_e32 v4, vcc, s7, v4
	s_waitcnt lgkmcnt(0)
	v_add_f64 v[0:1], v[0:1], v[12:13]
	v_add_f64 v[2:3], v[2:3], v[14:15]
	v_addc_co_u32_e32 v5, vcc, v6, v5, vcc
	global_store_dwordx4 v[4:5], v[0:3], off
.LBB123_154:
	s_endpgm
	.section	.rodata,"a",@progbits
	.p2align	6, 0x0
	.amdhsa_kernel _ZL26rocblas_hemvn_kernel_upperILb0ELi64ELi4ELi33ELi32ELi16EiPK19rocblas_complex_numIdES3_PS1_EviT6_lT7_lT5_lS6_lS7_lS5_lT8_i
		.amdhsa_group_segment_fixed_size 19200
		.amdhsa_private_segment_fixed_size 0
		.amdhsa_kernarg_size 376
		.amdhsa_user_sgpr_count 6
		.amdhsa_user_sgpr_private_segment_buffer 1
		.amdhsa_user_sgpr_dispatch_ptr 0
		.amdhsa_user_sgpr_queue_ptr 0
		.amdhsa_user_sgpr_kernarg_segment_ptr 1
		.amdhsa_user_sgpr_dispatch_id 0
		.amdhsa_user_sgpr_flat_scratch_init 0
		.amdhsa_user_sgpr_kernarg_preload_length 0
		.amdhsa_user_sgpr_kernarg_preload_offset 0
		.amdhsa_user_sgpr_private_segment_size 0
		.amdhsa_uses_dynamic_stack 0
		.amdhsa_system_sgpr_private_segment_wavefront_offset 0
		.amdhsa_system_sgpr_workgroup_id_x 1
		.amdhsa_system_sgpr_workgroup_id_y 0
		.amdhsa_system_sgpr_workgroup_id_z 1
		.amdhsa_system_sgpr_workgroup_info 0
		.amdhsa_system_vgpr_workitem_id 1
		.amdhsa_next_free_vgpr 240
		.amdhsa_next_free_sgpr 44
		.amdhsa_accum_offset 240
		.amdhsa_reserve_vcc 1
		.amdhsa_reserve_flat_scratch 0
		.amdhsa_float_round_mode_32 0
		.amdhsa_float_round_mode_16_64 0
		.amdhsa_float_denorm_mode_32 3
		.amdhsa_float_denorm_mode_16_64 3
		.amdhsa_dx10_clamp 1
		.amdhsa_ieee_mode 1
		.amdhsa_fp16_overflow 0
		.amdhsa_tg_split 0
		.amdhsa_exception_fp_ieee_invalid_op 0
		.amdhsa_exception_fp_denorm_src 0
		.amdhsa_exception_fp_ieee_div_zero 0
		.amdhsa_exception_fp_ieee_overflow 0
		.amdhsa_exception_fp_ieee_underflow 0
		.amdhsa_exception_fp_ieee_inexact 0
		.amdhsa_exception_int_div_zero 0
	.end_amdhsa_kernel
	.section	.text._ZL26rocblas_hemvn_kernel_upperILb0ELi64ELi4ELi33ELi32ELi16EiPK19rocblas_complex_numIdES3_PS1_EviT6_lT7_lT5_lS6_lS7_lS5_lT8_i,"axG",@progbits,_ZL26rocblas_hemvn_kernel_upperILb0ELi64ELi4ELi33ELi32ELi16EiPK19rocblas_complex_numIdES3_PS1_EviT6_lT7_lT5_lS6_lS7_lS5_lT8_i,comdat
.Lfunc_end123:
	.size	_ZL26rocblas_hemvn_kernel_upperILb0ELi64ELi4ELi33ELi32ELi16EiPK19rocblas_complex_numIdES3_PS1_EviT6_lT7_lT5_lS6_lS7_lS5_lT8_i, .Lfunc_end123-_ZL26rocblas_hemvn_kernel_upperILb0ELi64ELi4ELi33ELi32ELi16EiPK19rocblas_complex_numIdES3_PS1_EviT6_lT7_lT5_lS6_lS7_lS5_lT8_i
                                        ; -- End function
	.section	.AMDGPU.csdata,"",@progbits
; Kernel info:
; codeLenInByte = 10744
; NumSgprs: 48
; NumVgprs: 240
; NumAgprs: 0
; TotalNumVgprs: 240
; ScratchSize: 0
; MemoryBound: 1
; FloatMode: 240
; IeeeMode: 1
; LDSByteSize: 19200 bytes/workgroup (compile time only)
; SGPRBlocks: 5
; VGPRBlocks: 29
; NumSGPRsForWavesPerEU: 48
; NumVGPRsForWavesPerEU: 240
; AccumOffset: 240
; Occupancy: 2
; WaveLimiterHint : 1
; COMPUTE_PGM_RSRC2:SCRATCH_EN: 0
; COMPUTE_PGM_RSRC2:USER_SGPR: 6
; COMPUTE_PGM_RSRC2:TRAP_HANDLER: 0
; COMPUTE_PGM_RSRC2:TGID_X_EN: 1
; COMPUTE_PGM_RSRC2:TGID_Y_EN: 0
; COMPUTE_PGM_RSRC2:TGID_Z_EN: 1
; COMPUTE_PGM_RSRC2:TIDIG_COMP_CNT: 1
; COMPUTE_PGM_RSRC3_GFX90A:ACCUM_OFFSET: 59
; COMPUTE_PGM_RSRC3_GFX90A:TG_SPLIT: 0
	.section	.text._ZL26rocblas_hemvn_kernel_upperILb0ELi64ELi4ELi33ELi32ELi16El19rocblas_complex_numIdEPKS1_PS1_EviT6_lT7_lT5_lS6_lS7_lS5_lT8_i,"axG",@progbits,_ZL26rocblas_hemvn_kernel_upperILb0ELi64ELi4ELi33ELi32ELi16El19rocblas_complex_numIdEPKS1_PS1_EviT6_lT7_lT5_lS6_lS7_lS5_lT8_i,comdat
	.globl	_ZL26rocblas_hemvn_kernel_upperILb0ELi64ELi4ELi33ELi32ELi16El19rocblas_complex_numIdEPKS1_PS1_EviT6_lT7_lT5_lS6_lS7_lS5_lT8_i ; -- Begin function _ZL26rocblas_hemvn_kernel_upperILb0ELi64ELi4ELi33ELi32ELi16El19rocblas_complex_numIdEPKS1_PS1_EviT6_lT7_lT5_lS6_lS7_lS5_lT8_i
	.p2align	8
	.type	_ZL26rocblas_hemvn_kernel_upperILb0ELi64ELi4ELi33ELi32ELi16El19rocblas_complex_numIdEPKS1_PS1_EviT6_lT7_lT5_lS6_lS7_lS5_lT8_i,@function
_ZL26rocblas_hemvn_kernel_upperILb0ELi64ELi4ELi33ELi32ELi16El19rocblas_complex_numIdEPKS1_PS1_EviT6_lT7_lT5_lS6_lS7_lS5_lT8_i: ; @_ZL26rocblas_hemvn_kernel_upperILb0ELi64ELi4ELi33ELi32ELi16El19rocblas_complex_numIdEPKS1_PS1_EviT6_lT7_lT5_lS6_lS7_lS5_lT8_i
; %bb.0:
	s_load_dwordx2 s[2:3], s[4:5], 0x94
	s_add_u32 s0, s4, 0x88
	s_addc_u32 s1, s5, 0
	s_waitcnt lgkmcnt(0)
	s_lshr_b32 s8, s2, 16
	s_and_b32 s2, s2, 0xffff
	s_and_b32 s3, s3, 0xffff
	s_mul_i32 s2, s8, s2
	s_mul_i32 s2, s2, s3
	s_cmpk_lg_i32 s2, 0x100
	s_cbranch_scc1 .LBB124_154
; %bb.1:
	s_load_dwordx4 s[8:11], s[4:5], 0x8
	s_waitcnt lgkmcnt(0)
	v_cmp_neq_f64_e64 s[2:3], s[8:9], 0
	v_cmp_neq_f64_e64 s[8:9], s[10:11], 0
	s_or_b64 s[2:3], s[2:3], s[8:9]
	s_mov_b64 s[8:9], -1
	s_and_b64 vcc, exec, s[2:3]
	s_cbranch_vccnz .LBB124_3
; %bb.2:
	s_load_dwordx4 s[8:11], s[4:5], 0x60
	s_waitcnt lgkmcnt(0)
	v_cmp_neq_f64_e64 s[8:9], s[8:9], 1.0
	v_cmp_neq_f64_e64 s[10:11], s[10:11], 0
	s_or_b64 s[8:9], s[8:9], s[10:11]
.LBB124_3:
	s_andn2_b64 vcc, exec, s[8:9]
	s_cbranch_vccnz .LBB124_154
; %bb.4:
	s_andn2_b64 vcc, exec, s[2:3]
	s_cbranch_vccnz .LBB124_154
; %bb.5:
	s_load_dwordx16 s[16:31], s[4:5], 0x20
	s_load_dword s33, s[0:1], 0x0
	s_load_dword s37, s[4:5], 0x0
	v_and_b32_e32 v201, 0x3ff, v0
	v_bfe_u32 v202, v0, 10, 10
	s_waitcnt lgkmcnt(0)
	s_mul_i32 s1, s7, s31
	s_mul_hi_u32 s2, s7, s30
	s_mul_i32 s0, s7, s30
	s_add_i32 s1, s2, s1
	s_lshl_b64 s[0:1], s[0:1], 4
	s_add_u32 s2, s24, s0
	s_addc_u32 s3, s25, s1
	s_lshl_b64 s[0:1], s[26:27], 4
	s_add_u32 s2, s2, s0
	s_addc_u32 s3, s3, s1
	s_ashr_i32 s38, s37, 31
	s_lshr_b32 s1, s38, 26
	s_lshl_b32 s26, s6, 6
	s_add_i32 s1, s37, s1
	s_andn2_b32 s1, s1, 63
	v_add_u32_e32 v166, s26, v201
	s_add_i32 s0, s33, -1
	s_sub_i32 s36, s37, s1
	v_ashrrev_i32_e32 v167, 31, v166
	s_cmp_eq_u32 s6, s0
	v_mul_lo_u32 v2, v167, s28
	v_mul_lo_u32 v3, v166, s29
	v_mad_u64_u32 v[0:1], s[0:1], v166, s28, 0
	v_add3_u32 v1, v1, v3, v2
	v_lshlrev_b64 v[0:1], 4, v[0:1]
	v_mov_b32_e32 v2, s3
	v_add_co_u32_e32 v38, vcc, s2, v0
	s_cselect_b32 s24, s36, 0
	v_addc_co_u32_e32 v39, vcc, v2, v1, vcc
	v_cmp_eq_u32_e64 s[0:1], 0, v202
	s_and_saveexec_b64 s[2:3], s[0:1]
	s_cbranch_execz .LBB124_10
; %bb.6:
	s_cmp_lg_u32 s24, 0
	s_cselect_b64 s[8:9], -1, 0
	v_cmp_le_i32_e32 vcc, s24, v201
	v_mov_b32_e32 v0, 0x4700
	s_and_b64 s[8:9], s[8:9], vcc
	v_lshl_add_u32 v0, v201, 4, v0
	s_and_saveexec_b64 s[10:11], s[8:9]
	s_xor_b64 s[8:9], exec, s[10:11]
	s_cbranch_execz .LBB124_8
; %bb.7:
	v_mov_b32_e32 v2, 0
	v_mov_b32_e32 v3, v2
	;; [unrolled: 1-line block ×4, first 2 shown]
	ds_write_b128 v0, v[2:5]
                                        ; implicit-def: $vgpr0
.LBB124_8:
	s_andn2_saveexec_b64 s[8:9], s[8:9]
	s_cbranch_execz .LBB124_10
; %bb.9:
	global_load_dwordx4 v[2:5], v[38:39], off
	s_waitcnt vmcnt(0)
	ds_write2_b64 v0, v[2:3], v[4:5] offset1:1
.LBB124_10:
	s_or_b64 exec, exec, s[2:3]
	s_mul_i32 s2, s7, s23
	s_mul_hi_u32 s3, s7, s22
	s_add_i32 s3, s3, s2
	s_mul_i32 s2, s7, s22
	s_lshl_b64 s[2:3], s[2:3], 4
	s_add_u32 s8, s16, s2
	s_addc_u32 s9, s17, s3
	s_lshl_b64 s[2:3], s[18:19], 4
	s_add_u32 s8, s8, s2
	s_addc_u32 s9, s9, s3
	s_ashr_i32 s27, s26, 31
	v_lshl_add_u32 v42, v202, 6, v201
	s_lshl_b64 s[2:3], s[26:27], 4
	v_and_b32_e32 v4, 31, v201
	v_lshrrev_b32_e32 v12, 5, v42
	s_add_u32 s8, s8, s2
	v_mov_b32_e32 v5, 0
	s_addc_u32 s9, s9, s3
	v_mad_u64_u32 v[0:1], s[2:3], v12, s20, v[4:5]
	v_mov_b32_e32 v2, v1
	v_mad_u64_u32 v[2:3], s[2:3], v12, s21, v[2:3]
	s_mul_i32 s2, s26, s21
	s_mul_hi_u32 s3, s26, s20
	s_add_i32 s2, s3, s2
	s_mul_i32 s3, s27, s20
	s_add_i32 s3, s2, s3
	s_mul_i32 s2, s26, s20
	s_lshl_b64 s[2:3], s[2:3], 4
	s_add_u32 s2, s2, s8
	v_mov_b32_e32 v1, v2
	s_addc_u32 s3, s3, s9
	v_lshlrev_b64 v[36:37], 4, v[0:1]
	s_cmp_eq_u32 s24, 0
	v_mov_b32_e32 v1, s3
	v_add_co_u32_e32 v0, vcc, s2, v36
	s_cselect_b64 s[18:19], -1, 0
	s_cmp_lg_u32 s24, 0
	v_addc_co_u32_e32 v1, vcc, v1, v37, vcc
	s_cselect_b64 s[22:23], -1, 0
	s_and_b64 vcc, exec, s[22:23]
	v_cmp_gt_i32_e64 s[2:3], s24, v4
	v_lshlrev_b32_e32 v13, 4, v4
	v_mul_u32_u24_e32 v5, 33, v12
	s_mul_i32 s39, s21, 0x180
	s_cbranch_vccz .LBB124_28
; %bb.11:
	v_sub_co_u32_e32 v2, vcc, v0, v13
	s_ashr_i32 s25, s24, 31
	v_subbrev_co_u32_e32 v3, vcc, 0, v1, vcc
	s_lshl_b64 s[8:9], s[24:25], 4
	v_mov_b32_e32 v6, s9
	v_add_co_u32_e32 v2, vcc, s8, v2
	v_addc_co_u32_e32 v3, vcc, v3, v6, vcc
	v_add_co_u32_e32 v2, vcc, -16, v2
	v_addc_co_u32_e32 v3, vcc, -1, v3, vcc
	v_cndmask_b32_e64 v3, v3, v1, s[2:3]
	v_cndmask_b32_e64 v2, v2, v0, s[2:3]
	v_cmp_le_i32_e32 vcc, s24, v12
	v_add_lshl_u32 v6, v5, v4, 4
	s_and_saveexec_b64 s[10:11], vcc
	s_xor_b64 s[10:11], exec, s[10:11]
	s_cbranch_execz .LBB124_13
; %bb.12:
	v_mov_b32_e32 v8, 0
	v_mov_b32_e32 v9, v8
	;; [unrolled: 1-line block ×4, first 2 shown]
	ds_write_b128 v6, v[8:11]
.LBB124_13:
	s_andn2_saveexec_b64 s[10:11], s[10:11]
	s_cbranch_execz .LBB124_15
; %bb.14:
	global_load_dwordx4 v[8:11], v[2:3], off
	s_waitcnt vmcnt(0)
	ds_write2_b64 v6, v[8:9], v[10:11] offset1:1
.LBB124_15:
	s_or_b64 exec, exec, s[10:11]
	v_add_u32_e32 v7, 8, v12
	v_cmp_le_i32_e32 vcc, s24, v7
	s_and_saveexec_b64 s[10:11], vcc
	s_xor_b64 s[10:11], exec, s[10:11]
	s_cbranch_execz .LBB124_17
; %bb.16:
	v_mul_u32_u24_e32 v7, 33, v7
	v_mov_b32_e32 v8, 0
	v_add_lshl_u32 v7, v7, v4, 4
	v_mov_b32_e32 v9, v8
	v_mov_b32_e32 v10, v8
	;; [unrolled: 1-line block ×3, first 2 shown]
	ds_write_b128 v7, v[8:11]
.LBB124_17:
	s_andn2_saveexec_b64 s[10:11], s[10:11]
	s_cbranch_execz .LBB124_19
; %bb.18:
	s_lshl_b64 s[12:13], s[20:21], 7
	v_mov_b32_e32 v7, s13
	v_add_co_u32_e32 v8, vcc, s12, v2
	v_addc_co_u32_e32 v9, vcc, v3, v7, vcc
	global_load_dwordx4 v[8:11], v[8:9], off
	v_add_u32_e32 v7, 0x1080, v6
	s_waitcnt vmcnt(0)
	ds_write2_b64 v7, v[8:9], v[10:11] offset1:1
.LBB124_19:
	s_or_b64 exec, exec, s[10:11]
	v_add_u32_e32 v7, 16, v12
	v_cmp_le_i32_e32 vcc, s24, v7
	s_and_saveexec_b64 s[10:11], vcc
	s_xor_b64 s[10:11], exec, s[10:11]
	s_cbranch_execz .LBB124_21
; %bb.20:
	v_mov_b32_e32 v8, 0
	v_mov_b32_e32 v9, v8
	v_mov_b32_e32 v10, v8
	v_mov_b32_e32 v11, v8
	ds_write_b128 v6, v[8:11] offset:8448
.LBB124_21:
	s_andn2_saveexec_b64 s[10:11], s[10:11]
	s_cbranch_execz .LBB124_23
; %bb.22:
	s_lshl_b64 s[12:13], s[20:21], 8
	v_mov_b32_e32 v7, s13
	v_add_co_u32_e32 v8, vcc, s12, v2
	v_addc_co_u32_e32 v9, vcc, v3, v7, vcc
	global_load_dwordx4 v[8:11], v[8:9], off
	v_add_u32_e32 v7, 0x2100, v6
	s_waitcnt vmcnt(0)
	ds_write2_b64 v7, v[8:9], v[10:11] offset1:1
.LBB124_23:
	s_or_b64 exec, exec, s[10:11]
	v_add_u32_e32 v7, 24, v12
	v_cmp_le_i32_e32 vcc, s24, v7
	s_and_saveexec_b64 s[10:11], vcc
	s_xor_b64 s[10:11], exec, s[10:11]
	s_cbranch_execz .LBB124_25
; %bb.24:
	v_mov_b32_e32 v8, 0
	v_mov_b32_e32 v9, v8
	;; [unrolled: 1-line block ×4, first 2 shown]
	ds_write_b128 v6, v[8:11] offset:12672
                                        ; implicit-def: $vgpr6
.LBB124_25:
	s_andn2_saveexec_b64 s[10:11], s[10:11]
	s_cbranch_execz .LBB124_27
; %bb.26:
	v_mov_b32_e32 v7, 0x180
	v_mad_u64_u32 v[8:9], s[12:13], s20, v7, v[2:3]
	v_add_u32_e32 v9, s39, v9
	global_load_dwordx4 v[8:11], v[8:9], off
	v_add_u32_e32 v6, 0x3180, v6
	s_waitcnt vmcnt(0)
	ds_write2_b64 v6, v[8:9], v[10:11] offset1:1
.LBB124_27:
	s_or_b64 exec, exec, s[10:11]
	v_add_co_u32_e32 v2, vcc, v2, v13
	v_addc_co_u32_e32 v3, vcc, 0, v3, vcc
	v_mov_b32_e32 v6, s9
	v_subrev_co_u32_e32 v2, vcc, s8, v2
	v_subb_co_u32_e32 v3, vcc, v3, v6, vcc
	v_add_co_u32_e32 v2, vcc, 16, v2
	v_addc_co_u32_e32 v3, vcc, 0, v3, vcc
	v_cndmask_b32_e64 v7, v3, v1, s[2:3]
	v_cndmask_b32_e64 v6, v2, v0, s[2:3]
	s_branch .LBB124_30
.LBB124_28:
                                        ; implicit-def: $vgpr6_vgpr7
	s_cbranch_execz .LBB124_30
; %bb.29:
	s_lshl_b64 s[2:3], s[20:21], 7
	v_mov_b32_e32 v10, s3
	v_add_co_u32_e32 v2, vcc, s2, v0
	v_addc_co_u32_e32 v3, vcc, v1, v10, vcc
	global_load_dwordx4 v[6:9], v[0:1], off
	global_load_dwordx4 v[14:17], v[2:3], off
	v_add_co_u32_e32 v2, vcc, s2, v2
	v_addc_co_u32_e32 v3, vcc, v3, v10, vcc
	v_mov_b32_e32 v10, 0x180
	v_mad_u64_u32 v[10:11], s[2:3], s20, v10, v[0:1]
	v_add_u32_e32 v11, s39, v11
	global_load_dwordx4 v[18:21], v[10:11], off
	global_load_dwordx4 v[22:25], v[2:3], off
	v_add_lshl_u32 v2, v5, v4, 4
	v_add_u32_e32 v3, 0x1080, v2
	v_add_u32_e32 v10, 0x2100, v2
	;; [unrolled: 1-line block ×3, first 2 shown]
	s_waitcnt vmcnt(3)
	ds_write2_b64 v2, v[6:7], v[8:9] offset1:1
	s_waitcnt vmcnt(2)
	ds_write2_b64 v3, v[14:15], v[16:17] offset1:1
	;; [unrolled: 2-line block ×4, first 2 shown]
	v_pk_mov_b32 v[6:7], v[0:1], v[0:1] op_sel:[0,1]
.LBB124_30:
	v_lshlrev_b32_e32 v0, 2, v12
	v_mul_u32_u24_e32 v14, 33, v4
	v_cmp_gt_u32_e64 s[16:17], v0, v4
	v_add_lshl_u32 v16, v0, v14, 4
	s_waitcnt lgkmcnt(0)
	s_barrier
	s_and_saveexec_b64 s[2:3], s[16:17]
	s_cbranch_execz .LBB124_32
; %bb.31:
	v_mul_u32_u24_e32 v1, 0x84, v12
	v_add_lshl_u32 v1, v1, v4, 4
	ds_read_b128 v[8:11], v1
	s_waitcnt lgkmcnt(0)
	ds_write_b128 v16, v[8:11]
.LBB124_32:
	s_or_b64 exec, exec, s[2:3]
	v_cmp_ge_u32_e64 s[8:9], v0, v4
	s_and_saveexec_b64 s[2:3], s[8:9]
	s_cbranch_execz .LBB124_34
; %bb.33:
	v_or_b32_e32 v1, 1, v0
	v_mul_u32_u24_e32 v1, 33, v1
	v_add_lshl_u32 v1, v1, v4, 4
	ds_read_b128 v[8:11], v1
	s_waitcnt lgkmcnt(0)
	ds_write_b128 v16, v[8:11] offset:16
.LBB124_34:
	s_or_b64 exec, exec, s[2:3]
	v_or_b32_e32 v1, 2, v0
	v_cmp_gt_u32_e64 s[10:11], v1, v4
	s_and_saveexec_b64 s[2:3], s[10:11]
	s_cbranch_execz .LBB124_36
; %bb.35:
	v_mul_u32_u24_e32 v1, 33, v1
	v_add_lshl_u32 v1, v1, v4, 4
	ds_read_b128 v[8:11], v1
	s_waitcnt lgkmcnt(0)
	ds_write_b128 v16, v[8:11] offset:32
.LBB124_36:
	s_or_b64 exec, exec, s[2:3]
	v_or_b32_e32 v1, 3, v0
	v_cmp_gt_u32_e64 s[12:13], v1, v4
	v_mad_u32_u24 v1, v1, 33, v4
	v_lshlrev_b32_e32 v15, 4, v1
	s_and_saveexec_b64 s[2:3], s[12:13]
	s_cbranch_execz .LBB124_38
; %bb.37:
	ds_read_b128 v[8:11], v15
	s_waitcnt lgkmcnt(0)
	ds_write_b128 v16, v[8:11] offset:48
.LBB124_38:
	s_or_b64 exec, exec, s[2:3]
	v_mul_u32_u24_e32 v1, 0x84, v12
	v_lshlrev_b32_e32 v17, 4, v0
	s_waitcnt lgkmcnt(0)
	s_barrier
	v_add_lshl_u32 v24, v1, v4, 4
	ds_read_b128 v[0:3], v17 offset:18176
	ds_read_b128 v[8:11], v24
	ds_read_b128 v[18:21], v17 offset:18192
	ds_read_b128 v[26:29], v17 offset:18208
	v_add_u32_e32 v25, 0xfffffbe0, v15
	ds_read_b128 v[30:33], v25
	ds_read_b128 v[44:47], v25 offset:528
	s_waitcnt lgkmcnt(4)
	v_mul_f64 v[22:23], v[2:3], v[10:11]
	v_fma_f64 v[22:23], v[0:1], v[8:9], -v[22:23]
	v_mul_f64 v[0:1], v[0:1], v[10:11]
	v_fmac_f64_e32 v[0:1], v[2:3], v[8:9]
	s_waitcnt lgkmcnt(1)
	v_mul_f64 v[10:11], v[18:19], v[32:33]
	v_add_f64 v[0:1], v[0:1], 0
	v_mul_f64 v[8:9], v[20:21], v[32:33]
	v_fmac_f64_e32 v[10:11], v[20:21], v[30:31]
	v_add_f64 v[2:3], v[22:23], 0
	v_fma_f64 v[8:9], v[18:19], v[30:31], -v[8:9]
	v_add_f64 v[20:21], v[0:1], v[10:11]
	s_waitcnt lgkmcnt(0)
	v_mul_f64 v[0:1], v[28:29], v[46:47]
	v_add_f64 v[18:19], v[2:3], v[8:9]
	v_fma_f64 v[22:23], v[26:27], v[44:45], -v[0:1]
	ds_read_b128 v[0:3], v17 offset:18224
	ds_read_b128 v[8:11], v15
	v_mul_f64 v[26:27], v[26:27], v[46:47]
	v_fmac_f64_e32 v[26:27], v[28:29], v[44:45]
	v_add_f64 v[18:19], v[18:19], v[22:23]
	v_add_f64 v[20:21], v[20:21], v[26:27]
	s_waitcnt lgkmcnt(0)
	v_mul_f64 v[22:23], v[2:3], v[10:11]
	v_mul_f64 v[10:11], v[0:1], v[10:11]
	v_fma_f64 v[22:23], v[0:1], v[8:9], -v[22:23]
	v_fmac_f64_e32 v[10:11], v[2:3], v[8:9]
	v_add_f64 v[0:1], v[18:19], v[22:23]
	v_add_f64 v[2:3], v[20:21], v[10:11]
	v_add_lshl_u32 v44, v12, v14, 4
	s_barrier
	ds_write_b128 v44, v[0:3]
	v_pk_mov_b32 v[0:1], 0, 0
	v_cmp_gt_u32_e64 s[2:3], 32, v42
	v_lshlrev_b32_e32 v43, 4, v14
	v_pk_mov_b32 v[2:3], v[0:1], v[0:1] op_sel:[0,1]
	s_waitcnt lgkmcnt(0)
	s_barrier
	s_and_saveexec_b64 s[14:15], s[2:3]
	s_cbranch_execz .LBB124_40
; %bb.39:
	ds_read_b128 v[0:3], v43
	ds_read_b128 v[8:11], v43 offset:16
	ds_read_b128 v[18:21], v43 offset:32
	;; [unrolled: 1-line block ×3, first 2 shown]
	s_waitcnt lgkmcnt(2)
	v_add_f64 v[0:1], v[8:9], v[0:1]
	v_add_f64 v[8:9], v[10:11], v[2:3]
	s_waitcnt lgkmcnt(1)
	v_add_f64 v[10:11], v[0:1], v[18:19]
	ds_read_b128 v[0:3], v43 offset:64
	v_add_f64 v[8:9], v[8:9], v[20:21]
	s_waitcnt lgkmcnt(1)
	v_add_f64 v[18:19], v[10:11], v[26:27]
	v_add_f64 v[22:23], v[8:9], v[28:29]
	ds_read_b128 v[8:11], v43 offset:80
	s_waitcnt lgkmcnt(1)
	v_add_f64 v[26:27], v[18:19], v[0:1]
	ds_read_b128 v[18:21], v43 offset:96
	v_add_f64 v[22:23], v[22:23], v[2:3]
	ds_read_b128 v[0:3], v43 offset:112
	s_waitcnt lgkmcnt(2)
	v_add_f64 v[8:9], v[26:27], v[8:9]
	v_add_f64 v[10:11], v[22:23], v[10:11]
	s_waitcnt lgkmcnt(1)
	v_add_f64 v[8:9], v[8:9], v[18:19]
	v_add_f64 v[10:11], v[10:11], v[20:21]
	;; [unrolled: 3-line block ×3, first 2 shown]
.LBB124_40:
	s_or_b64 exec, exec, s[14:15]
	s_lshl_b64 s[14:15], s[20:21], 9
	v_mov_b32_e32 v8, s15
	v_add_co_u32_e32 v10, vcc, s14, v6
	v_addc_co_u32_e32 v11, vcc, v7, v8, vcc
	v_add_co_u32_e32 v8, vcc, 0x200, v10
	v_addc_co_u32_e32 v9, vcc, 0, v11, vcc
	s_and_b64 vcc, exec, s[22:23]
	s_barrier
	s_cbranch_vccz .LBB124_58
; %bb.41:
	v_sub_co_u32_e32 v7, vcc, v8, v13
	s_ashr_i32 s25, s24, 31
	v_subbrev_co_u32_e32 v18, vcc, 0, v9, vcc
	s_lshl_b64 s[30:31], s[24:25], 4
	v_mov_b32_e32 v19, s31
	v_add_co_u32_e32 v7, vcc, s30, v7
	v_addc_co_u32_e32 v18, vcc, v18, v19, vcc
	v_or_b32_e32 v6, 32, v4
	v_add_co_u32_e32 v19, vcc, 0xfffffdf0, v7
	v_addc_co_u32_e32 v7, vcc, -1, v18, vcc
	v_cmp_gt_i32_e64 s[14:15], s24, v6
	s_sub_i32 s25, s24, 32
	v_cndmask_b32_e64 v7, v7, v9, s[14:15]
	v_cndmask_b32_e64 v6, v19, v8, s[14:15]
	v_cmp_le_i32_e32 vcc, s25, v12
	v_add_lshl_u32 v18, v5, v4, 4
	s_and_saveexec_b64 s[34:35], vcc
	s_xor_b64 s[34:35], exec, s[34:35]
	s_cbranch_execz .LBB124_43
; %bb.42:
	v_mov_b32_e32 v20, 0
	v_mov_b32_e32 v21, v20
	;; [unrolled: 1-line block ×4, first 2 shown]
	ds_write_b128 v18, v[20:23]
.LBB124_43:
	s_andn2_saveexec_b64 s[34:35], s[34:35]
	s_cbranch_execz .LBB124_45
; %bb.44:
	global_load_dwordx4 v[20:23], v[6:7], off
	s_waitcnt vmcnt(0)
	ds_write2_b64 v18, v[20:21], v[22:23] offset1:1
.LBB124_45:
	s_or_b64 exec, exec, s[34:35]
	v_add_u32_e32 v19, 8, v12
	v_cmp_le_i32_e32 vcc, s25, v19
	s_and_saveexec_b64 s[34:35], vcc
	s_xor_b64 s[34:35], exec, s[34:35]
	s_cbranch_execz .LBB124_47
; %bb.46:
	v_mul_u32_u24_e32 v19, 33, v19
	v_mov_b32_e32 v20, 0
	v_add_lshl_u32 v19, v19, v4, 4
	v_mov_b32_e32 v21, v20
	v_mov_b32_e32 v22, v20
	v_mov_b32_e32 v23, v20
	ds_write_b128 v19, v[20:23]
.LBB124_47:
	s_andn2_saveexec_b64 s[34:35], s[34:35]
	s_cbranch_execz .LBB124_49
; %bb.48:
	s_lshl_b64 s[40:41], s[20:21], 7
	v_mov_b32_e32 v19, s41
	v_add_co_u32_e32 v20, vcc, s40, v6
	v_addc_co_u32_e32 v21, vcc, v7, v19, vcc
	global_load_dwordx4 v[20:23], v[20:21], off
	v_add_u32_e32 v19, 0x1080, v18
	s_waitcnt vmcnt(0)
	ds_write2_b64 v19, v[20:21], v[22:23] offset1:1
.LBB124_49:
	s_or_b64 exec, exec, s[34:35]
	v_add_u32_e32 v19, 16, v12
	v_cmp_le_i32_e32 vcc, s25, v19
	s_and_saveexec_b64 s[34:35], vcc
	s_xor_b64 s[34:35], exec, s[34:35]
	s_cbranch_execz .LBB124_51
; %bb.50:
	v_mov_b32_e32 v20, 0
	v_mov_b32_e32 v21, v20
	;; [unrolled: 1-line block ×4, first 2 shown]
	ds_write_b128 v18, v[20:23] offset:8448
.LBB124_51:
	s_andn2_saveexec_b64 s[34:35], s[34:35]
	s_cbranch_execz .LBB124_53
; %bb.52:
	s_lshl_b64 s[40:41], s[20:21], 8
	v_mov_b32_e32 v19, s41
	v_add_co_u32_e32 v20, vcc, s40, v6
	v_addc_co_u32_e32 v21, vcc, v7, v19, vcc
	global_load_dwordx4 v[20:23], v[20:21], off
	v_add_u32_e32 v19, 0x2100, v18
	s_waitcnt vmcnt(0)
	ds_write2_b64 v19, v[20:21], v[22:23] offset1:1
.LBB124_53:
	s_or_b64 exec, exec, s[34:35]
	v_add_u32_e32 v19, 24, v12
	v_cmp_le_i32_e32 vcc, s25, v19
	s_and_saveexec_b64 s[34:35], vcc
	s_xor_b64 s[34:35], exec, s[34:35]
	s_cbranch_execz .LBB124_55
; %bb.54:
	v_mov_b32_e32 v20, 0
	v_mov_b32_e32 v21, v20
	;; [unrolled: 1-line block ×4, first 2 shown]
	ds_write_b128 v18, v[20:23] offset:12672
                                        ; implicit-def: $vgpr18
.LBB124_55:
	s_andn2_saveexec_b64 s[34:35], s[34:35]
	s_cbranch_execz .LBB124_57
; %bb.56:
	v_mov_b32_e32 v19, 0x180
	v_mad_u64_u32 v[20:21], s[40:41], s20, v19, v[6:7]
	v_add_u32_e32 v21, s39, v21
	global_load_dwordx4 v[20:23], v[20:21], off
	v_add_u32_e32 v18, 0x3180, v18
	s_waitcnt vmcnt(0)
	ds_write2_b64 v18, v[20:21], v[22:23] offset1:1
.LBB124_57:
	s_or_b64 exec, exec, s[34:35]
	v_add_co_u32_e32 v6, vcc, v6, v13
	v_addc_co_u32_e32 v7, vcc, 0, v7, vcc
	v_mov_b32_e32 v18, s31
	v_subrev_co_u32_e32 v6, vcc, s30, v6
	v_subb_co_u32_e32 v7, vcc, v7, v18, vcc
	v_add_co_u32_e32 v6, vcc, 0x210, v6
	v_addc_co_u32_e32 v7, vcc, 0, v7, vcc
	v_cndmask_b32_e64 v7, v7, v9, s[14:15]
	v_cndmask_b32_e64 v6, v6, v8, s[14:15]
	s_branch .LBB124_60
.LBB124_58:
                                        ; implicit-def: $vgpr6_vgpr7
	s_cbranch_execz .LBB124_60
; %bb.59:
	s_lshl_b64 s[14:15], s[20:21], 7
	v_mov_b32_e32 v22, s15
	v_add_co_u32_e32 v6, vcc, s14, v10
	v_addc_co_u32_e32 v7, vcc, v11, v22, vcc
	global_load_dwordx4 v[18:21], v[8:9], off
	global_load_dwordx4 v[26:29], v[6:7], off offset:512
	v_add_co_u32_e32 v6, vcc, s14, v6
	v_addc_co_u32_e32 v7, vcc, v7, v22, vcc
	v_mov_b32_e32 v22, 0x180
	v_mad_u64_u32 v[10:11], s[14:15], s20, v22, v[10:11]
	v_add_u32_e32 v11, s39, v11
	global_load_dwordx4 v[30:33], v[6:7], off offset:512
	global_load_dwordx4 v[46:49], v[10:11], off offset:512
	v_add_lshl_u32 v6, v5, v4, 4
	v_add_u32_e32 v7, 0x1080, v6
	v_add_u32_e32 v10, 0x2100, v6
	;; [unrolled: 1-line block ×3, first 2 shown]
	s_waitcnt vmcnt(3)
	ds_write2_b64 v6, v[18:19], v[20:21] offset1:1
	s_waitcnt vmcnt(2)
	ds_write2_b64 v7, v[26:27], v[28:29] offset1:1
	s_waitcnt vmcnt(1)
	ds_write2_b64 v10, v[30:31], v[32:33] offset1:1
	s_waitcnt vmcnt(0)
	ds_write2_b64 v11, v[46:47], v[48:49] offset1:1
	v_pk_mov_b32 v[6:7], v[8:9], v[8:9] op_sel:[0,1]
.LBB124_60:
	s_waitcnt lgkmcnt(0)
	s_barrier
	s_and_saveexec_b64 s[14:15], s[16:17]
	s_cbranch_execnz .LBB124_85
; %bb.61:
	s_or_b64 exec, exec, s[14:15]
	s_and_saveexec_b64 s[14:15], s[8:9]
	s_cbranch_execnz .LBB124_86
.LBB124_62:
	s_or_b64 exec, exec, s[14:15]
	s_and_saveexec_b64 s[8:9], s[10:11]
	s_cbranch_execnz .LBB124_87
.LBB124_63:
	s_or_b64 exec, exec, s[8:9]
	v_add_u32_e32 v26, 0x4700, v17
	s_and_saveexec_b64 s[8:9], s[12:13]
	s_cbranch_execz .LBB124_65
.LBB124_64:
	ds_read_b128 v[8:11], v15
	s_waitcnt lgkmcnt(0)
	ds_write_b128 v16, v[8:11] offset:48
.LBB124_65:
	s_or_b64 exec, exec, s[8:9]
	s_waitcnt lgkmcnt(0)
	s_barrier
	ds_read_b128 v[8:11], v26 offset:512
	ds_read_b128 v[16:19], v24
	ds_read_b128 v[20:23], v26 offset:528
	ds_read_b128 v[28:31], v26 offset:544
	v_cmp_eq_u32_e64 s[8:9], 1, v12
	s_waitcnt lgkmcnt(2)
	v_mul_f64 v[32:33], v[10:11], v[18:19]
	v_fma_f64 v[40:41], v[8:9], v[16:17], -v[32:33]
	ds_read_b128 v[32:35], v26 offset:560
	ds_read_b128 v[46:49], v25
	v_mul_f64 v[8:9], v[8:9], v[18:19]
	v_fmac_f64_e32 v[8:9], v[10:11], v[16:17]
	v_add_f64 v[18:19], v[8:9], 0
	v_add_f64 v[16:17], v[40:41], 0
	s_waitcnt lgkmcnt(0)
	v_mul_f64 v[8:9], v[22:23], v[48:49]
	v_fma_f64 v[40:41], v[20:21], v[46:47], -v[8:9]
	v_mul_f64 v[20:21], v[20:21], v[48:49]
	ds_read_b128 v[8:11], v25 offset:528
	v_fmac_f64_e32 v[20:21], v[22:23], v[46:47]
	v_add_f64 v[22:23], v[16:17], v[40:41]
	v_add_f64 v[20:21], v[18:19], v[20:21]
	ds_read_b128 v[16:19], v15
	s_waitcnt lgkmcnt(1)
	v_mul_f64 v[40:41], v[30:31], v[10:11]
	v_mul_f64 v[10:11], v[28:29], v[10:11]
	v_fmac_f64_e32 v[10:11], v[30:31], v[8:9]
	v_fma_f64 v[40:41], v[28:29], v[8:9], -v[40:41]
	v_add_f64 v[10:11], v[20:21], v[10:11]
	s_waitcnt lgkmcnt(0)
	v_mul_f64 v[20:21], v[34:35], v[18:19]
	v_mul_f64 v[18:19], v[32:33], v[18:19]
	v_add_f64 v[8:9], v[22:23], v[40:41]
	v_fma_f64 v[20:21], v[32:33], v[16:17], -v[20:21]
	v_fmac_f64_e32 v[18:19], v[34:35], v[16:17]
	v_add_f64 v[8:9], v[8:9], v[20:21]
	v_add_f64 v[10:11], v[10:11], v[18:19]
	s_barrier
	ds_write_b128 v44, v[8:11]
	s_waitcnt lgkmcnt(0)
	s_barrier
	s_and_saveexec_b64 s[10:11], s[8:9]
	s_cbranch_execz .LBB124_67
; %bb.66:
	ds_read_b128 v[0:3], v43
	ds_read_b128 v[8:11], v43 offset:16
	ds_read_b128 v[16:19], v43 offset:32
	;; [unrolled: 1-line block ×3, first 2 shown]
	s_waitcnt lgkmcnt(2)
	v_add_f64 v[0:1], v[8:9], v[0:1]
	v_add_f64 v[8:9], v[10:11], v[2:3]
	s_waitcnt lgkmcnt(1)
	v_add_f64 v[10:11], v[0:1], v[16:17]
	ds_read_b128 v[0:3], v43 offset:64
	v_add_f64 v[8:9], v[8:9], v[18:19]
	s_waitcnt lgkmcnt(1)
	v_add_f64 v[16:17], v[10:11], v[20:21]
	v_add_f64 v[20:21], v[8:9], v[22:23]
	ds_read_b128 v[8:11], v43 offset:80
	s_waitcnt lgkmcnt(1)
	v_add_f64 v[22:23], v[16:17], v[0:1]
	ds_read_b128 v[16:19], v43 offset:96
	v_add_f64 v[20:21], v[20:21], v[2:3]
	ds_read_b128 v[0:3], v43 offset:112
	s_waitcnt lgkmcnt(2)
	v_add_f64 v[8:9], v[22:23], v[8:9]
	v_add_f64 v[10:11], v[20:21], v[10:11]
	s_waitcnt lgkmcnt(1)
	v_add_f64 v[8:9], v[8:9], v[16:17]
	v_add_f64 v[10:11], v[10:11], v[18:19]
	;; [unrolled: 3-line block ×3, first 2 shown]
.LBB124_67:
	s_or_b64 exec, exec, s[10:11]
	v_add_co_u32_e32 v8, vcc, 0xfffffe00, v6
	v_addc_co_u32_e32 v9, vcc, -1, v7, vcc
	s_and_b64 vcc, exec, s[22:23]
	s_barrier
	s_cbranch_vccz .LBB124_88
; %bb.68:
	v_sub_co_u32_e32 v10, vcc, v6, v13
	s_ashr_i32 s25, s24, 31
	v_subbrev_co_u32_e32 v11, vcc, 0, v7, vcc
	s_lshl_b64 s[12:13], s[24:25], 4
	v_mov_b32_e32 v16, s13
	v_add_co_u32_e32 v10, vcc, s12, v10
	v_addc_co_u32_e32 v11, vcc, v11, v16, vcc
	v_add_co_u32_e32 v10, vcc, 0xfffffdf0, v10
	v_addc_co_u32_e32 v11, vcc, -1, v11, vcc
	v_cmp_gt_i32_e32 vcc, s24, v4
	s_sub_i32 s16, s24, 32
	v_cndmask_b32_e32 v11, v11, v9, vcc
	v_cndmask_b32_e32 v10, v10, v8, vcc
	v_cmp_le_i32_e64 s[10:11], s16, v12
	v_add_lshl_u32 v19, v5, v4, 4
	s_and_saveexec_b64 s[14:15], s[10:11]
	s_xor_b64 s[10:11], exec, s[14:15]
	s_cbranch_execz .LBB124_70
; %bb.69:
	v_mov_b32_e32 v20, 0
	v_mov_b32_e32 v21, v20
	;; [unrolled: 1-line block ×4, first 2 shown]
	ds_write_b128 v19, v[20:23]
.LBB124_70:
	s_andn2_saveexec_b64 s[10:11], s[10:11]
	s_cbranch_execz .LBB124_72
; %bb.71:
	global_load_dwordx4 v[20:23], v[10:11], off
	s_waitcnt vmcnt(0)
	ds_write2_b64 v19, v[20:21], v[22:23] offset1:1
.LBB124_72:
	s_or_b64 exec, exec, s[10:11]
	v_add_u32_e32 v16, 8, v12
	v_cmp_le_i32_e64 s[10:11], s16, v16
	s_and_saveexec_b64 s[14:15], s[10:11]
	s_xor_b64 s[10:11], exec, s[14:15]
	s_cbranch_execz .LBB124_74
; %bb.73:
	v_mul_u32_u24_e32 v17, 33, v16
	v_mov_b32_e32 v20, 0
	v_add_lshl_u32 v17, v17, v4, 4
	v_mov_b32_e32 v21, v20
	v_mov_b32_e32 v22, v20
	;; [unrolled: 1-line block ×3, first 2 shown]
	ds_write_b128 v17, v[20:23]
.LBB124_74:
	s_andn2_saveexec_b64 s[14:15], s[10:11]
	s_cbranch_execz .LBB124_76
; %bb.75:
	s_lshl_b64 s[10:11], s[20:21], 7
	v_mov_b32_e32 v17, s11
	v_add_co_u32_e64 v20, s[10:11], s10, v10
	v_addc_co_u32_e64 v21, s[10:11], v11, v17, s[10:11]
	global_load_dwordx4 v[20:23], v[20:21], off
	v_add_u32_e32 v17, 0x1080, v19
	s_waitcnt vmcnt(0)
	ds_write2_b64 v17, v[20:21], v[22:23] offset1:1
.LBB124_76:
	s_or_b64 exec, exec, s[14:15]
	v_add_u32_e32 v17, 16, v12
	v_cmp_le_i32_e64 s[10:11], s16, v17
	s_and_saveexec_b64 s[14:15], s[10:11]
	s_xor_b64 s[10:11], exec, s[14:15]
	s_cbranch_execz .LBB124_78
; %bb.77:
	v_mov_b32_e32 v20, 0
	v_mov_b32_e32 v21, v20
	;; [unrolled: 1-line block ×4, first 2 shown]
	ds_write_b128 v19, v[20:23] offset:8448
.LBB124_78:
	s_andn2_saveexec_b64 s[14:15], s[10:11]
	s_cbranch_execz .LBB124_80
; %bb.79:
	s_lshl_b64 s[10:11], s[20:21], 8
	v_mov_b32_e32 v18, s11
	v_add_co_u32_e64 v20, s[10:11], s10, v10
	v_addc_co_u32_e64 v21, s[10:11], v11, v18, s[10:11]
	global_load_dwordx4 v[20:23], v[20:21], off
	v_add_u32_e32 v18, 0x2100, v19
	s_waitcnt vmcnt(0)
	ds_write2_b64 v18, v[20:21], v[22:23] offset1:1
.LBB124_80:
	s_or_b64 exec, exec, s[14:15]
	v_add_u32_e32 v18, 24, v12
	v_cmp_le_i32_e64 s[10:11], s16, v18
	s_and_saveexec_b64 s[14:15], s[10:11]
	s_xor_b64 s[10:11], exec, s[14:15]
	s_cbranch_execz .LBB124_82
; %bb.81:
	v_mov_b32_e32 v20, 0
	v_mov_b32_e32 v21, v20
	;; [unrolled: 1-line block ×4, first 2 shown]
	ds_write_b128 v19, v[20:23] offset:12672
                                        ; implicit-def: $vgpr19
.LBB124_82:
	s_andn2_saveexec_b64 s[10:11], s[10:11]
	s_cbranch_execz .LBB124_84
; %bb.83:
	v_mov_b32_e32 v20, 0x180
	v_mad_u64_u32 v[20:21], s[14:15], s20, v20, v[10:11]
	v_add_u32_e32 v21, s39, v21
	global_load_dwordx4 v[20:23], v[20:21], off
	v_add_u32_e32 v19, 0x3180, v19
	s_waitcnt vmcnt(0)
	ds_write2_b64 v19, v[20:21], v[22:23] offset1:1
.LBB124_84:
	s_or_b64 exec, exec, s[10:11]
	v_add_co_u32_e64 v10, s[10:11], v10, v13
	v_addc_co_u32_e64 v11, s[10:11], 0, v11, s[10:11]
	v_mov_b32_e32 v13, s13
	v_subrev_co_u32_e64 v10, s[10:11], s12, v10
	v_subb_co_u32_e64 v11, s[10:11], v11, v13, s[10:11]
	v_add_co_u32_e64 v10, s[10:11], 16, v10
	v_addc_co_u32_e64 v11, s[10:11], 0, v11, s[10:11]
	v_cndmask_b32_e32 v41, v11, v9, vcc
	v_cndmask_b32_e32 v40, v10, v8, vcc
	s_branch .LBB124_90
.LBB124_85:
	ds_read_b128 v[8:11], v24
	s_waitcnt lgkmcnt(0)
	ds_write_b128 v16, v[8:11]
	s_or_b64 exec, exec, s[14:15]
	s_and_saveexec_b64 s[14:15], s[8:9]
	s_cbranch_execz .LBB124_62
.LBB124_86:
	ds_read_b128 v[8:11], v25
	s_waitcnt lgkmcnt(0)
	ds_write_b128 v16, v[8:11] offset:16
	s_or_b64 exec, exec, s[14:15]
	s_and_saveexec_b64 s[8:9], s[10:11]
	s_cbranch_execz .LBB124_63
.LBB124_87:
	v_add_u32_e32 v8, 0x210, v25
	ds_read_b128 v[8:11], v8
	s_waitcnt lgkmcnt(0)
	ds_write_b128 v16, v[8:11] offset:32
	s_or_b64 exec, exec, s[8:9]
	v_add_u32_e32 v26, 0x4700, v17
	s_and_saveexec_b64 s[8:9], s[12:13]
	s_cbranch_execnz .LBB124_64
	s_branch .LBB124_65
.LBB124_88:
                                        ; implicit-def: $vgpr40_vgpr41
                                        ; implicit-def: $vgpr16
                                        ; implicit-def: $vgpr17
                                        ; implicit-def: $vgpr18
	s_cbranch_execz .LBB124_90
; %bb.89:
	s_lshl_b64 s[10:11], s[20:21], 7
	v_mov_b32_e32 v13, s11
	v_add_co_u32_e32 v10, vcc, s10, v6
	v_addc_co_u32_e32 v11, vcc, v7, v13, vcc
	global_load_dwordx4 v[20:23], v[8:9], off
	global_load_dwordx4 v[28:31], v[10:11], off offset:-512
	v_add_co_u32_e32 v10, vcc, s10, v10
	v_addc_co_u32_e32 v11, vcc, v11, v13, vcc
	v_mov_b32_e32 v13, 0x180
	v_mad_u64_u32 v[6:7], s[10:11], s20, v13, v[6:7]
	v_add_u32_e32 v7, s39, v7
	global_load_dwordx4 v[32:35], v[10:11], off offset:-512
	global_load_dwordx4 v[46:49], v[6:7], off offset:-512
	v_add_lshl_u32 v4, v5, v4, 4
	v_add_u32_e32 v16, 8, v12
	v_add_u32_e32 v17, 16, v12
	;; [unrolled: 1-line block ×3, first 2 shown]
	v_pk_mov_b32 v[40:41], v[8:9], v[8:9] op_sel:[0,1]
	v_add_u32_e32 v5, 0x1080, v4
	v_add_u32_e32 v6, 0x2100, v4
	;; [unrolled: 1-line block ×3, first 2 shown]
	s_waitcnt vmcnt(3)
	ds_write2_b64 v4, v[20:21], v[22:23] offset1:1
	s_waitcnt vmcnt(2)
	ds_write2_b64 v5, v[28:29], v[30:31] offset1:1
	s_waitcnt vmcnt(1)
	ds_write2_b64 v6, v[32:33], v[34:35] offset1:1
	s_waitcnt vmcnt(0)
	ds_write2_b64 v7, v[46:47], v[48:49] offset1:1
.LBB124_90:
	v_lshlrev_b32_e32 v4, 4, v12
	s_waitcnt lgkmcnt(0)
	s_barrier
	ds_read_b128 v[46:49], v44
	ds_read_b128 v[50:53], v4 offset:18176
	v_add_lshl_u32 v4, v16, v14, 4
	v_lshlrev_b32_e32 v10, 4, v16
	ds_read_b128 v[54:57], v4
	ds_read_b128 v[4:7], v25 offset:528
	ds_read_b128 v[58:61], v10 offset:18176
	s_waitcnt lgkmcnt(3)
	v_mul_f64 v[8:9], v[48:49], v[52:53]
	v_add_lshl_u32 v10, v17, v14, 4
	v_lshlrev_b32_e32 v12, 4, v17
	v_fma_f64 v[8:9], v[46:47], v[50:51], -v[8:9]
	ds_read_b128 v[62:65], v10
	ds_read_b128 v[66:69], v12 offset:18176
	s_waitcnt lgkmcnt(2)
	v_mul_f64 v[10:11], v[56:57], v[60:61]
	v_add_f64 v[8:9], v[8:9], 0
	v_fma_f64 v[10:11], v[54:55], v[58:59], -v[10:11]
	v_add_f64 v[8:9], v[8:9], v[10:11]
	v_add_lshl_u32 v10, v18, v14, 4
	v_lshlrev_b32_e32 v12, 4, v18
	v_mul_f64 v[74:75], v[46:47], v[52:53]
	v_mul_f64 v[60:61], v[54:55], v[60:61]
	ds_read_b128 v[52:55], v10
	ds_read_b128 v[70:73], v12 offset:18176
	s_waitcnt lgkmcnt(2)
	v_mul_f64 v[10:11], v[64:65], v[68:69]
	v_fma_f64 v[10:11], v[62:63], v[66:67], -v[10:11]
	v_add_f64 v[12:13], v[8:9], v[10:11]
	ds_read_b128 v[8:11], v15
	s_waitcnt lgkmcnt(1)
	v_mul_f64 v[14:15], v[54:55], v[72:73]
	v_fma_f64 v[14:15], v[52:53], v[70:71], -v[14:15]
	v_add_f64 v[46:47], v[12:13], v[14:15]
	ds_read_b128 v[20:23], v26 offset:528
	ds_read_b128 v[16:19], v26 offset:544
	;; [unrolled: 1-line block ×3, first 2 shown]
	ds_read_b128 v[32:35], v24
	ds_read_b128 v[12:15], v26 offset:560
	ds_read_b128 v[24:27], v25
	v_fmac_f64_e32 v[74:75], v[48:49], v[50:51]
	v_mul_f64 v[62:63], v[62:63], v[68:69]
	v_add_f64 v[48:49], v[74:75], 0
	v_fmac_f64_e32 v[60:61], v[56:57], v[58:59]
	v_mul_f64 v[52:53], v[52:53], v[72:73]
	v_add_f64 v[48:49], v[48:49], v[60:61]
	v_fmac_f64_e32 v[62:63], v[64:65], v[66:67]
	v_add_f64 v[48:49], v[48:49], v[62:63]
	v_fmac_f64_e32 v[52:53], v[54:55], v[70:71]
	v_add_f64 v[48:49], v[48:49], v[52:53]
	s_waitcnt lgkmcnt(0)
	s_barrier
	ds_write_b128 v44, v[46:49]
	s_waitcnt lgkmcnt(0)
	s_barrier
	s_and_saveexec_b64 s[10:11], s[8:9]
	s_cbranch_execz .LBB124_92
; %bb.91:
	ds_read_b128 v[46:49], v43
	ds_read_b128 v[50:53], v43 offset:16
	ds_read_b128 v[54:57], v43 offset:32
	ds_read_b128 v[58:61], v43 offset:48
	s_waitcnt lgkmcnt(3)
	v_add_f64 v[0:1], v[0:1], v[46:47]
	v_add_f64 v[2:3], v[2:3], v[48:49]
	s_waitcnt lgkmcnt(2)
	v_add_f64 v[0:1], v[0:1], v[50:51]
	v_add_f64 v[46:47], v[2:3], v[52:53]
	s_waitcnt lgkmcnt(1)
	v_add_f64 v[48:49], v[0:1], v[54:55]
	ds_read_b128 v[0:3], v43 offset:64
	v_add_f64 v[46:47], v[46:47], v[56:57]
	s_waitcnt lgkmcnt(1)
	v_add_f64 v[50:51], v[48:49], v[58:59]
	v_add_f64 v[54:55], v[46:47], v[60:61]
	ds_read_b128 v[46:49], v43 offset:80
	s_waitcnt lgkmcnt(1)
	v_add_f64 v[56:57], v[50:51], v[0:1]
	ds_read_b128 v[50:53], v43 offset:96
	v_add_f64 v[54:55], v[54:55], v[2:3]
	ds_read_b128 v[0:3], v43 offset:112
	s_waitcnt lgkmcnt(2)
	v_add_f64 v[46:47], v[56:57], v[46:47]
	v_add_f64 v[48:49], v[54:55], v[48:49]
	s_waitcnt lgkmcnt(1)
	v_add_f64 v[46:47], v[46:47], v[50:51]
	v_add_f64 v[48:49], v[48:49], v[52:53]
	;; [unrolled: 3-line block ×3, first 2 shown]
.LBB124_92:
	s_or_b64 exec, exec, s[10:11]
	v_mul_f64 v[46:47], v[30:31], v[34:35]
	v_fma_f64 v[46:47], v[28:29], v[32:33], -v[46:47]
	v_mul_f64 v[28:29], v[28:29], v[34:35]
	v_fmac_f64_e32 v[28:29], v[30:31], v[32:33]
	v_mul_f64 v[32:33], v[22:23], v[26:27]
	v_fma_f64 v[32:33], v[20:21], v[24:25], -v[32:33]
	v_mul_f64 v[20:21], v[20:21], v[26:27]
	v_add_f64 v[30:31], v[46:47], 0
	v_add_f64 v[28:29], v[28:29], 0
	v_fmac_f64_e32 v[20:21], v[22:23], v[24:25]
	v_mul_f64 v[24:25], v[18:19], v[6:7]
	v_mul_f64 v[6:7], v[16:17], v[6:7]
	v_add_f64 v[22:23], v[30:31], v[32:33]
	v_add_f64 v[20:21], v[28:29], v[20:21]
	v_fma_f64 v[24:25], v[16:17], v[4:5], -v[24:25]
	v_fmac_f64_e32 v[6:7], v[18:19], v[4:5]
	v_mul_f64 v[16:17], v[14:15], v[10:11]
	v_mul_f64 v[10:11], v[12:13], v[10:11]
	v_add_f64 v[4:5], v[22:23], v[24:25]
	v_add_f64 v[6:7], v[20:21], v[6:7]
	v_fma_f64 v[16:17], v[12:13], v[8:9], -v[16:17]
	v_fmac_f64_e32 v[10:11], v[14:15], v[8:9]
	v_add_f64 v[4:5], v[4:5], v[16:17]
	v_add_f64 v[6:7], v[6:7], v[10:11]
	s_barrier
	ds_write_b128 v44, v[4:7]
	s_waitcnt lgkmcnt(0)
	s_barrier
	s_and_saveexec_b64 s[8:9], s[2:3]
	s_cbranch_execz .LBB124_94
; %bb.93:
	ds_read_b128 v[4:7], v43
	ds_read_b128 v[8:11], v43 offset:16
	ds_read_b128 v[12:15], v43 offset:32
	;; [unrolled: 1-line block ×3, first 2 shown]
	s_waitcnt lgkmcnt(3)
	v_add_f64 v[0:1], v[0:1], v[4:5]
	v_add_f64 v[2:3], v[2:3], v[6:7]
	s_waitcnt lgkmcnt(2)
	v_add_f64 v[0:1], v[0:1], v[8:9]
	v_add_f64 v[4:5], v[2:3], v[10:11]
	s_waitcnt lgkmcnt(1)
	v_add_f64 v[6:7], v[0:1], v[12:13]
	ds_read_b128 v[0:3], v43 offset:64
	v_add_f64 v[4:5], v[4:5], v[14:15]
	s_waitcnt lgkmcnt(1)
	v_add_f64 v[8:9], v[6:7], v[16:17]
	v_add_f64 v[12:13], v[4:5], v[18:19]
	ds_read_b128 v[4:7], v43 offset:80
	s_waitcnt lgkmcnt(1)
	v_add_f64 v[14:15], v[8:9], v[0:1]
	ds_read_b128 v[8:11], v43 offset:96
	v_add_f64 v[12:13], v[12:13], v[2:3]
	ds_read_b128 v[0:3], v43 offset:112
	s_waitcnt lgkmcnt(2)
	v_add_f64 v[4:5], v[14:15], v[4:5]
	v_add_f64 v[6:7], v[12:13], v[6:7]
	s_waitcnt lgkmcnt(1)
	v_add_f64 v[4:5], v[4:5], v[8:9]
	v_add_f64 v[6:7], v[6:7], v[10:11]
	;; [unrolled: 3-line block ×3, first 2 shown]
.LBB124_94:
	s_or_b64 exec, exec, s[8:9]
	s_load_dwordx2 s[2:3], s[4:5], 0x78
	s_mul_hi_u32 s4, s37, s7
	s_mul_i32 s38, s38, s7
	s_add_i32 s4, s4, s38
	s_mul_i32 s7, s37, s7
	s_mul_i32 s4, s4, s33
	s_mul_hi_u32 s5, s7, s33
	s_add_i32 s5, s5, s4
	s_mul_i32 s4, s7, s33
	s_lshl_b64 s[4:5], s[4:5], 4
	s_waitcnt lgkmcnt(0)
	s_add_u32 s4, s2, s4
	s_addc_u32 s5, s3, s5
	s_mul_hi_i32 s3, s37, s6
	s_mul_i32 s2, s37, s6
	s_lshl_b64 s[2:3], s[2:3], 4
	s_add_u32 s7, s4, s2
	s_addc_u32 s22, s5, s3
	s_add_i32 s2, s6, 1
	s_cmp_ge_u32 s2, s33
	v_lshlrev_b32_e32 v168, 4, v201
	s_barrier
	s_cbranch_scc1 .LBB124_152
; %bb.95:
	s_mul_i32 s2, s26, s29
	s_mul_hi_u32 s3, s26, s28
	s_add_i32 s2, s3, s2
	s_mul_i32 s3, s27, s28
	s_add_i32 s3, s2, s3
	s_mul_i32 s2, s26, s28
	s_lshl_b64 s[2:3], s[2:3], 4
	v_mov_b32_e32 v4, s3
	v_subrev_co_u32_e32 v204, vcc, s2, v38
	v_and_b32_e32 v6, 48, v201
	v_subb_co_u32_e32 v205, vcc, v39, v4, vcc
	v_and_b32_e32 v4, 15, v201
	v_lshlrev_b32_e32 v7, 4, v6
	s_movk_i32 s4, 0x430
	v_lshrrev_b32_e32 v5, 4, v42
	v_mad_u32_u24 v208, v4, s4, v7
	v_or_b32_e32 v7, 0xf0, v168
	v_mad_u32_u24 v209, v4, s4, v7
	v_lshlrev_b32_e32 v7, 6, v5
	v_lshlrev_b32_e32 v10, 6, v202
	v_mad_u32_u24 v210, v4, s4, v7
	s_movk_i32 s4, 0x10c0
	v_mul_i32_i24_e32 v11, 0xffffffd0, v5
	v_add_u32_e32 v5, 0x200, v10
	v_mad_u32_u24 v215, v202, s4, v168
	v_or_b32_e32 v228, v6, v4
	v_mad_u64_u32 v[6:7], s[4:5], s20, v5, 0
	v_mov_b32_e32 v8, v7
	v_mad_u64_u32 v[8:9], s[4:5], s21, v5, v[8:9]
	v_mov_b32_e32 v5, v8
	v_sub_co_u32_e32 v6, vcc, v6, v36
	v_subb_co_u32_e32 v5, vcc, v5, v37, vcc
	v_add_co_u32_e32 v6, vcc, v40, v6
	v_addc_co_u32_e32 v5, vcc, v41, v5, vcc
	v_add_co_u32_e32 v170, vcc, 8, v6
	v_addc_co_u32_e32 v169, vcc, 0, v5, vcc
	v_add_u32_e32 v5, 0x530, v10
	v_mad_u64_u32 v[6:7], s[4:5], s20, v5, 0
	v_mov_b32_e32 v8, v7
	v_mad_u64_u32 v[8:9], s[4:5], s21, v5, v[8:9]
	v_mov_b32_e32 v5, v8
	v_sub_co_u32_e32 v6, vcc, v6, v36
	v_subb_co_u32_e32 v5, vcc, v5, v37, vcc
	v_add_co_u32_e32 v172, vcc, v40, v6
	v_addc_co_u32_e32 v171, vcc, v41, v5, vcc
	v_add_u32_e32 v5, 0x220, v10
	v_mad_u64_u32 v[6:7], s[4:5], s20, v5, 0
	v_mov_b32_e32 v8, v7
	v_mad_u64_u32 v[8:9], s[4:5], s21, v5, v[8:9]
	v_mov_b32_e32 v5, v8
	v_sub_co_u32_e32 v6, vcc, v6, v36
	v_subb_co_u32_e32 v5, vcc, v5, v37, vcc
	;; [unrolled: 9-line block ×4, first 2 shown]
	v_add_co_u32_e32 v6, vcc, v40, v6
	v_addc_co_u32_e32 v5, vcc, v41, v5, vcc
	v_add_co_u32_e32 v178, vcc, 8, v6
	v_addc_co_u32_e32 v177, vcc, 0, v5, vcc
	v_add_u32_e32 v5, 0x510, v10
	v_mad_u64_u32 v[6:7], s[4:5], s20, v5, 0
	v_mov_b32_e32 v8, v7
	v_mad_u64_u32 v[8:9], s[4:5], s21, v5, v[8:9]
	v_mov_b32_e32 v5, v8
	v_sub_co_u32_e32 v6, vcc, v6, v36
	v_subb_co_u32_e32 v5, vcc, v5, v37, vcc
	v_add_co_u32_e32 v180, vcc, v40, v6
	v_addc_co_u32_e32 v179, vcc, v41, v5, vcc
	v_add_u32_e32 v5, 0x230, v10
	v_mad_u64_u32 v[6:7], s[4:5], s20, v5, 0
	v_mov_b32_e32 v8, v7
	v_mad_u64_u32 v[8:9], s[4:5], s21, v5, v[8:9]
	v_mov_b32_e32 v5, v8
	v_sub_co_u32_e32 v6, vcc, v6, v36
	v_subb_co_u32_e32 v5, vcc, v5, v37, vcc
	v_add_co_u32_e32 v6, vcc, v40, v6
	v_addc_co_u32_e32 v5, vcc, v41, v5, vcc
	v_add_co_u32_e32 v182, vcc, 8, v6
	v_addc_co_u32_e32 v181, vcc, 0, v5, vcc
	v_add_u32_e32 v5, 0x500, v10
	v_mad_u64_u32 v[6:7], s[4:5], s20, v5, 0
	v_mov_b32_e32 v8, v7
	v_mad_u64_u32 v[8:9], s[4:5], s21, v5, v[8:9]
	v_mov_b32_e32 v5, v8
	v_sub_co_u32_e32 v6, vcc, v6, v36
	v_subb_co_u32_e32 v5, vcc, v5, v37, vcc
	v_add_co_u32_e32 v184, vcc, v40, v6
	v_addc_co_u32_e32 v183, vcc, v41, v5, vcc
	v_add_u32_e32 v5, 0x300, v10
	v_mad_u64_u32 v[6:7], s[4:5], s20, v5, 0
	v_mov_b32_e32 v8, v7
	v_mad_u64_u32 v[8:9], s[4:5], s21, v5, v[8:9]
	v_mov_b32_e32 v5, v8
	v_sub_co_u32_e32 v6, vcc, v6, v36
	v_subb_co_u32_e32 v5, vcc, v5, v37, vcc
	;; [unrolled: 20-line block ×5, first 2 shown]
	v_add_co_u32_e32 v6, vcc, v40, v6
	v_addc_co_u32_e32 v5, vcc, v41, v5, vcc
	v_add_co_u32_e32 v198, vcc, 8, v6
	v_addc_co_u32_e32 v197, vcc, 0, v5, vcc
	v_add_u32_e32 v5, 0x400, v10
	v_mad_u64_u32 v[6:7], s[4:5], s20, v5, 0
	v_mov_b32_e32 v8, v7
	v_mad_u64_u32 v[8:9], s[4:5], s21, v5, v[8:9]
	v_mov_b32_e32 v5, v8
	v_sub_co_u32_e32 v6, vcc, v6, v36
	v_subb_co_u32_e32 v5, vcc, v5, v37, vcc
	v_add_co_u32_e32 v6, vcc, v40, v6
	v_addc_co_u32_e32 v5, vcc, v41, v5, vcc
	v_lshlrev_b32_e32 v203, 2, v202
	v_add_co_u32_e32 v200, vcc, 8, v6
	s_add_i32 s23, s33, -2
	v_add_u32_e32 v206, 0x4300, v168
	v_add_u32_e32 v207, 0x4700, v168
	v_cmp_gt_u32_e64 s[2:3], 64, v42
	v_or_b32_e32 v211, 1, v203
	v_or_b32_e32 v212, 2, v203
	;; [unrolled: 1-line block ×3, first 2 shown]
	v_add_u32_e32 v214, 0x4300, v10
	v_add_u32_e32 v216, 16, v203
	;; [unrolled: 1-line block ×13, first 2 shown]
	s_add_i32 s25, s26, 64
	v_mov_b32_e32 v4, 0
	s_lshl_b64 s[10:11], s[20:21], 10
	v_addc_co_u32_e32 v199, vcc, 0, v5, vcc
	v_add_u32_e32 v229, v210, v11
	s_cmp_eq_u32 s23, s6
	s_cselect_b32 s20, s36, 0
	s_and_saveexec_b64 s[4:5], s[0:1]
	s_cbranch_execz .LBB124_100
.LBB124_96:
	s_cmp_lg_u32 s20, 0
	s_cselect_b64 s[8:9], -1, 0
	v_cmp_le_i32_e32 vcc, s20, v201
	s_and_b64 s[8:9], s[8:9], vcc
	s_and_saveexec_b64 s[12:13], s[8:9]
	s_xor_b64 s[8:9], exec, s[12:13]
	s_cbranch_execz .LBB124_98
; %bb.97:
	v_mov_b32_e32 v5, v4
	v_mov_b32_e32 v6, v4
	;; [unrolled: 1-line block ×3, first 2 shown]
	ds_write_b128 v206, v[4:7]
.LBB124_98:
	s_andn2_saveexec_b64 s[8:9], s[8:9]
	s_cbranch_execz .LBB124_100
; %bb.99:
	s_ashr_i32 s8, s25, 31
	s_mul_i32 s9, s25, s29
	s_mul_hi_u32 s12, s25, s28
	s_add_i32 s9, s12, s9
	s_mul_i32 s8, s8, s28
	s_add_i32 s9, s9, s8
	s_mul_i32 s8, s25, s28
	s_lshl_b64 s[8:9], s[8:9], 4
	v_mov_b32_e32 v5, s9
	v_add_co_u32_e32 v6, vcc, s8, v204
	v_addc_co_u32_e32 v7, vcc, v205, v5, vcc
	global_load_dwordx4 v[6:9], v[6:7], off
	s_waitcnt vmcnt(0)
	ds_write2_b64 v206, v[6:7], v[8:9] offset1:1
.LBB124_100:                            ; =>This Inner Loop Header: Depth=1
	s_or_b64 exec, exec, s[4:5]
	s_cmp_eq_u32 s20, 0
	v_add_co_u32_e32 v18, vcc, v170, v168
	s_cselect_b64 s[12:13], -1, 0
	s_cmp_lg_u32 s20, 0
	v_addc_co_u32_e32 v19, vcc, 0, v169, vcc
	s_cselect_b64 s[8:9], -1, 0
	s_and_b64 vcc, exec, s[8:9]
	s_waitcnt lgkmcnt(0)
	s_barrier
	s_cbranch_vccz .LBB124_108
; %bb.101:                              ;   in Loop: Header=BB124_100 Depth=1
	v_pk_mov_b32 v[10:11], 0, 0
	v_cmp_gt_i32_e32 vcc, s20, v203
	v_pk_mov_b32 v[6:7], v[10:11], v[10:11] op_sel:[0,1]
	v_pk_mov_b32 v[8:9], v[10:11], v[10:11] op_sel:[0,1]
	s_and_saveexec_b64 s[4:5], vcc
	s_cbranch_execz .LBB124_103
; %bb.102:                              ;   in Loop: Header=BB124_100 Depth=1
	global_load_dwordx4 v[6:9], v[18:19], off offset:-8
.LBB124_103:                            ;   in Loop: Header=BB124_100 Depth=1
	s_or_b64 exec, exec, s[4:5]
	v_cmp_gt_i32_e32 vcc, s20, v211
	v_pk_mov_b32 v[12:13], v[10:11], v[10:11] op_sel:[0,1]
	s_and_saveexec_b64 s[4:5], vcc
	s_cbranch_execz .LBB124_105
; %bb.104:                              ;   in Loop: Header=BB124_100 Depth=1
	v_add_co_u32_e32 v10, vcc, v178, v168
	v_addc_co_u32_e32 v11, vcc, 0, v177, vcc
	global_load_dwordx4 v[10:13], v[10:11], off offset:-8
.LBB124_105:                            ;   in Loop: Header=BB124_100 Depth=1
	s_or_b64 exec, exec, s[4:5]
	v_pk_mov_b32 v[14:15], 0, 0
	v_cmp_gt_i32_e32 vcc, s20, v212
	s_mov_b64 s[16:17], 0
	v_pk_mov_b32 v[16:17], v[14:15], v[14:15] op_sel:[0,1]
	s_and_saveexec_b64 s[4:5], vcc
	s_cbranch_execz .LBB124_107
; %bb.106:                              ;   in Loop: Header=BB124_100 Depth=1
	v_add_co_u32_e32 v14, vcc, v174, v168
	v_addc_co_u32_e32 v15, vcc, 0, v173, vcc
	global_load_dwordx4 v[14:17], v[14:15], off
.LBB124_107:                            ;   in Loop: Header=BB124_100 Depth=1
	s_or_b64 exec, exec, s[4:5]
	v_cmp_gt_i32_e64 s[4:5], s20, v213
	s_mov_b64 s[14:15], 0
	s_and_b64 vcc, exec, s[16:17]
	s_cbranch_vccnz .LBB124_109
	s_branch .LBB124_110
.LBB124_108:                            ;   in Loop: Header=BB124_100 Depth=1
	s_mov_b64 s[4:5], 0
                                        ; implicit-def: $sgpr14_sgpr15
                                        ; implicit-def: $vgpr16_vgpr17
                                        ; implicit-def: $vgpr12_vgpr13
                                        ; implicit-def: $vgpr8_vgpr9
	s_cbranch_execz .LBB124_110
.LBB124_109:                            ;   in Loop: Header=BB124_100 Depth=1
	s_waitcnt vmcnt(0)
	v_add_co_u32_e32 v10, vcc, v178, v168
	v_addc_co_u32_e32 v11, vcc, 0, v177, vcc
	v_add_co_u32_e32 v14, vcc, v174, v168
	v_addc_co_u32_e32 v15, vcc, 0, v173, vcc
	global_load_dwordx4 v[6:9], v[18:19], off offset:-8
	s_or_b64 s[4:5], s[4:5], exec
	global_load_dwordx4 v[10:13], v[10:11], off offset:-8
                                        ; implicit-def: $sgpr14_sgpr15
	s_nop 0
	global_load_dwordx4 v[14:17], v[14:15], off
.LBB124_110:                            ;   in Loop: Header=BB124_100 Depth=1
	v_pk_mov_b32 v[18:19], s[14:15], s[14:15] op_sel:[0,1]
	v_pk_mov_b32 v[20:21], s[14:15], s[14:15] op_sel:[0,1]
	s_and_saveexec_b64 s[14:15], s[4:5]
	s_cbranch_execz .LBB124_112
; %bb.111:                              ;   in Loop: Header=BB124_100 Depth=1
	v_add_co_u32_e32 v18, vcc, v182, v168
	v_addc_co_u32_e32 v19, vcc, 0, v181, vcc
	global_load_dwordx4 v[18:21], v[18:19], off offset:-8
.LBB124_112:                            ;   in Loop: Header=BB124_100 Depth=1
	s_or_b64 exec, exec, s[14:15]
	ds_read_b128 v[34:37], v207
	ds_read_b128 v[22:25], v214
	v_cndmask_b32_e64 v5, 0, 1, s[8:9]
	s_andn2_b64 vcc, exec, s[8:9]
	v_add_co_u32_e64 v50, s[8:9], v186, v168
	s_waitcnt vmcnt(0) lgkmcnt(1)
	v_mul_f64 v[26:27], v[8:9], v[36:37]
	v_mul_f64 v[28:29], v[6:7], v[36:37]
	v_mul_f64 v[30:31], v[12:13], v[36:37]
	v_fma_f64 v[26:27], v[6:7], v[34:35], -v[26:27]
	v_fmac_f64_e32 v[28:29], v[8:9], v[34:35]
	v_mul_f64 v[32:33], v[10:11], v[36:37]
	ds_write_b128 v215, v[26:29]
	v_fma_f64 v[30:31], v[10:11], v[34:35], -v[30:31]
	v_fmac_f64_e32 v[32:33], v[12:13], v[34:35]
	v_mul_f64 v[38:39], v[16:17], v[36:37]
	v_mul_f64 v[40:41], v[14:15], v[36:37]
	ds_read_b128 v[26:29], v214 offset:16
	ds_write_b128 v215, v[30:33] offset:1072
	v_fma_f64 v[38:39], v[14:15], v[34:35], -v[38:39]
	v_fmac_f64_e32 v[40:41], v[16:17], v[34:35]
	v_mul_f64 v[42:43], v[20:21], v[36:37]
	v_mul_f64 v[44:45], v[18:19], v[36:37]
	ds_read_b128 v[30:33], v214 offset:32
	ds_write_b128 v215, v[38:41] offset:2144
	v_fma_f64 v[42:43], v[18:19], v[34:35], -v[42:43]
	v_fmac_f64_e32 v[44:45], v[20:21], v[34:35]
	ds_read_b128 v[38:41], v214 offset:48
	ds_write_b128 v215, v[42:45] offset:3216
	s_waitcnt lgkmcnt(0)
	s_barrier
	ds_read_b128 v[94:97], v210
	ds_read_b128 v[90:93], v210 offset:16
	ds_read_b128 v[86:89], v210 offset:32
	;; [unrolled: 1-line block ×3, first 2 shown]
	v_cmp_ne_u32_e64 s[4:5], 1, v5
	v_addc_co_u32_e64 v51, s[8:9], 0, v185, s[8:9]
	s_waitcnt lgkmcnt(0)
	s_barrier
	s_cbranch_vccnz .LBB124_120
; %bb.113:                              ;   in Loop: Header=BB124_100 Depth=1
	v_pk_mov_b32 v[42:43], 0, 0
	v_cmp_gt_i32_e32 vcc, s20, v216
	v_pk_mov_b32 v[34:35], v[42:43], v[42:43] op_sel:[0,1]
	v_pk_mov_b32 v[36:37], v[42:43], v[42:43] op_sel:[0,1]
	s_and_saveexec_b64 s[8:9], vcc
	s_cbranch_execz .LBB124_115
; %bb.114:                              ;   in Loop: Header=BB124_100 Depth=1
	global_load_dwordx4 v[34:37], v[50:51], off offset:-8
.LBB124_115:                            ;   in Loop: Header=BB124_100 Depth=1
	s_or_b64 exec, exec, s[8:9]
	v_cmp_gt_i32_e32 vcc, s20, v217
	v_pk_mov_b32 v[44:45], v[42:43], v[42:43] op_sel:[0,1]
	s_and_saveexec_b64 s[8:9], vcc
	s_cbranch_execz .LBB124_117
; %bb.116:                              ;   in Loop: Header=BB124_100 Depth=1
	v_add_co_u32_e32 v42, vcc, v190, v168
	v_addc_co_u32_e32 v43, vcc, 0, v189, vcc
	global_load_dwordx4 v[42:45], v[42:43], off offset:-8
.LBB124_117:                            ;   in Loop: Header=BB124_100 Depth=1
	s_or_b64 exec, exec, s[8:9]
	v_pk_mov_b32 v[46:47], 0, 0
	v_cmp_gt_i32_e32 vcc, s20, v218
	s_mov_b64 s[16:17], 0
	v_pk_mov_b32 v[48:49], v[46:47], v[46:47] op_sel:[0,1]
	s_and_saveexec_b64 s[8:9], vcc
	s_cbranch_execz .LBB124_119
; %bb.118:                              ;   in Loop: Header=BB124_100 Depth=1
	v_add_co_u32_e32 v46, vcc, v194, v168
	v_addc_co_u32_e32 v47, vcc, 0, v193, vcc
	global_load_dwordx4 v[46:49], v[46:47], off offset:-8
.LBB124_119:                            ;   in Loop: Header=BB124_100 Depth=1
	s_or_b64 exec, exec, s[8:9]
	v_cmp_gt_i32_e64 s[8:9], s20, v219
	s_mov_b64 s[14:15], 0
	s_and_b64 vcc, exec, s[16:17]
	s_cbranch_vccnz .LBB124_121
	s_branch .LBB124_122
.LBB124_120:                            ;   in Loop: Header=BB124_100 Depth=1
	s_mov_b64 s[8:9], 0
                                        ; implicit-def: $sgpr14_sgpr15
                                        ; implicit-def: $vgpr48_vgpr49
                                        ; implicit-def: $vgpr44_vgpr45
                                        ; implicit-def: $vgpr36_vgpr37
	s_cbranch_execz .LBB124_122
.LBB124_121:                            ;   in Loop: Header=BB124_100 Depth=1
	s_waitcnt vmcnt(0)
	v_add_co_u32_e32 v42, vcc, v190, v168
	v_addc_co_u32_e32 v43, vcc, 0, v189, vcc
	v_add_co_u32_e32 v46, vcc, v194, v168
	v_addc_co_u32_e32 v47, vcc, 0, v193, vcc
	global_load_dwordx4 v[34:37], v[50:51], off offset:-8
	s_or_b64 s[8:9], s[8:9], exec
	global_load_dwordx4 v[42:45], v[42:43], off offset:-8
                                        ; implicit-def: $sgpr14_sgpr15
	s_nop 0
	global_load_dwordx4 v[46:49], v[46:47], off offset:-8
.LBB124_122:                            ;   in Loop: Header=BB124_100 Depth=1
	v_pk_mov_b32 v[50:51], s[14:15], s[14:15] op_sel:[0,1]
	v_pk_mov_b32 v[52:53], s[14:15], s[14:15] op_sel:[0,1]
	s_and_saveexec_b64 s[14:15], s[8:9]
	s_cbranch_execz .LBB124_124
; %bb.123:                              ;   in Loop: Header=BB124_100 Depth=1
	v_add_co_u32_e32 v50, vcc, v198, v168
	v_addc_co_u32_e32 v51, vcc, 0, v197, vcc
	global_load_dwordx4 v[50:53], v[50:51], off offset:-8
.LBB124_124:                            ;   in Loop: Header=BB124_100 Depth=1
	s_or_b64 exec, exec, s[14:15]
	ds_read_b128 v[66:69], v207
	ds_read_b128 v[54:57], v214 offset:256
	v_add_co_u32_e64 v98, s[8:9], v200, v168
	s_and_b64 vcc, exec, s[4:5]
	s_waitcnt vmcnt(0) lgkmcnt(1)
	v_mul_f64 v[58:59], v[36:37], v[68:69]
	v_mul_f64 v[60:61], v[34:35], v[68:69]
	;; [unrolled: 1-line block ×3, first 2 shown]
	v_fma_f64 v[58:59], v[34:35], v[66:67], -v[58:59]
	v_fmac_f64_e32 v[60:61], v[36:37], v[66:67]
	v_mul_f64 v[64:65], v[42:43], v[68:69]
	ds_write_b128 v215, v[58:61]
	v_fma_f64 v[62:63], v[42:43], v[66:67], -v[62:63]
	v_fmac_f64_e32 v[64:65], v[44:45], v[66:67]
	v_mul_f64 v[70:71], v[48:49], v[68:69]
	v_mul_f64 v[72:73], v[46:47], v[68:69]
	ds_read_b128 v[58:61], v214 offset:272
	ds_write_b128 v215, v[62:65] offset:1072
	v_fma_f64 v[70:71], v[46:47], v[66:67], -v[70:71]
	v_fmac_f64_e32 v[72:73], v[48:49], v[66:67]
	v_mul_f64 v[74:75], v[52:53], v[68:69]
	v_mul_f64 v[76:77], v[50:51], v[68:69]
	ds_read_b128 v[62:65], v214 offset:288
	ds_write_b128 v215, v[70:73] offset:2144
	v_fma_f64 v[74:75], v[50:51], v[66:67], -v[74:75]
	v_fmac_f64_e32 v[76:77], v[52:53], v[66:67]
	ds_read_b128 v[70:73], v214 offset:304
	ds_write_b128 v215, v[74:77] offset:3216
	s_waitcnt lgkmcnt(0)
	s_barrier
	ds_read_b128 v[146:149], v210
	ds_read_b128 v[142:145], v210 offset:16
	ds_read_b128 v[138:141], v210 offset:32
	;; [unrolled: 1-line block ×3, first 2 shown]
	v_addc_co_u32_e64 v99, s[8:9], 0, v199, s[8:9]
	s_waitcnt lgkmcnt(0)
	s_barrier
	s_cbranch_vccnz .LBB124_132
; %bb.125:                              ;   in Loop: Header=BB124_100 Depth=1
	v_pk_mov_b32 v[74:75], 0, 0
	v_cmp_gt_i32_e32 vcc, s20, v220
	v_pk_mov_b32 v[66:67], v[74:75], v[74:75] op_sel:[0,1]
	v_pk_mov_b32 v[68:69], v[74:75], v[74:75] op_sel:[0,1]
	s_and_saveexec_b64 s[8:9], vcc
	s_cbranch_execz .LBB124_127
; %bb.126:                              ;   in Loop: Header=BB124_100 Depth=1
	global_load_dwordx4 v[66:69], v[98:99], off offset:-8
.LBB124_127:                            ;   in Loop: Header=BB124_100 Depth=1
	s_or_b64 exec, exec, s[8:9]
	v_cmp_gt_i32_e32 vcc, s20, v221
	v_pk_mov_b32 v[76:77], v[74:75], v[74:75] op_sel:[0,1]
	s_and_saveexec_b64 s[8:9], vcc
	s_cbranch_execz .LBB124_129
; %bb.128:                              ;   in Loop: Header=BB124_100 Depth=1
	v_add_co_u32_e32 v74, vcc, v196, v168
	v_addc_co_u32_e32 v75, vcc, 0, v195, vcc
	global_load_dwordx4 v[74:77], v[74:75], off
.LBB124_129:                            ;   in Loop: Header=BB124_100 Depth=1
	s_or_b64 exec, exec, s[8:9]
	v_pk_mov_b32 v[78:79], 0, 0
	v_cmp_gt_i32_e32 vcc, s20, v222
	s_mov_b64 s[16:17], 0
	v_pk_mov_b32 v[80:81], v[78:79], v[78:79] op_sel:[0,1]
	s_and_saveexec_b64 s[8:9], vcc
	s_cbranch_execz .LBB124_131
; %bb.130:                              ;   in Loop: Header=BB124_100 Depth=1
	v_add_co_u32_e32 v78, vcc, v192, v168
	v_addc_co_u32_e32 v79, vcc, 0, v191, vcc
	global_load_dwordx4 v[78:81], v[78:79], off
.LBB124_131:                            ;   in Loop: Header=BB124_100 Depth=1
	s_or_b64 exec, exec, s[8:9]
	v_cmp_gt_i32_e64 s[8:9], s20, v223
	s_mov_b64 s[14:15], 0
	s_and_b64 vcc, exec, s[16:17]
	s_cbranch_vccnz .LBB124_133
	s_branch .LBB124_134
.LBB124_132:                            ;   in Loop: Header=BB124_100 Depth=1
	s_mov_b64 s[8:9], 0
                                        ; implicit-def: $sgpr14_sgpr15
                                        ; implicit-def: $vgpr80_vgpr81
                                        ; implicit-def: $vgpr76_vgpr77
                                        ; implicit-def: $vgpr68_vgpr69
	s_cbranch_execz .LBB124_134
.LBB124_133:                            ;   in Loop: Header=BB124_100 Depth=1
	s_waitcnt vmcnt(0)
	v_add_co_u32_e32 v74, vcc, v196, v168
	v_addc_co_u32_e32 v75, vcc, 0, v195, vcc
	v_add_co_u32_e32 v78, vcc, v192, v168
	v_addc_co_u32_e32 v79, vcc, 0, v191, vcc
	global_load_dwordx4 v[66:69], v[98:99], off offset:-8
	s_or_b64 s[8:9], s[8:9], exec
	global_load_dwordx4 v[74:77], v[74:75], off
                                        ; implicit-def: $sgpr14_sgpr15
	s_nop 0
	global_load_dwordx4 v[78:81], v[78:79], off
.LBB124_134:                            ;   in Loop: Header=BB124_100 Depth=1
	v_pk_mov_b32 v[98:99], s[14:15], s[14:15] op_sel:[0,1]
	v_pk_mov_b32 v[100:101], s[14:15], s[14:15] op_sel:[0,1]
	s_and_saveexec_b64 s[14:15], s[8:9]
	s_cbranch_execz .LBB124_136
; %bb.135:                              ;   in Loop: Header=BB124_100 Depth=1
	v_add_co_u32_e32 v98, vcc, v188, v168
	v_addc_co_u32_e32 v99, vcc, 0, v187, vcc
	global_load_dwordx4 v[98:101], v[98:99], off
.LBB124_136:                            ;   in Loop: Header=BB124_100 Depth=1
	s_or_b64 exec, exec, s[14:15]
	ds_read_b128 v[114:117], v207
	ds_read_b128 v[102:105], v214 offset:512
	s_and_b64 vcc, exec, s[4:5]
	v_add_co_u32_e64 v130, s[4:5], v184, v168
	s_waitcnt vmcnt(0) lgkmcnt(1)
	v_mul_f64 v[106:107], v[68:69], v[116:117]
	v_mul_f64 v[108:109], v[66:67], v[116:117]
	v_mul_f64 v[110:111], v[76:77], v[116:117]
	v_fma_f64 v[106:107], v[66:67], v[114:115], -v[106:107]
	v_fmac_f64_e32 v[108:109], v[68:69], v[114:115]
	v_mul_f64 v[112:113], v[74:75], v[116:117]
	ds_write_b128 v215, v[106:109]
	v_fma_f64 v[110:111], v[74:75], v[114:115], -v[110:111]
	v_fmac_f64_e32 v[112:113], v[76:77], v[114:115]
	v_mul_f64 v[118:119], v[80:81], v[116:117]
	v_mul_f64 v[120:121], v[78:79], v[116:117]
	ds_read_b128 v[106:109], v214 offset:528
	ds_write_b128 v215, v[110:113] offset:1072
	v_fma_f64 v[118:119], v[78:79], v[114:115], -v[118:119]
	v_fmac_f64_e32 v[120:121], v[80:81], v[114:115]
	v_mul_f64 v[122:123], v[100:101], v[116:117]
	v_mul_f64 v[124:125], v[98:99], v[116:117]
	ds_read_b128 v[110:113], v214 offset:544
	ds_write_b128 v215, v[118:121] offset:2144
	v_fma_f64 v[122:123], v[98:99], v[114:115], -v[122:123]
	v_fmac_f64_e32 v[124:125], v[100:101], v[114:115]
	ds_read_b128 v[118:121], v214 offset:560
	ds_write_b128 v215, v[122:125] offset:3216
	s_waitcnt lgkmcnt(0)
	s_barrier
	ds_read_b128 v[162:165], v210
	ds_read_b128 v[158:161], v210 offset:16
	ds_read_b128 v[154:157], v210 offset:32
	;; [unrolled: 1-line block ×3, first 2 shown]
	v_addc_co_u32_e64 v131, s[4:5], 0, v183, s[4:5]
	s_waitcnt lgkmcnt(0)
	s_barrier
	s_cbranch_vccnz .LBB124_144
; %bb.137:                              ;   in Loop: Header=BB124_100 Depth=1
	v_pk_mov_b32 v[122:123], 0, 0
	v_cmp_gt_i32_e32 vcc, s20, v224
	v_pk_mov_b32 v[114:115], v[122:123], v[122:123] op_sel:[0,1]
	v_pk_mov_b32 v[116:117], v[122:123], v[122:123] op_sel:[0,1]
	s_and_saveexec_b64 s[4:5], vcc
	s_cbranch_execz .LBB124_139
; %bb.138:                              ;   in Loop: Header=BB124_100 Depth=1
	global_load_dwordx4 v[114:117], v[130:131], off
.LBB124_139:                            ;   in Loop: Header=BB124_100 Depth=1
	s_or_b64 exec, exec, s[4:5]
	v_cmp_gt_i32_e32 vcc, s20, v225
	v_pk_mov_b32 v[124:125], v[122:123], v[122:123] op_sel:[0,1]
	s_and_saveexec_b64 s[4:5], vcc
	s_cbranch_execz .LBB124_141
; %bb.140:                              ;   in Loop: Header=BB124_100 Depth=1
	v_add_co_u32_e32 v122, vcc, v180, v168
	v_addc_co_u32_e32 v123, vcc, 0, v179, vcc
	global_load_dwordx4 v[122:125], v[122:123], off
.LBB124_141:                            ;   in Loop: Header=BB124_100 Depth=1
	s_or_b64 exec, exec, s[4:5]
	v_pk_mov_b32 v[126:127], 0, 0
	v_cmp_gt_i32_e32 vcc, s20, v226
	s_mov_b64 s[14:15], 0
	v_pk_mov_b32 v[128:129], v[126:127], v[126:127] op_sel:[0,1]
	s_and_saveexec_b64 s[4:5], vcc
	s_cbranch_execz .LBB124_143
; %bb.142:                              ;   in Loop: Header=BB124_100 Depth=1
	v_add_co_u32_e32 v126, vcc, v176, v168
	v_addc_co_u32_e32 v127, vcc, 0, v175, vcc
	global_load_dwordx4 v[126:129], v[126:127], off
.LBB124_143:                            ;   in Loop: Header=BB124_100 Depth=1
	s_or_b64 exec, exec, s[4:5]
	v_cmp_gt_i32_e64 s[4:5], s20, v227
	s_mov_b64 s[8:9], 0
	s_and_b64 vcc, exec, s[14:15]
	s_cbranch_vccnz .LBB124_145
	s_branch .LBB124_146
.LBB124_144:                            ;   in Loop: Header=BB124_100 Depth=1
	s_mov_b64 s[4:5], 0
                                        ; implicit-def: $sgpr8_sgpr9
                                        ; implicit-def: $vgpr128_vgpr129
                                        ; implicit-def: $vgpr124_vgpr125
                                        ; implicit-def: $vgpr116_vgpr117
	s_cbranch_execz .LBB124_146
.LBB124_145:                            ;   in Loop: Header=BB124_100 Depth=1
	s_waitcnt vmcnt(0)
	v_add_co_u32_e32 v122, vcc, v180, v168
	v_addc_co_u32_e32 v123, vcc, 0, v179, vcc
	v_add_co_u32_e32 v126, vcc, v176, v168
	v_addc_co_u32_e32 v127, vcc, 0, v175, vcc
	global_load_dwordx4 v[114:117], v[130:131], off
	s_or_b64 s[4:5], s[4:5], exec
	global_load_dwordx4 v[122:125], v[122:123], off
                                        ; implicit-def: $sgpr8_sgpr9
	s_nop 0
	global_load_dwordx4 v[126:129], v[126:127], off
.LBB124_146:                            ;   in Loop: Header=BB124_100 Depth=1
	v_pk_mov_b32 v[130:131], s[8:9], s[8:9] op_sel:[0,1]
	v_pk_mov_b32 v[132:133], s[8:9], s[8:9] op_sel:[0,1]
	s_and_saveexec_b64 s[8:9], s[4:5]
	s_cbranch_execz .LBB124_148
; %bb.147:                              ;   in Loop: Header=BB124_100 Depth=1
	v_add_co_u32_e32 v130, vcc, v172, v168
	v_addc_co_u32_e32 v131, vcc, 0, v171, vcc
	global_load_dwordx4 v[130:133], v[130:131], off
.LBB124_148:                            ;   in Loop: Header=BB124_100 Depth=1
	s_or_b64 exec, exec, s[8:9]
	v_add_f64 v[146:147], v[146:147], 0
	v_add_f64 v[148:149], v[148:149], 0
	;; [unrolled: 1-line block ×6, first 2 shown]
	ds_read_b128 v[142:145], v207
	v_add_f64 v[162:163], v[162:163], 0
	v_add_f64 v[94:95], v[94:95], 0
	;; [unrolled: 1-line block ×11, first 2 shown]
	ds_read_b128 v[86:89], v214 offset:768
	s_waitcnt vmcnt(0) lgkmcnt(1)
	v_mul_f64 v[90:91], v[116:117], v[144:145]
	v_mul_f64 v[92:93], v[114:115], v[144:145]
	v_fma_f64 v[90:91], v[114:115], v[142:143], -v[90:91]
	v_fmac_f64_e32 v[92:93], v[116:117], v[142:143]
	v_mul_f64 v[94:95], v[124:125], v[144:145]
	v_mul_f64 v[96:97], v[122:123], v[144:145]
	v_add_f64 v[138:139], v[138:139], v[134:135]
	v_add_f64 v[140:141], v[140:141], v[136:137]
	ds_write_b128 v215, v[90:93]
	v_fma_f64 v[94:95], v[122:123], v[142:143], -v[94:95]
	v_fmac_f64_e32 v[96:97], v[124:125], v[142:143]
	v_mul_f64 v[134:135], v[128:129], v[144:145]
	v_mul_f64 v[136:137], v[126:127], v[144:145]
	ds_read_b128 v[90:93], v214 offset:784
	ds_write_b128 v215, v[94:97] offset:1072
	v_fma_f64 v[134:135], v[126:127], v[142:143], -v[134:135]
	v_fmac_f64_e32 v[136:137], v[128:129], v[142:143]
	v_mul_f64 v[146:147], v[132:133], v[144:145]
	v_mul_f64 v[148:149], v[130:131], v[144:145]
	ds_read_b128 v[94:97], v214 offset:800
	ds_write_b128 v215, v[134:137] offset:2144
	v_fma_f64 v[146:147], v[130:131], v[142:143], -v[146:147]
	v_fmac_f64_e32 v[148:149], v[132:133], v[142:143]
	v_add_f64 v[164:165], v[164:165], 0
	ds_read_b128 v[134:137], v214 offset:816
	ds_write_b128 v215, v[146:149] offset:3216
	s_waitcnt lgkmcnt(0)
	s_barrier
	ds_read_b128 v[142:145], v210
	v_add_f64 v[160:161], v[164:165], v[160:161]
	v_add_f64 v[156:157], v[160:161], v[156:157]
	;; [unrolled: 1-line block ×4, first 2 shown]
	ds_read_b128 v[146:149], v210 offset:16
	ds_read_b128 v[154:157], v210 offset:32
	;; [unrolled: 1-line block ×3, first 2 shown]
	s_waitcnt lgkmcnt(3)
	v_add_f64 v[142:143], v[142:143], 0
	v_add_f64 v[144:145], v[144:145], 0
	v_cmp_gt_i32_e32 vcc, s20, v201
	s_waitcnt lgkmcnt(2)
	v_add_f64 v[142:143], v[142:143], v[146:147]
	v_add_f64 v[144:145], v[144:145], v[148:149]
	s_or_b64 s[4:5], s[12:13], vcc
	s_waitcnt lgkmcnt(1)
	v_add_f64 v[142:143], v[142:143], v[154:155]
	v_add_f64 v[144:145], v[144:145], v[156:157]
	s_and_b64 s[8:9], s[2:3], s[4:5]
	s_waitcnt lgkmcnt(0)
	v_add_f64 v[142:143], v[142:143], v[158:159]
	v_add_f64 v[144:145], v[144:145], v[160:161]
	s_barrier
	ds_write_b128 v229, v[82:85]
	ds_write_b128 v229, v[138:141] offset:256
	ds_write_b128 v229, v[150:153] offset:512
	;; [unrolled: 1-line block ×3, first 2 shown]
	s_waitcnt lgkmcnt(0)
	s_barrier
	s_and_saveexec_b64 s[4:5], s[8:9]
	s_cbranch_execz .LBB124_150
; %bb.149:                              ;   in Loop: Header=BB124_100 Depth=1
	ds_read_b128 v[82:85], v208
	ds_read_b128 v[138:141], v208 offset:16
	ds_read_b128 v[142:145], v208 offset:32
	;; [unrolled: 1-line block ×3, first 2 shown]
	v_mov_b32_e32 v5, s22
	s_waitcnt lgkmcnt(2)
	v_add_f64 v[82:83], v[138:139], v[82:83]
	v_add_f64 v[138:139], v[140:141], v[84:85]
	s_waitcnt lgkmcnt(1)
	v_add_f64 v[140:141], v[82:83], v[142:143]
	ds_read_b128 v[82:85], v208 offset:64
	v_add_f64 v[142:143], v[138:139], v[144:145]
	s_waitcnt lgkmcnt(1)
	v_add_f64 v[144:145], v[140:141], v[146:147]
	ds_read_b128 v[138:141], v208 offset:80
	;; [unrolled: 4-line block ×9, first 2 shown]
	v_add_f64 v[84:85], v[146:147], v[84:85]
	s_waitcnt lgkmcnt(1)
	v_add_f64 v[138:139], v[82:83], v[138:139]
	v_add_f64 v[146:147], v[84:85], v[140:141]
	ds_read_b128 v[82:85], v208 offset:208
	s_waitcnt lgkmcnt(1)
	v_add_f64 v[148:149], v[138:139], v[142:143]
	ds_read_b128 v[138:141], v208 offset:224
	v_add_f64 v[146:147], v[146:147], v[144:145]
	ds_read_b128 v[142:145], v209
	s_waitcnt lgkmcnt(2)
	v_add_f64 v[82:83], v[148:149], v[82:83]
	v_add_f64 v[84:85], v[146:147], v[84:85]
	s_waitcnt lgkmcnt(1)
	v_add_f64 v[82:83], v[82:83], v[138:139]
	v_add_u32_e32 v138, s25, v228
	v_ashrrev_i32_e32 v139, 31, v138
	v_lshlrev_b64 v[138:139], 4, v[138:139]
	v_add_f64 v[84:85], v[84:85], v[140:141]
	v_add_co_u32_e32 v138, vcc, s7, v138
	s_waitcnt lgkmcnt(0)
	v_add_f64 v[82:83], v[82:83], v[142:143]
	v_add_f64 v[84:85], v[84:85], v[144:145]
	v_addc_co_u32_e32 v139, vcc, v5, v139, vcc
	global_store_dwordx4 v[138:139], v[82:85], off
.LBB124_150:                            ;   in Loop: Header=BB124_100 Depth=1
	s_or_b64 exec, exec, s[4:5]
	v_mov_b32_e32 v5, s11
	v_add_co_u32_e32 v170, vcc, s10, v170
	v_mul_f64 v[82:83], v[8:9], v[24:25]
	v_addc_co_u32_e32 v169, vcc, v169, v5, vcc
	v_fma_f64 v[82:83], v[6:7], v[22:23], -v[82:83]
	v_mul_f64 v[6:7], v[6:7], v[24:25]
	v_mul_f64 v[24:25], v[12:13], v[28:29]
	v_add_co_u32_e32 v172, vcc, s10, v172
	v_add_f64 v[0:1], v[0:1], v[82:83]
	v_fma_f64 v[24:25], v[10:11], v[26:27], -v[24:25]
	v_addc_co_u32_e32 v171, vcc, v171, v5, vcc
	v_add_f64 v[0:1], v[0:1], v[24:25]
	v_mul_f64 v[24:25], v[16:17], v[32:33]
	v_add_co_u32_e32 v174, vcc, s10, v174
	v_fma_f64 v[24:25], v[14:15], v[30:31], -v[24:25]
	v_addc_co_u32_e32 v173, vcc, v173, v5, vcc
	v_add_f64 v[0:1], v[0:1], v[24:25]
	v_mul_f64 v[24:25], v[20:21], v[40:41]
	v_fmac_f64_e32 v[6:7], v[8:9], v[22:23]
	v_add_co_u32_e32 v176, vcc, s10, v176
	v_fma_f64 v[24:25], v[18:19], v[38:39], -v[24:25]
	v_add_f64 v[2:3], v[2:3], v[6:7]
	v_mul_f64 v[6:7], v[36:37], v[56:57]
	v_addc_co_u32_e32 v175, vcc, v175, v5, vcc
	v_add_f64 v[0:1], v[0:1], v[24:25]
	v_fma_f64 v[6:7], v[34:35], v[54:55], -v[6:7]
	v_add_co_u32_e32 v178, vcc, s10, v178
	v_add_f64 v[0:1], v[0:1], v[6:7]
	v_mul_f64 v[6:7], v[44:45], v[60:61]
	v_addc_co_u32_e32 v177, vcc, v177, v5, vcc
	v_fma_f64 v[6:7], v[42:43], v[58:59], -v[6:7]
	v_add_co_u32_e32 v180, vcc, s10, v180
	v_add_f64 v[0:1], v[0:1], v[6:7]
	v_mul_f64 v[6:7], v[48:49], v[64:65]
	v_addc_co_u32_e32 v179, vcc, v179, v5, vcc
	;; [unrolled: 5-line block ×3, first 2 shown]
	v_fma_f64 v[6:7], v[50:51], v[70:71], -v[6:7]
	v_add_co_u32_e32 v184, vcc, s10, v184
	v_mul_f64 v[10:11], v[10:11], v[28:29]
	v_add_f64 v[0:1], v[0:1], v[6:7]
	v_mul_f64 v[6:7], v[68:69], v[104:105]
	v_addc_co_u32_e32 v183, vcc, v183, v5, vcc
	v_mul_f64 v[14:15], v[14:15], v[32:33]
	v_fmac_f64_e32 v[10:11], v[12:13], v[26:27]
	v_fma_f64 v[6:7], v[66:67], v[102:103], -v[6:7]
	v_add_co_u32_e32 v186, vcc, s10, v186
	v_mul_f64 v[18:19], v[18:19], v[40:41]
	v_add_f64 v[2:3], v[2:3], v[10:11]
	v_fmac_f64_e32 v[14:15], v[16:17], v[30:31]
	v_add_f64 v[0:1], v[0:1], v[6:7]
	v_mul_f64 v[6:7], v[76:77], v[108:109]
	v_addc_co_u32_e32 v185, vcc, v185, v5, vcc
	v_add_f64 v[2:3], v[2:3], v[14:15]
	v_fmac_f64_e32 v[18:19], v[20:21], v[38:39]
	v_mul_f64 v[8:9], v[34:35], v[56:57]
	v_fma_f64 v[6:7], v[74:75], v[106:107], -v[6:7]
	v_add_co_u32_e32 v188, vcc, s10, v188
	v_add_f64 v[2:3], v[2:3], v[18:19]
	v_mul_f64 v[10:11], v[42:43], v[60:61]
	v_fmac_f64_e32 v[8:9], v[36:37], v[54:55]
	v_add_f64 v[0:1], v[0:1], v[6:7]
	v_mul_f64 v[6:7], v[80:81], v[112:113]
	v_addc_co_u32_e32 v187, vcc, v187, v5, vcc
	v_mul_f64 v[12:13], v[46:47], v[64:65]
	v_add_f64 v[2:3], v[2:3], v[8:9]
	v_fmac_f64_e32 v[10:11], v[44:45], v[58:59]
	v_fma_f64 v[6:7], v[78:79], v[110:111], -v[6:7]
	v_add_co_u32_e32 v190, vcc, s10, v190
	v_mul_f64 v[14:15], v[50:51], v[72:73]
	v_add_f64 v[2:3], v[2:3], v[10:11]
	v_fmac_f64_e32 v[12:13], v[48:49], v[62:63]
	v_add_f64 v[0:1], v[0:1], v[6:7]
	v_mul_f64 v[6:7], v[100:101], v[120:121]
	v_addc_co_u32_e32 v189, vcc, v189, v5, vcc
	v_add_f64 v[2:3], v[2:3], v[12:13]
	v_fmac_f64_e32 v[14:15], v[52:53], v[70:71]
	v_mul_f64 v[8:9], v[66:67], v[104:105]
	v_fma_f64 v[6:7], v[98:99], v[118:119], -v[6:7]
	v_add_co_u32_e32 v192, vcc, s10, v192
	v_add_f64 v[2:3], v[2:3], v[14:15]
	v_mul_f64 v[10:11], v[74:75], v[108:109]
	v_add_f64 v[0:1], v[0:1], v[6:7]
	v_fmac_f64_e32 v[8:9], v[68:69], v[102:103]
	v_mul_f64 v[6:7], v[116:117], v[88:89]
	v_addc_co_u32_e32 v191, vcc, v191, v5, vcc
	v_mul_f64 v[12:13], v[78:79], v[112:113]
	v_add_f64 v[2:3], v[2:3], v[8:9]
	v_fmac_f64_e32 v[10:11], v[76:77], v[106:107]
	v_fma_f64 v[6:7], v[114:115], v[86:87], -v[6:7]
	v_add_co_u32_e32 v194, vcc, s10, v194
	v_mul_f64 v[14:15], v[98:99], v[120:121]
	v_add_f64 v[2:3], v[2:3], v[10:11]
	v_fmac_f64_e32 v[12:13], v[80:81], v[110:111]
	v_add_f64 v[0:1], v[0:1], v[6:7]
	v_mul_f64 v[6:7], v[124:125], v[92:93]
	v_addc_co_u32_e32 v193, vcc, v193, v5, vcc
	v_add_f64 v[2:3], v[2:3], v[12:13]
	v_fmac_f64_e32 v[14:15], v[100:101], v[118:119]
	v_mul_f64 v[8:9], v[114:115], v[88:89]
	v_fma_f64 v[6:7], v[122:123], v[90:91], -v[6:7]
	v_add_co_u32_e32 v196, vcc, s10, v196
	v_add_f64 v[2:3], v[2:3], v[14:15]
	v_mul_f64 v[10:11], v[122:123], v[92:93]
	v_add_f64 v[0:1], v[0:1], v[6:7]
	v_mul_f64 v[6:7], v[128:129], v[96:97]
	v_fmac_f64_e32 v[8:9], v[116:117], v[86:87]
	v_addc_co_u32_e32 v195, vcc, v195, v5, vcc
	v_fma_f64 v[6:7], v[126:127], v[94:95], -v[6:7]
	v_mul_f64 v[12:13], v[126:127], v[96:97]
	v_fmac_f64_e32 v[10:11], v[124:125], v[90:91]
	v_add_f64 v[2:3], v[2:3], v[8:9]
	v_add_co_u32_e32 v198, vcc, s10, v198
	v_add_f64 v[0:1], v[0:1], v[6:7]
	v_mul_f64 v[6:7], v[132:133], v[136:137]
	v_mul_f64 v[14:15], v[130:131], v[136:137]
	v_fmac_f64_e32 v[12:13], v[128:129], v[94:95]
	v_add_f64 v[2:3], v[2:3], v[10:11]
	v_addc_co_u32_e32 v197, vcc, v197, v5, vcc
	v_fma_f64 v[6:7], v[130:131], v[134:135], -v[6:7]
	v_fmac_f64_e32 v[14:15], v[132:133], v[134:135]
	v_add_f64 v[2:3], v[2:3], v[12:13]
	s_add_i32 s4, s6, 1
	s_add_i32 s25, s25, 64
	;; [unrolled: 1-line block ×3, first 2 shown]
	v_add_co_u32_e32 v200, vcc, s10, v200
	v_add_f64 v[0:1], v[0:1], v[6:7]
	v_add_f64 v[2:3], v[2:3], v[14:15]
	s_cmp_ge_u32 s5, s33
	v_addc_co_u32_e32 v199, vcc, v199, v5, vcc
	s_barrier
	s_cbranch_scc1 .LBB124_152
; %bb.151:                              ;   in Loop: Header=BB124_100 Depth=1
	s_mov_b32 s6, s4
	s_cmp_eq_u32 s23, s6
	s_cselect_b32 s20, s36, 0
	s_and_saveexec_b64 s[4:5], s[0:1]
	s_cbranch_execnz .LBB124_96
	s_branch .LBB124_100
.LBB124_152:
	s_movk_i32 s2, 0x430
	v_cmp_gt_i32_e32 vcc, s24, v201
	v_mad_u32_u24 v4, v202, s2, v168
	s_or_b64 s[2:3], s[18:19], vcc
	s_and_b64 s[0:1], s[0:1], s[2:3]
	ds_write_b128 v4, v[0:3]
	s_waitcnt lgkmcnt(0)
	s_barrier
	s_and_saveexec_b64 s[2:3], s[0:1]
	s_cbranch_execz .LBB124_154
; %bb.153:
	ds_read_b128 v[0:3], v168 offset:1072
	ds_read_b128 v[4:7], v168
	ds_read_b128 v[8:11], v168 offset:2144
	ds_read_b128 v[12:15], v168 offset:3216
	s_waitcnt lgkmcnt(2)
	v_add_f64 v[0:1], v[0:1], v[4:5]
	v_add_f64 v[2:3], v[2:3], v[6:7]
	v_lshlrev_b64 v[4:5], 4, v[166:167]
	s_waitcnt lgkmcnt(1)
	v_add_f64 v[0:1], v[0:1], v[8:9]
	v_add_f64 v[2:3], v[2:3], v[10:11]
	v_mov_b32_e32 v6, s22
	v_add_co_u32_e32 v4, vcc, s7, v4
	s_waitcnt lgkmcnt(0)
	v_add_f64 v[0:1], v[0:1], v[12:13]
	v_add_f64 v[2:3], v[2:3], v[14:15]
	v_addc_co_u32_e32 v5, vcc, v6, v5, vcc
	global_store_dwordx4 v[4:5], v[0:3], off
.LBB124_154:
	s_endpgm
	.section	.rodata,"a",@progbits
	.p2align	6, 0x0
	.amdhsa_kernel _ZL26rocblas_hemvn_kernel_upperILb0ELi64ELi4ELi33ELi32ELi16El19rocblas_complex_numIdEPKS1_PS1_EviT6_lT7_lT5_lS6_lS7_lS5_lT8_i
		.amdhsa_group_segment_fixed_size 19200
		.amdhsa_private_segment_fixed_size 0
		.amdhsa_kernarg_size 392
		.amdhsa_user_sgpr_count 6
		.amdhsa_user_sgpr_private_segment_buffer 1
		.amdhsa_user_sgpr_dispatch_ptr 0
		.amdhsa_user_sgpr_queue_ptr 0
		.amdhsa_user_sgpr_kernarg_segment_ptr 1
		.amdhsa_user_sgpr_dispatch_id 0
		.amdhsa_user_sgpr_flat_scratch_init 0
		.amdhsa_user_sgpr_kernarg_preload_length 0
		.amdhsa_user_sgpr_kernarg_preload_offset 0
		.amdhsa_user_sgpr_private_segment_size 0
		.amdhsa_uses_dynamic_stack 0
		.amdhsa_system_sgpr_private_segment_wavefront_offset 0
		.amdhsa_system_sgpr_workgroup_id_x 1
		.amdhsa_system_sgpr_workgroup_id_y 0
		.amdhsa_system_sgpr_workgroup_id_z 1
		.amdhsa_system_sgpr_workgroup_info 0
		.amdhsa_system_vgpr_workitem_id 1
		.amdhsa_next_free_vgpr 230
		.amdhsa_next_free_sgpr 42
		.amdhsa_accum_offset 232
		.amdhsa_reserve_vcc 1
		.amdhsa_reserve_flat_scratch 0
		.amdhsa_float_round_mode_32 0
		.amdhsa_float_round_mode_16_64 0
		.amdhsa_float_denorm_mode_32 3
		.amdhsa_float_denorm_mode_16_64 3
		.amdhsa_dx10_clamp 1
		.amdhsa_ieee_mode 1
		.amdhsa_fp16_overflow 0
		.amdhsa_tg_split 0
		.amdhsa_exception_fp_ieee_invalid_op 0
		.amdhsa_exception_fp_denorm_src 0
		.amdhsa_exception_fp_ieee_div_zero 0
		.amdhsa_exception_fp_ieee_overflow 0
		.amdhsa_exception_fp_ieee_underflow 0
		.amdhsa_exception_fp_ieee_inexact 0
		.amdhsa_exception_int_div_zero 0
	.end_amdhsa_kernel
	.section	.text._ZL26rocblas_hemvn_kernel_upperILb0ELi64ELi4ELi33ELi32ELi16El19rocblas_complex_numIdEPKS1_PS1_EviT6_lT7_lT5_lS6_lS7_lS5_lT8_i,"axG",@progbits,_ZL26rocblas_hemvn_kernel_upperILb0ELi64ELi4ELi33ELi32ELi16El19rocblas_complex_numIdEPKS1_PS1_EviT6_lT7_lT5_lS6_lS7_lS5_lT8_i,comdat
.Lfunc_end124:
	.size	_ZL26rocblas_hemvn_kernel_upperILb0ELi64ELi4ELi33ELi32ELi16El19rocblas_complex_numIdEPKS1_PS1_EviT6_lT7_lT5_lS6_lS7_lS5_lT8_i, .Lfunc_end124-_ZL26rocblas_hemvn_kernel_upperILb0ELi64ELi4ELi33ELi32ELi16El19rocblas_complex_numIdEPKS1_PS1_EviT6_lT7_lT5_lS6_lS7_lS5_lT8_i
                                        ; -- End function
	.section	.AMDGPU.csdata,"",@progbits
; Kernel info:
; codeLenInByte = 10680
; NumSgprs: 46
; NumVgprs: 230
; NumAgprs: 0
; TotalNumVgprs: 230
; ScratchSize: 0
; MemoryBound: 1
; FloatMode: 240
; IeeeMode: 1
; LDSByteSize: 19200 bytes/workgroup (compile time only)
; SGPRBlocks: 5
; VGPRBlocks: 28
; NumSGPRsForWavesPerEU: 46
; NumVGPRsForWavesPerEU: 230
; AccumOffset: 232
; Occupancy: 2
; WaveLimiterHint : 0
; COMPUTE_PGM_RSRC2:SCRATCH_EN: 0
; COMPUTE_PGM_RSRC2:USER_SGPR: 6
; COMPUTE_PGM_RSRC2:TRAP_HANDLER: 0
; COMPUTE_PGM_RSRC2:TGID_X_EN: 1
; COMPUTE_PGM_RSRC2:TGID_Y_EN: 0
; COMPUTE_PGM_RSRC2:TGID_Z_EN: 1
; COMPUTE_PGM_RSRC2:TIDIG_COMP_CNT: 1
; COMPUTE_PGM_RSRC3_GFX90A:ACCUM_OFFSET: 57
; COMPUTE_PGM_RSRC3_GFX90A:TG_SPLIT: 0
	.section	.text._ZL26rocblas_hemvn_kernel_upperILb0ELi64ELi4ELi33ELi32ELi16Ei19rocblas_complex_numIdEPKS1_PS1_EviT6_lT7_lT5_lS6_lS7_lS5_lT8_i,"axG",@progbits,_ZL26rocblas_hemvn_kernel_upperILb0ELi64ELi4ELi33ELi32ELi16Ei19rocblas_complex_numIdEPKS1_PS1_EviT6_lT7_lT5_lS6_lS7_lS5_lT8_i,comdat
	.globl	_ZL26rocblas_hemvn_kernel_upperILb0ELi64ELi4ELi33ELi32ELi16Ei19rocblas_complex_numIdEPKS1_PS1_EviT6_lT7_lT5_lS6_lS7_lS5_lT8_i ; -- Begin function _ZL26rocblas_hemvn_kernel_upperILb0ELi64ELi4ELi33ELi32ELi16Ei19rocblas_complex_numIdEPKS1_PS1_EviT6_lT7_lT5_lS6_lS7_lS5_lT8_i
	.p2align	8
	.type	_ZL26rocblas_hemvn_kernel_upperILb0ELi64ELi4ELi33ELi32ELi16Ei19rocblas_complex_numIdEPKS1_PS1_EviT6_lT7_lT5_lS6_lS7_lS5_lT8_i,@function
_ZL26rocblas_hemvn_kernel_upperILb0ELi64ELi4ELi33ELi32ELi16Ei19rocblas_complex_numIdEPKS1_PS1_EviT6_lT7_lT5_lS6_lS7_lS5_lT8_i: ; @_ZL26rocblas_hemvn_kernel_upperILb0ELi64ELi4ELi33ELi32ELi16Ei19rocblas_complex_numIdEPKS1_PS1_EviT6_lT7_lT5_lS6_lS7_lS5_lT8_i
; %bb.0:
	s_load_dwordx2 s[0:1], s[4:5], 0x94
	s_add_u32 s12, s4, 0x88
	s_addc_u32 s13, s5, 0
	s_waitcnt lgkmcnt(0)
	s_lshr_b32 s2, s0, 16
	s_and_b32 s0, s0, 0xffff
	s_and_b32 s1, s1, 0xffff
	s_mul_i32 s0, s2, s0
	s_mul_i32 s0, s0, s1
	s_cmpk_lg_i32 s0, 0x100
	s_cbranch_scc1 .LBB125_154
; %bb.1:
	s_load_dwordx4 s[16:19], s[4:5], 0x8
	s_load_dwordx4 s[0:3], s[4:5], 0x58
	s_load_dwordx2 s[10:11], s[4:5], 0x68
	s_waitcnt lgkmcnt(0)
	v_cmp_neq_f64_e64 s[8:9], s[16:17], 0
	v_cmp_neq_f64_e64 s[14:15], s[18:19], 0
	s_or_b64 s[8:9], s[8:9], s[14:15]
	s_mov_b64 s[14:15], -1
	s_and_b64 vcc, exec, s[8:9]
	s_cbranch_vccnz .LBB125_3
; %bb.2:
	v_cmp_neq_f64_e64 s[2:3], s[2:3], 1.0
	v_cmp_neq_f64_e64 s[10:11], s[10:11], 0
	s_or_b64 s[14:15], s[2:3], s[10:11]
.LBB125_3:
	s_andn2_b64 vcc, exec, s[14:15]
	s_cbranch_vccnz .LBB125_154
; %bb.4:
	s_andn2_b64 vcc, exec, s[8:9]
	s_cbranch_vccnz .LBB125_154
; %bb.5:
	s_load_dword s33, s[12:13], 0x0
	s_load_dword s40, s[4:5], 0x0
	s_load_dwordx4 s[8:11], s[4:5], 0x38
	s_load_dwordx2 s[2:3], s[4:5], 0x48
	s_load_dword s39, s[4:5], 0x50
	s_mul_i32 s1, s7, s1
	s_mul_hi_u32 s12, s7, s0
	s_add_i32 s1, s12, s1
	s_mul_i32 s0, s7, s0
	s_lshl_b64 s[0:1], s[0:1], 4
	s_waitcnt lgkmcnt(0)
	s_add_u32 s10, s10, s0
	s_addc_u32 s11, s11, s1
	s_lshl_b64 s[0:1], s[2:3], 4
	s_add_u32 s0, s10, s0
	s_addc_u32 s1, s11, s1
	v_and_b32_e32 v168, 0x3ff, v0
	s_lshl_b32 s22, s6, 6
	s_ashr_i32 s41, s40, 31
	s_lshr_b32 s3, s41, 26
	v_add_u32_e32 v166, s22, v168
	v_bfe_u32 v209, v0, 10, 10
	s_add_i32 s3, s40, s3
	v_mul_lo_u32 v0, v166, s39
	s_andn2_b32 s3, s3, 63
	v_ashrrev_i32_e32 v1, 31, v0
	s_add_i32 s2, s33, -1
	s_sub_i32 s38, s40, s3
	v_lshlrev_b64 v[0:1], 4, v[0:1]
	s_cmp_eq_u32 s6, s2
	v_mov_b32_e32 v2, s1
	v_add_co_u32_e32 v36, vcc, s0, v0
	s_cselect_b32 s18, s38, 0
	v_addc_co_u32_e32 v37, vcc, v2, v1, vcc
	v_cmp_eq_u32_e64 s[0:1], 0, v209
	s_and_saveexec_b64 s[2:3], s[0:1]
	s_cbranch_execz .LBB125_10
; %bb.6:
	s_cmp_lg_u32 s18, 0
	s_cselect_b64 s[10:11], -1, 0
	v_cmp_le_i32_e32 vcc, s18, v168
	v_mov_b32_e32 v0, 0x4700
	s_and_b64 s[10:11], s[10:11], vcc
	v_lshl_add_u32 v0, v168, 4, v0
	s_and_saveexec_b64 s[12:13], s[10:11]
	s_xor_b64 s[10:11], exec, s[12:13]
	s_cbranch_execz .LBB125_8
; %bb.7:
	v_mov_b32_e32 v2, 0
	v_mov_b32_e32 v3, v2
	;; [unrolled: 1-line block ×4, first 2 shown]
	ds_write_b128 v0, v[2:5]
                                        ; implicit-def: $vgpr0
.LBB125_8:
	s_andn2_saveexec_b64 s[10:11], s[10:11]
	s_cbranch_execz .LBB125_10
; %bb.9:
	global_load_dwordx4 v[2:5], v[36:37], off
	s_waitcnt vmcnt(0)
	ds_write2_b64 v0, v[2:3], v[4:5] offset1:1
.LBB125_10:
	s_or_b64 exec, exec, s[2:3]
	s_load_dwordx4 s[12:15], s[4:5], 0x20
	s_load_dword s24, s[4:5], 0x30
	s_mul_i32 s2, s7, s9
	s_mul_hi_u32 s3, s7, s8
	s_add_i32 s3, s3, s2
	s_mul_i32 s2, s7, s8
	s_lshl_b64 s[2:3], s[2:3], 4
	s_waitcnt lgkmcnt(0)
	s_add_u32 s8, s12, s2
	s_addc_u32 s9, s13, s3
	s_lshl_b64 s[2:3], s[14:15], 4
	s_add_u32 s8, s8, s2
	s_addc_u32 s9, s9, s3
	s_ashr_i32 s23, s22, 31
	v_lshl_add_u32 v42, v209, 6, v168
	s_lshl_b64 s[2:3], s[22:23], 4
	v_and_b32_e32 v4, 31, v168
	v_lshrrev_b32_e32 v5, 5, v42
	s_add_u32 s8, s8, s2
	s_addc_u32 s9, s9, s3
	v_mad_u64_u32 v[0:1], s[2:3], v5, s24, v[4:5]
	s_mul_i32 s2, s22, s24
	s_ashr_i32 s3, s2, 31
	s_lshl_b64 s[2:3], s[2:3], 4
	s_add_u32 s2, s2, s8
	v_ashrrev_i32_e32 v1, 31, v0
	s_addc_u32 s3, s3, s9
	v_lshlrev_b64 v[38:39], 4, v[0:1]
	s_cmp_eq_u32 s18, 0
	v_mov_b32_e32 v1, s3
	v_add_co_u32_e32 v0, vcc, s2, v38
	s_cselect_b64 s[20:21], -1, 0
	s_cmp_lg_u32 s18, 0
	v_addc_co_u32_e32 v1, vcc, v1, v39, vcc
	s_cselect_b64 s[30:31], -1, 0
	s_and_b64 vcc, exec, s[30:31]
	v_cmp_gt_i32_e64 s[2:3], s18, v4
	v_lshlrev_b32_e32 v13, 4, v4
	v_mul_u32_u24_e32 v12, 33, v5
	s_cbranch_vccz .LBB125_28
; %bb.11:
	v_sub_co_u32_e32 v2, vcc, v0, v13
	s_ashr_i32 s19, s18, 31
	v_subbrev_co_u32_e32 v3, vcc, 0, v1, vcc
	s_lshl_b64 s[8:9], s[18:19], 4
	v_mov_b32_e32 v6, s9
	v_add_co_u32_e32 v2, vcc, s8, v2
	v_addc_co_u32_e32 v3, vcc, v3, v6, vcc
	v_add_co_u32_e32 v2, vcc, -16, v2
	v_addc_co_u32_e32 v3, vcc, -1, v3, vcc
	v_cndmask_b32_e64 v3, v3, v1, s[2:3]
	v_cndmask_b32_e64 v2, v2, v0, s[2:3]
	v_cmp_le_i32_e32 vcc, s18, v5
	v_add_lshl_u32 v6, v12, v4, 4
	s_and_saveexec_b64 s[10:11], vcc
	s_xor_b64 s[10:11], exec, s[10:11]
	s_cbranch_execz .LBB125_13
; %bb.12:
	v_mov_b32_e32 v8, 0
	v_mov_b32_e32 v9, v8
	;; [unrolled: 1-line block ×4, first 2 shown]
	ds_write_b128 v6, v[8:11]
.LBB125_13:
	s_andn2_saveexec_b64 s[10:11], s[10:11]
	s_cbranch_execz .LBB125_15
; %bb.14:
	global_load_dwordx4 v[8:11], v[2:3], off
	s_waitcnt vmcnt(0)
	ds_write2_b64 v6, v[8:9], v[10:11] offset1:1
.LBB125_15:
	s_or_b64 exec, exec, s[10:11]
	v_add_u32_e32 v7, 8, v5
	v_cmp_le_i32_e32 vcc, s18, v7
	s_and_saveexec_b64 s[10:11], vcc
	s_xor_b64 s[10:11], exec, s[10:11]
	s_cbranch_execz .LBB125_17
; %bb.16:
	v_mul_u32_u24_e32 v7, 33, v7
	v_mov_b32_e32 v8, 0
	v_add_lshl_u32 v7, v7, v4, 4
	v_mov_b32_e32 v9, v8
	v_mov_b32_e32 v10, v8
	;; [unrolled: 1-line block ×3, first 2 shown]
	ds_write_b128 v7, v[8:11]
.LBB125_17:
	s_andn2_saveexec_b64 s[10:11], s[10:11]
	s_cbranch_execz .LBB125_19
; %bb.18:
	s_lshl_b32 s12, s24, 3
	s_ashr_i32 s13, s12, 31
	s_lshl_b64 s[12:13], s[12:13], 4
	v_mov_b32_e32 v7, s13
	v_add_co_u32_e32 v8, vcc, s12, v2
	v_addc_co_u32_e32 v9, vcc, v3, v7, vcc
	global_load_dwordx4 v[8:11], v[8:9], off
	v_add_u32_e32 v7, 0x1080, v6
	s_waitcnt vmcnt(0)
	ds_write2_b64 v7, v[8:9], v[10:11] offset1:1
.LBB125_19:
	s_or_b64 exec, exec, s[10:11]
	v_add_u32_e32 v7, 16, v5
	v_cmp_le_i32_e32 vcc, s18, v7
	s_and_saveexec_b64 s[10:11], vcc
	s_xor_b64 s[10:11], exec, s[10:11]
	s_cbranch_execz .LBB125_21
; %bb.20:
	v_mul_u32_u24_e32 v7, 33, v7
	v_mov_b32_e32 v8, 0
	v_add_lshl_u32 v7, v7, v4, 4
	v_mov_b32_e32 v9, v8
	v_mov_b32_e32 v10, v8
	;; [unrolled: 1-line block ×3, first 2 shown]
	ds_write_b128 v7, v[8:11]
.LBB125_21:
	s_andn2_saveexec_b64 s[10:11], s[10:11]
	s_cbranch_execz .LBB125_23
; %bb.22:
	s_lshl_b32 s12, s24, 4
	s_ashr_i32 s13, s12, 31
	s_lshl_b64 s[12:13], s[12:13], 4
	v_mov_b32_e32 v7, s13
	v_add_co_u32_e32 v8, vcc, s12, v2
	v_addc_co_u32_e32 v9, vcc, v3, v7, vcc
	global_load_dwordx4 v[8:11], v[8:9], off
	v_add_u32_e32 v7, 0x2100, v6
	s_waitcnt vmcnt(0)
	ds_write2_b64 v7, v[8:9], v[10:11] offset1:1
.LBB125_23:
	s_or_b64 exec, exec, s[10:11]
	v_add_u32_e32 v7, 24, v5
	v_cmp_le_i32_e32 vcc, s18, v7
	s_and_saveexec_b64 s[10:11], vcc
	s_xor_b64 s[10:11], exec, s[10:11]
	s_cbranch_execz .LBB125_25
; %bb.24:
	v_mov_b32_e32 v8, 0
	v_mov_b32_e32 v9, v8
	;; [unrolled: 1-line block ×4, first 2 shown]
	ds_write_b128 v6, v[8:11] offset:12672
                                        ; implicit-def: $vgpr6
.LBB125_25:
	s_andn2_saveexec_b64 s[10:11], s[10:11]
	s_cbranch_execz .LBB125_27
; %bb.26:
	s_mul_i32 s12, s24, 24
	s_ashr_i32 s13, s12, 31
	s_lshl_b64 s[12:13], s[12:13], 4
	v_mov_b32_e32 v7, s13
	v_add_co_u32_e32 v8, vcc, s12, v2
	v_addc_co_u32_e32 v9, vcc, v3, v7, vcc
	global_load_dwordx4 v[8:11], v[8:9], off
	v_add_u32_e32 v6, 0x3180, v6
	s_waitcnt vmcnt(0)
	ds_write2_b64 v6, v[8:9], v[10:11] offset1:1
.LBB125_27:
	s_or_b64 exec, exec, s[10:11]
	v_add_co_u32_e32 v2, vcc, v2, v13
	v_addc_co_u32_e32 v3, vcc, 0, v3, vcc
	v_mov_b32_e32 v6, s9
	v_subrev_co_u32_e32 v2, vcc, s8, v2
	v_subb_co_u32_e32 v3, vcc, v3, v6, vcc
	v_add_co_u32_e32 v2, vcc, 16, v2
	v_addc_co_u32_e32 v3, vcc, 0, v3, vcc
	v_cndmask_b32_e64 v7, v3, v1, s[2:3]
	v_cndmask_b32_e64 v6, v2, v0, s[2:3]
	s_branch .LBB125_30
.LBB125_28:
                                        ; implicit-def: $vgpr6_vgpr7
	s_cbranch_execz .LBB125_30
; %bb.29:
	s_lshl_b32 s2, s24, 3
	s_ashr_i32 s3, s2, 31
	s_lshl_b64 s[2:3], s[2:3], 4
	v_mov_b32_e32 v3, s3
	v_add_co_u32_e32 v2, vcc, s2, v0
	s_ashr_i32 s25, s24, 31
	v_addc_co_u32_e32 v3, vcc, v1, v3, vcc
	s_lshl_b64 s[2:3], s[24:25], 7
	global_load_dwordx4 v[6:9], v[0:1], off
	global_load_dwordx4 v[14:17], v[2:3], off
	v_mov_b32_e32 v10, s3
	v_add_co_u32_e32 v2, vcc, s2, v2
	v_addc_co_u32_e32 v3, vcc, v3, v10, vcc
	global_load_dwordx4 v[18:21], v[2:3], off
	v_add_co_u32_e32 v2, vcc, s2, v2
	v_addc_co_u32_e32 v3, vcc, v3, v10, vcc
	global_load_dwordx4 v[22:25], v[2:3], off
	v_add_lshl_u32 v2, v12, v4, 4
	v_add_u32_e32 v3, 0x1080, v2
	v_add_u32_e32 v10, 0x2100, v2
	;; [unrolled: 1-line block ×3, first 2 shown]
	s_waitcnt vmcnt(3)
	ds_write2_b64 v2, v[6:7], v[8:9] offset1:1
	s_waitcnt vmcnt(2)
	ds_write2_b64 v3, v[14:15], v[16:17] offset1:1
	;; [unrolled: 2-line block ×4, first 2 shown]
	v_pk_mov_b32 v[6:7], v[0:1], v[0:1] op_sel:[0,1]
.LBB125_30:
	v_lshlrev_b32_e32 v0, 2, v5
	v_mul_u32_u24_e32 v14, 33, v4
	v_cmp_gt_u32_e64 s[16:17], v0, v4
	v_add_lshl_u32 v10, v0, v14, 4
	s_waitcnt lgkmcnt(0)
	s_barrier
	s_and_saveexec_b64 s[2:3], s[16:17]
	s_cbranch_execz .LBB125_32
; %bb.31:
	v_mul_u32_u24_e32 v1, 0x84, v5
	v_add_lshl_u32 v1, v1, v4, 4
	ds_read_b128 v[16:19], v1
	s_waitcnt lgkmcnt(0)
	ds_write_b128 v10, v[16:19]
.LBB125_32:
	s_or_b64 exec, exec, s[2:3]
	v_cmp_ge_u32_e64 s[8:9], v0, v4
	s_and_saveexec_b64 s[2:3], s[8:9]
	s_cbranch_execz .LBB125_34
; %bb.33:
	v_or_b32_e32 v1, 1, v0
	v_mul_u32_u24_e32 v1, 33, v1
	v_add_lshl_u32 v1, v1, v4, 4
	ds_read_b128 v[16:19], v1
	s_waitcnt lgkmcnt(0)
	ds_write_b128 v10, v[16:19] offset:16
.LBB125_34:
	s_or_b64 exec, exec, s[2:3]
	v_or_b32_e32 v1, 2, v0
	v_cmp_gt_u32_e64 s[10:11], v1, v4
	s_and_saveexec_b64 s[2:3], s[10:11]
	s_cbranch_execz .LBB125_36
; %bb.35:
	v_mul_u32_u24_e32 v1, 33, v1
	v_add_lshl_u32 v1, v1, v4, 4
	ds_read_b128 v[16:19], v1
	s_waitcnt lgkmcnt(0)
	ds_write_b128 v10, v[16:19] offset:32
.LBB125_36:
	s_or_b64 exec, exec, s[2:3]
	v_or_b32_e32 v1, 3, v0
	v_cmp_gt_u32_e64 s[12:13], v1, v4
	v_mad_u32_u24 v1, v1, 33, v4
	v_lshlrev_b32_e32 v15, 4, v1
	s_and_saveexec_b64 s[2:3], s[12:13]
	s_cbranch_execz .LBB125_38
; %bb.37:
	ds_read_b128 v[16:19], v15
	s_waitcnt lgkmcnt(0)
	ds_write_b128 v10, v[16:19] offset:48
.LBB125_38:
	s_or_b64 exec, exec, s[2:3]
	v_mul_u32_u24_e32 v1, 0x84, v5
	v_lshlrev_b32_e32 v11, 4, v0
	s_waitcnt lgkmcnt(0)
	s_barrier
	v_add_lshl_u32 v24, v1, v4, 4
	ds_read_b128 v[0:3], v11 offset:18176
	ds_read_b128 v[16:19], v24
	ds_read_b128 v[20:23], v11 offset:18192
	ds_read_b128 v[26:29], v11 offset:18208
	v_add_u32_e32 v25, 0xfffffbe0, v15
	ds_read_b128 v[30:33], v25
	ds_read_b128 v[44:47], v25 offset:528
	s_waitcnt lgkmcnt(4)
	v_mul_f64 v[8:9], v[2:3], v[18:19]
	v_fma_f64 v[8:9], v[0:1], v[16:17], -v[8:9]
	v_mul_f64 v[0:1], v[0:1], v[18:19]
	v_fmac_f64_e32 v[0:1], v[2:3], v[16:17]
	s_waitcnt lgkmcnt(1)
	v_mul_f64 v[16:17], v[20:21], v[32:33]
	v_add_f64 v[2:3], v[8:9], 0
	v_add_f64 v[0:1], v[0:1], 0
	v_mul_f64 v[8:9], v[22:23], v[32:33]
	v_fmac_f64_e32 v[16:17], v[22:23], v[30:31]
	v_fma_f64 v[8:9], v[20:21], v[30:31], -v[8:9]
	v_add_f64 v[20:21], v[0:1], v[16:17]
	s_waitcnt lgkmcnt(0)
	v_mul_f64 v[0:1], v[28:29], v[46:47]
	v_add_f64 v[8:9], v[2:3], v[8:9]
	v_fma_f64 v[22:23], v[26:27], v[44:45], -v[0:1]
	ds_read_b128 v[0:3], v11 offset:18224
	ds_read_b128 v[16:19], v15
	v_mul_f64 v[26:27], v[26:27], v[46:47]
	v_fmac_f64_e32 v[26:27], v[28:29], v[44:45]
	v_add_f64 v[8:9], v[8:9], v[22:23]
	v_add_f64 v[20:21], v[20:21], v[26:27]
	s_waitcnt lgkmcnt(0)
	v_mul_f64 v[22:23], v[2:3], v[18:19]
	v_mul_f64 v[18:19], v[0:1], v[18:19]
	v_fma_f64 v[22:23], v[0:1], v[16:17], -v[22:23]
	v_fmac_f64_e32 v[18:19], v[2:3], v[16:17]
	v_add_f64 v[0:1], v[8:9], v[22:23]
	v_add_f64 v[2:3], v[20:21], v[18:19]
	v_add_lshl_u32 v44, v5, v14, 4
	s_barrier
	ds_write_b128 v44, v[0:3]
	v_pk_mov_b32 v[0:1], 0, 0
	v_cmp_gt_u32_e64 s[2:3], 32, v42
	v_lshlrev_b32_e32 v43, 4, v14
	v_pk_mov_b32 v[2:3], v[0:1], v[0:1] op_sel:[0,1]
	s_waitcnt lgkmcnt(0)
	s_barrier
	s_and_saveexec_b64 s[14:15], s[2:3]
	s_cbranch_execz .LBB125_40
; %bb.39:
	ds_read_b128 v[0:3], v43
	ds_read_b128 v[16:19], v43 offset:16
	ds_read_b128 v[20:23], v43 offset:32
	;; [unrolled: 1-line block ×3, first 2 shown]
	s_waitcnt lgkmcnt(2)
	v_add_f64 v[0:1], v[16:17], v[0:1]
	v_add_f64 v[8:9], v[18:19], v[2:3]
	s_waitcnt lgkmcnt(1)
	v_add_f64 v[16:17], v[0:1], v[20:21]
	ds_read_b128 v[0:3], v43 offset:64
	v_add_f64 v[8:9], v[8:9], v[22:23]
	s_waitcnt lgkmcnt(1)
	v_add_f64 v[20:21], v[16:17], v[26:27]
	ds_read_b128 v[16:19], v43 offset:80
	;; [unrolled: 4-line block ×3, first 2 shown]
	v_add_f64 v[8:9], v[8:9], v[2:3]
	ds_read_b128 v[0:3], v43 offset:112
	s_waitcnt lgkmcnt(2)
	v_add_f64 v[16:17], v[26:27], v[16:17]
	v_add_f64 v[8:9], v[8:9], v[18:19]
	s_waitcnt lgkmcnt(1)
	v_add_f64 v[16:17], v[16:17], v[20:21]
	v_add_f64 v[8:9], v[8:9], v[22:23]
	;; [unrolled: 3-line block ×3, first 2 shown]
.LBB125_40:
	s_or_b64 exec, exec, s[14:15]
	s_lshl_b32 s28, s24, 5
	s_ashr_i32 s29, s28, 31
	s_lshl_b64 s[26:27], s[28:29], 4
	v_mov_b32_e32 v8, s27
	v_add_co_u32_e32 v16, vcc, s26, v6
	v_addc_co_u32_e32 v17, vcc, v7, v8, vcc
	v_add_co_u32_e32 v8, vcc, 0x200, v16
	v_addc_co_u32_e32 v9, vcc, 0, v17, vcc
	s_and_b64 vcc, exec, s[30:31]
	s_barrier
	s_cbranch_vccz .LBB125_58
; %bb.41:
	v_sub_co_u32_e32 v7, vcc, v8, v13
	s_ashr_i32 s19, s18, 31
	v_subbrev_co_u32_e32 v18, vcc, 0, v9, vcc
	s_lshl_b64 s[34:35], s[18:19], 4
	v_mov_b32_e32 v19, s35
	v_add_co_u32_e32 v7, vcc, s34, v7
	v_addc_co_u32_e32 v18, vcc, v18, v19, vcc
	v_or_b32_e32 v6, 32, v4
	v_add_co_u32_e32 v19, vcc, 0xfffffdf0, v7
	v_addc_co_u32_e32 v7, vcc, -1, v18, vcc
	v_cmp_gt_i32_e64 s[14:15], s18, v6
	s_sub_i32 s19, s18, 32
	v_cndmask_b32_e64 v7, v7, v9, s[14:15]
	v_cndmask_b32_e64 v6, v19, v8, s[14:15]
	v_cmp_le_i32_e32 vcc, s19, v5
	v_add_lshl_u32 v18, v12, v4, 4
	s_and_saveexec_b64 s[36:37], vcc
	s_xor_b64 s[36:37], exec, s[36:37]
	s_cbranch_execz .LBB125_43
; %bb.42:
	v_mov_b32_e32 v20, 0
	v_mov_b32_e32 v21, v20
	;; [unrolled: 1-line block ×4, first 2 shown]
	ds_write_b128 v18, v[20:23]
.LBB125_43:
	s_andn2_saveexec_b64 s[36:37], s[36:37]
	s_cbranch_execz .LBB125_45
; %bb.44:
	global_load_dwordx4 v[20:23], v[6:7], off
	s_waitcnt vmcnt(0)
	ds_write2_b64 v18, v[20:21], v[22:23] offset1:1
.LBB125_45:
	s_or_b64 exec, exec, s[36:37]
	v_add_u32_e32 v19, 8, v5
	v_cmp_le_i32_e32 vcc, s19, v19
	s_and_saveexec_b64 s[36:37], vcc
	s_xor_b64 s[36:37], exec, s[36:37]
	s_cbranch_execz .LBB125_47
; %bb.46:
	v_mul_u32_u24_e32 v19, 33, v19
	v_mov_b32_e32 v20, 0
	v_add_lshl_u32 v19, v19, v4, 4
	v_mov_b32_e32 v21, v20
	v_mov_b32_e32 v22, v20
	;; [unrolled: 1-line block ×3, first 2 shown]
	ds_write_b128 v19, v[20:23]
.LBB125_47:
	s_andn2_saveexec_b64 s[36:37], s[36:37]
	s_cbranch_execz .LBB125_49
; %bb.48:
	s_lshl_b32 s42, s24, 3
	s_ashr_i32 s43, s42, 31
	s_lshl_b64 s[42:43], s[42:43], 4
	v_mov_b32_e32 v19, s43
	v_add_co_u32_e32 v20, vcc, s42, v6
	v_addc_co_u32_e32 v21, vcc, v7, v19, vcc
	global_load_dwordx4 v[20:23], v[20:21], off
	v_add_u32_e32 v19, 0x1080, v18
	s_waitcnt vmcnt(0)
	ds_write2_b64 v19, v[20:21], v[22:23] offset1:1
.LBB125_49:
	s_or_b64 exec, exec, s[36:37]
	v_add_u32_e32 v19, 16, v5
	v_cmp_le_i32_e32 vcc, s19, v19
	s_and_saveexec_b64 s[36:37], vcc
	s_xor_b64 s[36:37], exec, s[36:37]
	s_cbranch_execz .LBB125_51
; %bb.50:
	v_mul_u32_u24_e32 v19, 33, v19
	v_mov_b32_e32 v20, 0
	v_add_lshl_u32 v19, v19, v4, 4
	v_mov_b32_e32 v21, v20
	v_mov_b32_e32 v22, v20
	;; [unrolled: 1-line block ×3, first 2 shown]
	ds_write_b128 v19, v[20:23]
.LBB125_51:
	s_andn2_saveexec_b64 s[36:37], s[36:37]
	s_cbranch_execz .LBB125_53
; %bb.52:
	s_lshl_b32 s42, s24, 4
	s_ashr_i32 s43, s42, 31
	s_lshl_b64 s[42:43], s[42:43], 4
	v_mov_b32_e32 v19, s43
	v_add_co_u32_e32 v20, vcc, s42, v6
	v_addc_co_u32_e32 v21, vcc, v7, v19, vcc
	global_load_dwordx4 v[20:23], v[20:21], off
	v_add_u32_e32 v19, 0x2100, v18
	s_waitcnt vmcnt(0)
	ds_write2_b64 v19, v[20:21], v[22:23] offset1:1
.LBB125_53:
	s_or_b64 exec, exec, s[36:37]
	v_add_u32_e32 v19, 24, v5
	v_cmp_le_i32_e32 vcc, s19, v19
	s_and_saveexec_b64 s[36:37], vcc
	s_xor_b64 s[36:37], exec, s[36:37]
	s_cbranch_execz .LBB125_55
; %bb.54:
	v_mov_b32_e32 v20, 0
	v_mov_b32_e32 v21, v20
	;; [unrolled: 1-line block ×4, first 2 shown]
	ds_write_b128 v18, v[20:23] offset:12672
                                        ; implicit-def: $vgpr18
.LBB125_55:
	s_andn2_saveexec_b64 s[36:37], s[36:37]
	s_cbranch_execz .LBB125_57
; %bb.56:
	s_mul_i32 s42, s24, 24
	s_ashr_i32 s43, s42, 31
	s_lshl_b64 s[42:43], s[42:43], 4
	v_mov_b32_e32 v19, s43
	v_add_co_u32_e32 v20, vcc, s42, v6
	v_addc_co_u32_e32 v21, vcc, v7, v19, vcc
	global_load_dwordx4 v[20:23], v[20:21], off
	v_add_u32_e32 v18, 0x3180, v18
	s_waitcnt vmcnt(0)
	ds_write2_b64 v18, v[20:21], v[22:23] offset1:1
.LBB125_57:
	s_or_b64 exec, exec, s[36:37]
	v_add_co_u32_e32 v6, vcc, v6, v13
	v_addc_co_u32_e32 v7, vcc, 0, v7, vcc
	v_mov_b32_e32 v18, s35
	v_subrev_co_u32_e32 v6, vcc, s34, v6
	v_subb_co_u32_e32 v7, vcc, v7, v18, vcc
	v_add_co_u32_e32 v6, vcc, 0x210, v6
	v_addc_co_u32_e32 v7, vcc, 0, v7, vcc
	v_cndmask_b32_e64 v7, v7, v9, s[14:15]
	v_cndmask_b32_e64 v6, v6, v8, s[14:15]
	s_branch .LBB125_60
.LBB125_58:
                                        ; implicit-def: $vgpr6_vgpr7
	s_cbranch_execz .LBB125_60
; %bb.59:
	s_lshl_b32 s14, s24, 3
	s_ashr_i32 s15, s14, 31
	s_lshl_b64 s[14:15], s[14:15], 4
	v_mov_b32_e32 v7, s15
	v_add_co_u32_e32 v6, vcc, s14, v16
	s_ashr_i32 s25, s24, 31
	v_addc_co_u32_e32 v7, vcc, v17, v7, vcc
	s_lshl_b64 s[14:15], s[24:25], 7
	global_load_dwordx4 v[16:19], v[8:9], off
	global_load_dwordx4 v[20:23], v[6:7], off offset:512
	v_mov_b32_e32 v26, s15
	v_add_co_u32_e32 v6, vcc, s14, v6
	v_addc_co_u32_e32 v7, vcc, v7, v26, vcc
	v_add_co_u32_e32 v34, vcc, s14, v6
	v_addc_co_u32_e32 v35, vcc, v7, v26, vcc
	global_load_dwordx4 v[26:29], v[6:7], off offset:512
	global_load_dwordx4 v[30:33], v[34:35], off offset:512
	v_add_lshl_u32 v6, v12, v4, 4
	v_add_u32_e32 v7, 0x1080, v6
	v_add_u32_e32 v34, 0x2100, v6
	;; [unrolled: 1-line block ×3, first 2 shown]
	s_waitcnt vmcnt(3)
	ds_write2_b64 v6, v[16:17], v[18:19] offset1:1
	s_waitcnt vmcnt(2)
	ds_write2_b64 v7, v[20:21], v[22:23] offset1:1
	;; [unrolled: 2-line block ×4, first 2 shown]
	v_pk_mov_b32 v[6:7], v[8:9], v[8:9] op_sel:[0,1]
.LBB125_60:
	s_waitcnt lgkmcnt(0)
	s_barrier
	s_and_saveexec_b64 s[14:15], s[16:17]
	s_cbranch_execnz .LBB125_85
; %bb.61:
	s_or_b64 exec, exec, s[14:15]
	s_and_saveexec_b64 s[14:15], s[8:9]
	s_cbranch_execnz .LBB125_86
.LBB125_62:
	s_or_b64 exec, exec, s[14:15]
	s_and_saveexec_b64 s[8:9], s[10:11]
	s_cbranch_execnz .LBB125_87
.LBB125_63:
	s_or_b64 exec, exec, s[8:9]
	v_add_u32_e32 v26, 0x4700, v11
	s_and_saveexec_b64 s[8:9], s[12:13]
	s_cbranch_execz .LBB125_65
.LBB125_64:
	ds_read_b128 v[16:19], v15
	s_waitcnt lgkmcnt(0)
	ds_write_b128 v10, v[16:19] offset:48
.LBB125_65:
	s_or_b64 exec, exec, s[8:9]
	s_waitcnt lgkmcnt(0)
	s_barrier
	ds_read_b128 v[8:11], v26 offset:512
	ds_read_b128 v[16:19], v24
	ds_read_b128 v[20:23], v26 offset:528
	ds_read_b128 v[28:31], v26 offset:544
	v_cmp_eq_u32_e64 s[8:9], 1, v5
	s_waitcnt lgkmcnt(2)
	v_mul_f64 v[32:33], v[10:11], v[18:19]
	v_fma_f64 v[40:41], v[8:9], v[16:17], -v[32:33]
	ds_read_b128 v[32:35], v26 offset:560
	ds_read_b128 v[46:49], v25
	v_mul_f64 v[8:9], v[8:9], v[18:19]
	v_fmac_f64_e32 v[8:9], v[10:11], v[16:17]
	v_add_f64 v[18:19], v[8:9], 0
	v_add_f64 v[16:17], v[40:41], 0
	s_waitcnt lgkmcnt(0)
	v_mul_f64 v[8:9], v[22:23], v[48:49]
	v_fma_f64 v[40:41], v[20:21], v[46:47], -v[8:9]
	v_mul_f64 v[20:21], v[20:21], v[48:49]
	ds_read_b128 v[8:11], v25 offset:528
	v_fmac_f64_e32 v[20:21], v[22:23], v[46:47]
	v_add_f64 v[22:23], v[16:17], v[40:41]
	v_add_f64 v[20:21], v[18:19], v[20:21]
	ds_read_b128 v[16:19], v15
	s_waitcnt lgkmcnt(1)
	v_mul_f64 v[40:41], v[30:31], v[10:11]
	v_mul_f64 v[10:11], v[28:29], v[10:11]
	v_fmac_f64_e32 v[10:11], v[30:31], v[8:9]
	v_fma_f64 v[40:41], v[28:29], v[8:9], -v[40:41]
	v_add_f64 v[10:11], v[20:21], v[10:11]
	s_waitcnt lgkmcnt(0)
	v_mul_f64 v[20:21], v[34:35], v[18:19]
	v_mul_f64 v[18:19], v[32:33], v[18:19]
	v_add_f64 v[8:9], v[22:23], v[40:41]
	v_fma_f64 v[20:21], v[32:33], v[16:17], -v[20:21]
	v_fmac_f64_e32 v[18:19], v[34:35], v[16:17]
	v_add_f64 v[8:9], v[8:9], v[20:21]
	v_add_f64 v[10:11], v[10:11], v[18:19]
	s_barrier
	ds_write_b128 v44, v[8:11]
	s_waitcnt lgkmcnt(0)
	s_barrier
	s_and_saveexec_b64 s[10:11], s[8:9]
	s_cbranch_execz .LBB125_67
; %bb.66:
	ds_read_b128 v[0:3], v43
	ds_read_b128 v[8:11], v43 offset:16
	ds_read_b128 v[16:19], v43 offset:32
	;; [unrolled: 1-line block ×3, first 2 shown]
	s_waitcnt lgkmcnt(2)
	v_add_f64 v[0:1], v[8:9], v[0:1]
	v_add_f64 v[8:9], v[10:11], v[2:3]
	s_waitcnt lgkmcnt(1)
	v_add_f64 v[10:11], v[0:1], v[16:17]
	ds_read_b128 v[0:3], v43 offset:64
	v_add_f64 v[8:9], v[8:9], v[18:19]
	s_waitcnt lgkmcnt(1)
	v_add_f64 v[16:17], v[10:11], v[20:21]
	v_add_f64 v[20:21], v[8:9], v[22:23]
	ds_read_b128 v[8:11], v43 offset:80
	s_waitcnt lgkmcnt(1)
	v_add_f64 v[22:23], v[16:17], v[0:1]
	ds_read_b128 v[16:19], v43 offset:96
	v_add_f64 v[20:21], v[20:21], v[2:3]
	ds_read_b128 v[0:3], v43 offset:112
	s_waitcnt lgkmcnt(2)
	v_add_f64 v[8:9], v[22:23], v[8:9]
	v_add_f64 v[10:11], v[20:21], v[10:11]
	s_waitcnt lgkmcnt(1)
	v_add_f64 v[8:9], v[8:9], v[16:17]
	v_add_f64 v[10:11], v[10:11], v[18:19]
	;; [unrolled: 3-line block ×3, first 2 shown]
.LBB125_67:
	s_or_b64 exec, exec, s[10:11]
	v_add_co_u32_e32 v8, vcc, 0xfffffe00, v6
	v_addc_co_u32_e32 v9, vcc, -1, v7, vcc
	s_and_b64 vcc, exec, s[30:31]
	s_barrier
	s_cbranch_vccz .LBB125_88
; %bb.68:
	v_sub_co_u32_e32 v10, vcc, v6, v13
	s_ashr_i32 s19, s18, 31
	v_subbrev_co_u32_e32 v11, vcc, 0, v7, vcc
	s_lshl_b64 s[12:13], s[18:19], 4
	v_mov_b32_e32 v16, s13
	v_add_co_u32_e32 v10, vcc, s12, v10
	v_addc_co_u32_e32 v11, vcc, v11, v16, vcc
	v_add_co_u32_e32 v10, vcc, 0xfffffdf0, v10
	v_addc_co_u32_e32 v11, vcc, -1, v11, vcc
	v_cmp_gt_i32_e32 vcc, s18, v4
	s_sub_i32 s16, s18, 32
	v_cndmask_b32_e32 v11, v11, v9, vcc
	v_cndmask_b32_e32 v10, v10, v8, vcc
	v_cmp_le_i32_e64 s[10:11], s16, v5
	v_add_lshl_u32 v19, v12, v4, 4
	s_and_saveexec_b64 s[14:15], s[10:11]
	s_xor_b64 s[10:11], exec, s[14:15]
	s_cbranch_execz .LBB125_70
; %bb.69:
	v_mov_b32_e32 v20, 0
	v_mov_b32_e32 v21, v20
	;; [unrolled: 1-line block ×4, first 2 shown]
	ds_write_b128 v19, v[20:23]
.LBB125_70:
	s_andn2_saveexec_b64 s[10:11], s[10:11]
	s_cbranch_execz .LBB125_72
; %bb.71:
	global_load_dwordx4 v[20:23], v[10:11], off
	s_waitcnt vmcnt(0)
	ds_write2_b64 v19, v[20:21], v[22:23] offset1:1
.LBB125_72:
	s_or_b64 exec, exec, s[10:11]
	v_add_u32_e32 v16, 8, v5
	v_cmp_le_i32_e64 s[10:11], s16, v16
	s_and_saveexec_b64 s[14:15], s[10:11]
	s_xor_b64 s[10:11], exec, s[14:15]
	s_cbranch_execz .LBB125_74
; %bb.73:
	v_mul_u32_u24_e32 v17, 33, v16
	v_mov_b32_e32 v20, 0
	v_add_lshl_u32 v17, v17, v4, 4
	v_mov_b32_e32 v21, v20
	v_mov_b32_e32 v22, v20
	;; [unrolled: 1-line block ×3, first 2 shown]
	ds_write_b128 v17, v[20:23]
.LBB125_74:
	s_andn2_saveexec_b64 s[14:15], s[10:11]
	s_cbranch_execz .LBB125_76
; %bb.75:
	s_lshl_b32 s10, s24, 3
	s_ashr_i32 s11, s10, 31
	s_lshl_b64 s[10:11], s[10:11], 4
	v_mov_b32_e32 v17, s11
	v_add_co_u32_e64 v20, s[10:11], s10, v10
	v_addc_co_u32_e64 v21, s[10:11], v11, v17, s[10:11]
	global_load_dwordx4 v[20:23], v[20:21], off
	v_add_u32_e32 v17, 0x1080, v19
	s_waitcnt vmcnt(0)
	ds_write2_b64 v17, v[20:21], v[22:23] offset1:1
.LBB125_76:
	s_or_b64 exec, exec, s[14:15]
	v_add_u32_e32 v17, 16, v5
	v_cmp_le_i32_e64 s[10:11], s16, v17
	s_and_saveexec_b64 s[14:15], s[10:11]
	s_xor_b64 s[10:11], exec, s[14:15]
	s_cbranch_execz .LBB125_78
; %bb.77:
	v_mul_u32_u24_e32 v18, 33, v17
	v_mov_b32_e32 v20, 0
	v_add_lshl_u32 v18, v18, v4, 4
	v_mov_b32_e32 v21, v20
	v_mov_b32_e32 v22, v20
	;; [unrolled: 1-line block ×3, first 2 shown]
	ds_write_b128 v18, v[20:23]
.LBB125_78:
	s_andn2_saveexec_b64 s[14:15], s[10:11]
	s_cbranch_execz .LBB125_80
; %bb.79:
	s_lshl_b32 s10, s24, 4
	s_ashr_i32 s11, s10, 31
	s_lshl_b64 s[10:11], s[10:11], 4
	v_mov_b32_e32 v18, s11
	v_add_co_u32_e64 v20, s[10:11], s10, v10
	v_addc_co_u32_e64 v21, s[10:11], v11, v18, s[10:11]
	global_load_dwordx4 v[20:23], v[20:21], off
	v_add_u32_e32 v18, 0x2100, v19
	s_waitcnt vmcnt(0)
	ds_write2_b64 v18, v[20:21], v[22:23] offset1:1
.LBB125_80:
	s_or_b64 exec, exec, s[14:15]
	v_add_u32_e32 v18, 24, v5
	v_cmp_le_i32_e64 s[10:11], s16, v18
	s_and_saveexec_b64 s[14:15], s[10:11]
	s_xor_b64 s[10:11], exec, s[14:15]
	s_cbranch_execz .LBB125_82
; %bb.81:
	v_mov_b32_e32 v20, 0
	v_mov_b32_e32 v21, v20
	;; [unrolled: 1-line block ×4, first 2 shown]
	ds_write_b128 v19, v[20:23] offset:12672
                                        ; implicit-def: $vgpr19
.LBB125_82:
	s_andn2_saveexec_b64 s[14:15], s[10:11]
	s_cbranch_execz .LBB125_84
; %bb.83:
	s_mul_i32 s10, s24, 24
	s_ashr_i32 s11, s10, 31
	s_lshl_b64 s[10:11], s[10:11], 4
	v_mov_b32_e32 v21, s11
	v_add_co_u32_e64 v20, s[10:11], s10, v10
	v_addc_co_u32_e64 v21, s[10:11], v11, v21, s[10:11]
	global_load_dwordx4 v[20:23], v[20:21], off
	v_add_u32_e32 v19, 0x3180, v19
	s_waitcnt vmcnt(0)
	ds_write2_b64 v19, v[20:21], v[22:23] offset1:1
.LBB125_84:
	s_or_b64 exec, exec, s[14:15]
	v_add_co_u32_e64 v10, s[10:11], v10, v13
	v_addc_co_u32_e64 v11, s[10:11], 0, v11, s[10:11]
	v_mov_b32_e32 v13, s13
	v_subrev_co_u32_e64 v10, s[10:11], s12, v10
	v_subb_co_u32_e64 v11, s[10:11], v11, v13, s[10:11]
	v_add_co_u32_e64 v10, s[10:11], 16, v10
	v_addc_co_u32_e64 v11, s[10:11], 0, v11, s[10:11]
	v_cndmask_b32_e32 v41, v11, v9, vcc
	v_cndmask_b32_e32 v40, v10, v8, vcc
	s_branch .LBB125_90
.LBB125_85:
	ds_read_b128 v[16:19], v24
	s_waitcnt lgkmcnt(0)
	ds_write_b128 v10, v[16:19]
	s_or_b64 exec, exec, s[14:15]
	s_and_saveexec_b64 s[14:15], s[8:9]
	s_cbranch_execz .LBB125_62
.LBB125_86:
	ds_read_b128 v[16:19], v25
	s_waitcnt lgkmcnt(0)
	ds_write_b128 v10, v[16:19] offset:16
	s_or_b64 exec, exec, s[14:15]
	s_and_saveexec_b64 s[8:9], s[10:11]
	s_cbranch_execz .LBB125_63
.LBB125_87:
	v_add_u32_e32 v8, 0x210, v25
	ds_read_b128 v[16:19], v8
	s_waitcnt lgkmcnt(0)
	ds_write_b128 v10, v[16:19] offset:32
	s_or_b64 exec, exec, s[8:9]
	v_add_u32_e32 v26, 0x4700, v11
	s_and_saveexec_b64 s[8:9], s[12:13]
	s_cbranch_execnz .LBB125_64
	s_branch .LBB125_65
.LBB125_88:
                                        ; implicit-def: $vgpr40_vgpr41
                                        ; implicit-def: $vgpr16
                                        ; implicit-def: $vgpr17
                                        ; implicit-def: $vgpr18
	s_cbranch_execz .LBB125_90
; %bb.89:
	s_lshl_b32 s10, s24, 3
	s_ashr_i32 s11, s10, 31
	s_lshl_b64 s[10:11], s[10:11], 4
	v_mov_b32_e32 v10, s11
	v_add_co_u32_e32 v6, vcc, s10, v6
	s_ashr_i32 s25, s24, 31
	v_addc_co_u32_e32 v7, vcc, v7, v10, vcc
	s_lshl_b64 s[10:11], s[24:25], 7
	global_load_dwordx4 v[20:23], v[8:9], off
	global_load_dwordx4 v[28:31], v[6:7], off offset:-512
	v_mov_b32_e32 v11, s11
	v_add_co_u32_e32 v6, vcc, s10, v6
	v_addc_co_u32_e32 v7, vcc, v7, v11, vcc
	v_add_co_u32_e32 v10, vcc, s10, v6
	v_addc_co_u32_e32 v11, vcc, v7, v11, vcc
	global_load_dwordx4 v[32:35], v[6:7], off offset:-512
	global_load_dwordx4 v[46:49], v[10:11], off offset:-512
	v_add_lshl_u32 v4, v12, v4, 4
	v_add_u32_e32 v16, 8, v5
	v_add_u32_e32 v17, 16, v5
	;; [unrolled: 1-line block ×3, first 2 shown]
	v_pk_mov_b32 v[40:41], v[8:9], v[8:9] op_sel:[0,1]
	v_add_u32_e32 v6, 0x1080, v4
	v_add_u32_e32 v7, 0x2100, v4
	;; [unrolled: 1-line block ×3, first 2 shown]
	s_waitcnt vmcnt(3)
	ds_write2_b64 v4, v[20:21], v[22:23] offset1:1
	s_waitcnt vmcnt(2)
	ds_write2_b64 v6, v[28:29], v[30:31] offset1:1
	;; [unrolled: 2-line block ×4, first 2 shown]
.LBB125_90:
	v_lshlrev_b32_e32 v4, 4, v5
	s_waitcnt lgkmcnt(0)
	s_barrier
	ds_read_b128 v[46:49], v44
	ds_read_b128 v[50:53], v4 offset:18176
	v_add_lshl_u32 v4, v16, v14, 4
	v_lshlrev_b32_e32 v10, 4, v16
	ds_read_b128 v[54:57], v4
	ds_read_b128 v[4:7], v25 offset:528
	ds_read_b128 v[58:61], v10 offset:18176
	s_waitcnt lgkmcnt(3)
	v_mul_f64 v[8:9], v[48:49], v[52:53]
	v_add_lshl_u32 v10, v17, v14, 4
	v_lshlrev_b32_e32 v12, 4, v17
	v_fma_f64 v[8:9], v[46:47], v[50:51], -v[8:9]
	ds_read_b128 v[62:65], v10
	ds_read_b128 v[66:69], v12 offset:18176
	s_waitcnt lgkmcnt(2)
	v_mul_f64 v[10:11], v[56:57], v[60:61]
	v_add_f64 v[8:9], v[8:9], 0
	v_fma_f64 v[10:11], v[54:55], v[58:59], -v[10:11]
	v_add_f64 v[8:9], v[8:9], v[10:11]
	v_add_lshl_u32 v10, v18, v14, 4
	v_lshlrev_b32_e32 v12, 4, v18
	v_mul_f64 v[74:75], v[46:47], v[52:53]
	v_mul_f64 v[60:61], v[54:55], v[60:61]
	ds_read_b128 v[52:55], v10
	ds_read_b128 v[70:73], v12 offset:18176
	s_waitcnt lgkmcnt(2)
	v_mul_f64 v[10:11], v[64:65], v[68:69]
	v_fma_f64 v[10:11], v[62:63], v[66:67], -v[10:11]
	v_add_f64 v[12:13], v[8:9], v[10:11]
	ds_read_b128 v[8:11], v15
	s_waitcnt lgkmcnt(1)
	v_mul_f64 v[14:15], v[54:55], v[72:73]
	v_fma_f64 v[14:15], v[52:53], v[70:71], -v[14:15]
	v_add_f64 v[46:47], v[12:13], v[14:15]
	ds_read_b128 v[20:23], v26 offset:528
	ds_read_b128 v[16:19], v26 offset:544
	;; [unrolled: 1-line block ×3, first 2 shown]
	ds_read_b128 v[32:35], v24
	ds_read_b128 v[12:15], v26 offset:560
	ds_read_b128 v[24:27], v25
	v_fmac_f64_e32 v[74:75], v[48:49], v[50:51]
	v_mul_f64 v[62:63], v[62:63], v[68:69]
	v_add_f64 v[48:49], v[74:75], 0
	v_fmac_f64_e32 v[60:61], v[56:57], v[58:59]
	v_mul_f64 v[52:53], v[52:53], v[72:73]
	v_add_f64 v[48:49], v[48:49], v[60:61]
	v_fmac_f64_e32 v[62:63], v[64:65], v[66:67]
	v_add_f64 v[48:49], v[48:49], v[62:63]
	v_fmac_f64_e32 v[52:53], v[54:55], v[70:71]
	v_add_f64 v[48:49], v[48:49], v[52:53]
	s_waitcnt lgkmcnt(0)
	s_barrier
	ds_write_b128 v44, v[46:49]
	s_waitcnt lgkmcnt(0)
	s_barrier
	s_and_saveexec_b64 s[10:11], s[8:9]
	s_cbranch_execz .LBB125_92
; %bb.91:
	ds_read_b128 v[46:49], v43
	ds_read_b128 v[50:53], v43 offset:16
	ds_read_b128 v[54:57], v43 offset:32
	;; [unrolled: 1-line block ×3, first 2 shown]
	s_waitcnt lgkmcnt(3)
	v_add_f64 v[0:1], v[0:1], v[46:47]
	v_add_f64 v[2:3], v[2:3], v[48:49]
	s_waitcnt lgkmcnt(2)
	v_add_f64 v[0:1], v[0:1], v[50:51]
	v_add_f64 v[46:47], v[2:3], v[52:53]
	s_waitcnt lgkmcnt(1)
	v_add_f64 v[48:49], v[0:1], v[54:55]
	ds_read_b128 v[0:3], v43 offset:64
	v_add_f64 v[46:47], v[46:47], v[56:57]
	s_waitcnt lgkmcnt(1)
	v_add_f64 v[50:51], v[48:49], v[58:59]
	v_add_f64 v[54:55], v[46:47], v[60:61]
	ds_read_b128 v[46:49], v43 offset:80
	s_waitcnt lgkmcnt(1)
	v_add_f64 v[56:57], v[50:51], v[0:1]
	ds_read_b128 v[50:53], v43 offset:96
	v_add_f64 v[54:55], v[54:55], v[2:3]
	ds_read_b128 v[0:3], v43 offset:112
	s_waitcnt lgkmcnt(2)
	v_add_f64 v[46:47], v[56:57], v[46:47]
	v_add_f64 v[48:49], v[54:55], v[48:49]
	s_waitcnt lgkmcnt(1)
	v_add_f64 v[46:47], v[46:47], v[50:51]
	v_add_f64 v[48:49], v[48:49], v[52:53]
	;; [unrolled: 3-line block ×3, first 2 shown]
.LBB125_92:
	s_or_b64 exec, exec, s[10:11]
	v_mul_f64 v[46:47], v[30:31], v[34:35]
	v_fma_f64 v[46:47], v[28:29], v[32:33], -v[46:47]
	v_mul_f64 v[28:29], v[28:29], v[34:35]
	v_fmac_f64_e32 v[28:29], v[30:31], v[32:33]
	v_mul_f64 v[32:33], v[22:23], v[26:27]
	v_fma_f64 v[32:33], v[20:21], v[24:25], -v[32:33]
	v_mul_f64 v[20:21], v[20:21], v[26:27]
	v_add_f64 v[30:31], v[46:47], 0
	v_add_f64 v[28:29], v[28:29], 0
	v_fmac_f64_e32 v[20:21], v[22:23], v[24:25]
	v_mul_f64 v[24:25], v[18:19], v[6:7]
	v_mul_f64 v[6:7], v[16:17], v[6:7]
	v_add_f64 v[22:23], v[30:31], v[32:33]
	v_add_f64 v[20:21], v[28:29], v[20:21]
	v_fma_f64 v[24:25], v[16:17], v[4:5], -v[24:25]
	v_fmac_f64_e32 v[6:7], v[18:19], v[4:5]
	v_mul_f64 v[16:17], v[14:15], v[10:11]
	v_mul_f64 v[10:11], v[12:13], v[10:11]
	v_add_f64 v[4:5], v[22:23], v[24:25]
	v_add_f64 v[6:7], v[20:21], v[6:7]
	v_fma_f64 v[16:17], v[12:13], v[8:9], -v[16:17]
	v_fmac_f64_e32 v[10:11], v[14:15], v[8:9]
	v_add_f64 v[4:5], v[4:5], v[16:17]
	v_add_f64 v[6:7], v[6:7], v[10:11]
	s_barrier
	ds_write_b128 v44, v[4:7]
	s_waitcnt lgkmcnt(0)
	s_barrier
	s_and_saveexec_b64 s[8:9], s[2:3]
	s_cbranch_execz .LBB125_94
; %bb.93:
	ds_read_b128 v[4:7], v43
	ds_read_b128 v[8:11], v43 offset:16
	ds_read_b128 v[12:15], v43 offset:32
	;; [unrolled: 1-line block ×3, first 2 shown]
	s_waitcnt lgkmcnt(3)
	v_add_f64 v[0:1], v[0:1], v[4:5]
	v_add_f64 v[2:3], v[2:3], v[6:7]
	s_waitcnt lgkmcnt(2)
	v_add_f64 v[0:1], v[0:1], v[8:9]
	v_add_f64 v[4:5], v[2:3], v[10:11]
	s_waitcnt lgkmcnt(1)
	v_add_f64 v[6:7], v[0:1], v[12:13]
	ds_read_b128 v[0:3], v43 offset:64
	v_add_f64 v[4:5], v[4:5], v[14:15]
	s_waitcnt lgkmcnt(1)
	v_add_f64 v[8:9], v[6:7], v[16:17]
	v_add_f64 v[12:13], v[4:5], v[18:19]
	ds_read_b128 v[4:7], v43 offset:80
	s_waitcnt lgkmcnt(1)
	v_add_f64 v[14:15], v[8:9], v[0:1]
	ds_read_b128 v[8:11], v43 offset:96
	v_add_f64 v[12:13], v[12:13], v[2:3]
	ds_read_b128 v[0:3], v43 offset:112
	s_waitcnt lgkmcnt(2)
	v_add_f64 v[4:5], v[14:15], v[4:5]
	v_add_f64 v[6:7], v[12:13], v[6:7]
	s_waitcnt lgkmcnt(1)
	v_add_f64 v[4:5], v[4:5], v[8:9]
	v_add_f64 v[6:7], v[6:7], v[10:11]
	;; [unrolled: 3-line block ×3, first 2 shown]
.LBB125_94:
	s_or_b64 exec, exec, s[8:9]
	s_load_dwordx2 s[2:3], s[4:5], 0x78
	s_mul_hi_u32 s4, s40, s7
	s_mul_i32 s41, s41, s7
	s_add_i32 s4, s4, s41
	s_mul_i32 s7, s40, s7
	s_mul_i32 s4, s4, s33
	s_mul_hi_u32 s5, s7, s33
	s_add_i32 s5, s5, s4
	s_mul_i32 s4, s7, s33
	s_lshl_b64 s[4:5], s[4:5], 4
	s_waitcnt lgkmcnt(0)
	s_add_u32 s4, s2, s4
	s_addc_u32 s5, s3, s5
	s_mul_hi_i32 s3, s40, s6
	s_mul_i32 s2, s40, s6
	s_lshl_b64 s[2:3], s[2:3], 4
	s_add_u32 s7, s4, s2
	s_addc_u32 s19, s5, s3
	s_add_i32 s8, s6, 1
	s_cmp_ge_u32 s8, s33
	v_lshlrev_b32_e32 v211, 4, v168
	s_barrier
	s_cbranch_scc1 .LBB125_152
; %bb.95:
	s_mul_i32 s2, s22, s39
	s_ashr_i32 s3, s2, 31
	s_lshl_b64 s[2:3], s[2:3], 4
	v_and_b32_e32 v8, 48, v168
	v_lshlrev_b32_e32 v212, 2, v209
	v_mov_b32_e32 v4, s3
	v_subrev_co_u32_e32 v213, vcc, s2, v36
	v_and_b32_e32 v6, 15, v168
	v_lshlrev_b32_e32 v9, 4, v8
	s_movk_i32 s4, 0x430
	v_subb_co_u32_e32 v214, vcc, v37, v4, vcc
	v_lshrrev_b32_e32 v7, 4, v42
	v_mad_u64_u32 v[4:5], s[2:3], v212, s24, v[168:169]
	v_mad_u32_u24 v217, v6, s4, v9
	v_or_b32_e32 v9, 0xf0, v211
	v_ashrrev_i32_e32 v5, 31, v4
	v_mad_u32_u24 v218, v6, s4, v9
	v_lshlrev_b32_e32 v9, 6, v7
	v_mul_i32_i24_e32 v10, 0xffffffd0, v7
	v_add_u32_e32 v7, s22, v8
	v_sub_co_u32_e32 v237, vcc, 0, v38
	v_mad_u32_u24 v219, v6, s4, v9
	v_mov_b32_e32 v9, 0x4300
	v_add3_u32 v170, v7, v6, 64
	v_subb_co_u32_e32 v238, vcc, 0, v39, vcc
	v_lshlrev_b64 v[6:7], 4, v[4:5]
	v_lshl_add_u32 v223, v209, 6, v9
	v_mov_b32_e32 v8, s27
	v_add_co_u32_e32 v9, vcc, s26, v6
	v_addc_co_u32_e32 v8, vcc, v8, v7, vcc
	v_add_co_u32_e32 v9, vcc, v9, v40
	v_addc_co_u32_e32 v8, vcc, v8, v41, vcc
	;; [unrolled: 2-line block ×3, first 2 shown]
	v_mov_b32_e32 v8, s29
	v_add_co_u32_e32 v4, vcc, s28, v4
	v_addc_co_u32_e32 v5, vcc, v8, v5, vcc
	s_lshl_b32 s14, s24, 4
	s_mul_i32 s34, s24, 3
	v_lshlrev_b64 v[4:5], 4, v[4:5]
	s_lshl_b32 s31, s39, 6
	s_ashr_i32 s35, s34, 31
	s_mul_i32 s39, s39, s8
	v_mad_i64_i32 v[8:9], s[8:9], s14, 48, v[4:5]
	s_lshl_b64 s[8:9], s[34:35], 4
	s_ashr_i32 s15, s14, 31
	s_ashr_i32 s25, s24, 31
	s_lshl_b32 s16, s24, 1
	s_movk_i32 s4, 0x10c0
	v_mov_b32_e32 v11, s9
	v_add_co_u32_e32 v12, vcc, s8, v8
	s_add_i32 s30, s33, -2
	s_ashr_i32 s17, s16, 31
	v_mad_u32_u24 v224, v209, s4, v211
	s_lshl_b64 s[4:5], s[24:25], 4
	s_lshl_b32 s10, s39, 6
	s_lshl_b64 s[12:13], s[14:15], 6
	v_addc_co_u32_e32 v11, vcc, v9, v11, vcc
	s_lshl_b64 s[22:23], s[24:25], 5
	s_mul_i32 s11, s24, 0x300
	v_add_co_u32_e32 v174, vcc, v40, v12
	s_add_u32 s24, s22, s26
	v_addc_co_u32_e32 v169, vcc, v41, v11, vcc
	s_addc_u32 s25, s23, s27
	v_mov_b32_e32 v11, s25
	v_add_co_u32_e32 v12, vcc, s24, v6
	v_addc_co_u32_e32 v11, vcc, v11, v7, vcc
	s_mul_hi_i32 s36, s14, 48
	v_add_co_u32_e32 v176, vcc, v40, v12
	s_add_u32 s11, s11, s22
	v_addc_co_u32_e32 v173, vcc, v41, v11, vcc
	s_addc_u32 s22, s36, s23
	v_mov_b32_e32 v11, s22
	v_add_co_u32_e32 v4, vcc, s11, v4
	v_addc_co_u32_e32 v5, vcc, v11, v5, vcc
	v_add_co_u32_e32 v4, vcc, v4, v40
	v_addc_co_u32_e32 v5, vcc, v5, v41, vcc
	v_add_co_u32_e32 v178, vcc, 8, v4
	s_add_u32 s11, s4, s26
	v_addc_co_u32_e32 v175, vcc, 0, v5, vcc
	s_addc_u32 s28, s5, s27
	v_mov_b32_e32 v4, s28
	v_add_co_u32_e32 v5, vcc, s11, v6
	v_addc_co_u32_e32 v4, vcc, v4, v7, vcc
	v_add_co_u32_e32 v5, vcc, v5, v40
	v_addc_co_u32_e32 v4, vcc, v4, v41, vcc
	;; [unrolled: 2-line block ×3, first 2 shown]
	s_lshl_b64 s[16:17], s[16:17], 4
	v_mov_b32_e32 v4, s17
	v_add_co_u32_e32 v5, vcc, s16, v8
	v_addc_co_u32_e32 v4, vcc, v9, v4, vcc
	v_add_co_u32_e32 v182, vcc, v40, v5
	s_add_u32 s22, s26, s16
	v_addc_co_u32_e32 v179, vcc, v41, v4, vcc
	s_addc_u32 s23, s27, s17
	v_mov_b32_e32 v4, s23
	v_add_co_u32_e32 v5, vcc, s22, v6
	v_addc_co_u32_e32 v4, vcc, v4, v7, vcc
	v_add_co_u32_e32 v5, vcc, v5, v40
	v_addc_co_u32_e32 v4, vcc, v4, v41, vcc
	;; [unrolled: 2-line block ×3, first 2 shown]
	v_mov_b32_e32 v4, s5
	v_add_co_u32_e32 v5, vcc, s4, v8
	v_addc_co_u32_e32 v4, vcc, v9, v4, vcc
	v_add_co_u32_e32 v186, vcc, v40, v5
	s_add_u32 s22, s26, s8
	v_addc_co_u32_e32 v183, vcc, v41, v4, vcc
	s_addc_u32 s23, s27, s9
	v_mov_b32_e32 v4, s23
	v_add_co_u32_e32 v5, vcc, s22, v6
	v_addc_co_u32_e32 v4, vcc, v4, v7, vcc
	v_add_co_u32_e32 v5, vcc, v5, v40
	v_addc_co_u32_e32 v4, vcc, v4, v41, vcc
	;; [unrolled: 2-line block ×3, first 2 shown]
	s_lshl_b64 s[22:23], s[14:15], 4
	v_add_co_u32_e32 v190, vcc, v40, v8
	s_add_u32 s29, s26, s22
	v_addc_co_u32_e32 v187, vcc, v41, v9, vcc
	s_addc_u32 s34, s27, s23
	v_mov_b32_e32 v4, s34
	v_add_co_u32_e32 v5, vcc, s29, v6
	v_addc_co_u32_e32 v4, vcc, v4, v7, vcc
	s_lshl_b64 s[14:15], s[14:15], 5
	v_add_co_u32_e32 v5, vcc, v5, v40
	s_add_u32 s26, s14, s26
	v_addc_co_u32_e32 v4, vcc, v4, v41, vcc
	s_addc_u32 s27, s15, s27
	v_add_co_u32_e32 v192, vcc, 8, v5
	s_add_u32 s35, s26, s8
	v_addc_co_u32_e32 v189, vcc, 0, v4, vcc
	s_addc_u32 s36, s27, s9
	v_mov_b32_e32 v4, s36
	v_add_co_u32_e32 v5, vcc, s35, v6
	v_addc_co_u32_e32 v4, vcc, v4, v7, vcc
	v_add_co_u32_e32 v194, vcc, v40, v5
	s_add_u32 s11, s11, s22
	v_addc_co_u32_e32 v191, vcc, v41, v4, vcc
	s_addc_u32 s28, s28, s23
	v_mov_b32_e32 v4, s28
	v_add_co_u32_e32 v5, vcc, s11, v6
	v_addc_co_u32_e32 v4, vcc, v4, v7, vcc
	v_add_co_u32_e32 v5, vcc, v5, v40
	v_addc_co_u32_e32 v4, vcc, v4, v41, vcc
	v_add_co_u32_e32 v196, vcc, 8, v5
	s_add_u32 s11, s24, s14
	v_addc_co_u32_e32 v193, vcc, 0, v4, vcc
	s_addc_u32 s14, s25, s15
	v_mov_b32_e32 v4, s14
	v_add_co_u32_e32 v5, vcc, s11, v6
	v_addc_co_u32_e32 v4, vcc, v4, v7, vcc
	;; [unrolled: 9-line block ×4, first 2 shown]
	v_add_co_u32_e32 v202, vcc, v40, v5
	s_add_u32 s11, s24, s22
	v_addc_co_u32_e32 v199, vcc, v41, v4, vcc
	s_addc_u32 s14, s25, s23
	v_mov_b32_e32 v4, s14
	v_add_co_u32_e32 v5, vcc, s11, v6
	v_addc_co_u32_e32 v4, vcc, v4, v7, vcc
	v_add_co_u32_e32 v204, vcc, v40, v5
	s_add_u32 s4, s26, s4
	v_addc_co_u32_e32 v201, vcc, v41, v4, vcc
	s_addc_u32 s5, s27, s5
	v_mov_b32_e32 v4, s5
	v_add_co_u32_e32 v5, vcc, s4, v6
	v_addc_co_u32_e32 v4, vcc, v4, v7, vcc
	;; [unrolled: 7-line block ×3, first 2 shown]
	v_add_co_u32_e32 v5, vcc, v5, v40
	v_addc_co_u32_e32 v4, vcc, v4, v41, vcc
	v_add_co_u32_e32 v208, vcc, 8, v5
	v_addc_co_u32_e32 v205, vcc, 0, v4, vcc
	v_mov_b32_e32 v4, s27
	v_add_co_u32_e32 v5, vcc, s26, v6
	v_addc_co_u32_e32 v4, vcc, v4, v7, vcc
	v_add_co_u32_e32 v5, vcc, v5, v40
	v_addc_co_u32_e32 v4, vcc, v4, v41, vcc
	v_add_co_u32_e32 v210, vcc, 8, v5
	v_add_u32_e32 v215, 0x4300, v211
	v_add_u32_e32 v216, 0x4700, v211
	v_cmp_gt_u32_e64 s[2:3], 64, v42
	v_or_b32_e32 v220, 1, v212
	v_or_b32_e32 v221, 2, v212
	;; [unrolled: 1-line block ×3, first 2 shown]
	v_add_u32_e32 v225, 16, v212
	v_add_u32_e32 v226, 17, v212
	v_add_u32_e32 v227, 18, v212
	v_add_u32_e32 v228, 19, v212
	v_add_u32_e32 v229, 32, v212
	v_add_u32_e32 v230, 33, v212
	v_add_u32_e32 v231, 34, v212
	v_add_u32_e32 v232, 35, v212
	v_add_u32_e32 v233, 48, v212
	v_add_u32_e32 v234, 49, v212
	v_add_u32_e32 v235, 50, v212
	v_add_u32_e32 v236, 51, v212
	v_addc_co_u32_e32 v207, vcc, 0, v4, vcc
	v_add_u32_e32 v239, v219, v10
	v_mov_b32_e32 v4, 0
	s_cmp_eq_u32 s30, s6
	s_cselect_b32 s24, s38, 0
	s_and_saveexec_b64 s[4:5], s[0:1]
	s_cbranch_execz .LBB125_100
.LBB125_96:
	s_cmp_lg_u32 s24, 0
	s_cselect_b64 s[8:9], -1, 0
	v_cmp_le_i32_e32 vcc, s24, v168
	s_and_b64 s[8:9], s[8:9], vcc
	s_and_saveexec_b64 s[14:15], s[8:9]
	s_xor_b64 s[8:9], exec, s[14:15]
	s_cbranch_execz .LBB125_98
; %bb.97:
	v_mov_b32_e32 v5, v4
	v_mov_b32_e32 v6, v4
	;; [unrolled: 1-line block ×3, first 2 shown]
	ds_write_b128 v215, v[4:7]
.LBB125_98:
	s_andn2_saveexec_b64 s[8:9], s[8:9]
	s_cbranch_execz .LBB125_100
; %bb.99:
	s_ashr_i32 s11, s10, 31
	s_lshl_b64 s[8:9], s[10:11], 4
	v_mov_b32_e32 v5, s9
	v_add_co_u32_e32 v6, vcc, s8, v213
	v_addc_co_u32_e32 v7, vcc, v214, v5, vcc
	global_load_dwordx4 v[6:9], v[6:7], off
	s_waitcnt vmcnt(0)
	ds_write2_b64 v215, v[6:7], v[8:9] offset1:1
.LBB125_100:                            ; =>This Inner Loop Header: Depth=1
	s_or_b64 exec, exec, s[4:5]
	s_cmp_eq_u32 s24, 0
	v_add_co_u32_e32 v18, vcc, v172, v237
	s_cselect_b64 s[14:15], -1, 0
	s_cmp_lg_u32 s24, 0
	v_addc_co_u32_e32 v19, vcc, v167, v238, vcc
	s_cselect_b64 s[8:9], -1, 0
	s_and_b64 vcc, exec, s[8:9]
	s_waitcnt lgkmcnt(0)
	s_barrier
	s_cbranch_vccz .LBB125_108
; %bb.101:                              ;   in Loop: Header=BB125_100 Depth=1
	v_pk_mov_b32 v[10:11], 0, 0
	v_cmp_gt_i32_e32 vcc, s24, v212
	v_pk_mov_b32 v[6:7], v[10:11], v[10:11] op_sel:[0,1]
	v_pk_mov_b32 v[8:9], v[10:11], v[10:11] op_sel:[0,1]
	s_and_saveexec_b64 s[4:5], vcc
	s_cbranch_execz .LBB125_103
; %bb.102:                              ;   in Loop: Header=BB125_100 Depth=1
	global_load_dwordx4 v[6:9], v[18:19], off offset:-8
.LBB125_103:                            ;   in Loop: Header=BB125_100 Depth=1
	s_or_b64 exec, exec, s[4:5]
	v_cmp_gt_i32_e32 vcc, s24, v220
	v_pk_mov_b32 v[12:13], v[10:11], v[10:11] op_sel:[0,1]
	s_and_saveexec_b64 s[4:5], vcc
	s_cbranch_execz .LBB125_105
; %bb.104:                              ;   in Loop: Header=BB125_100 Depth=1
	v_add_co_u32_e32 v10, vcc, v180, v237
	v_addc_co_u32_e32 v11, vcc, v177, v238, vcc
	global_load_dwordx4 v[10:13], v[10:11], off offset:-8
.LBB125_105:                            ;   in Loop: Header=BB125_100 Depth=1
	s_or_b64 exec, exec, s[4:5]
	v_pk_mov_b32 v[14:15], 0, 0
	v_cmp_gt_i32_e32 vcc, s24, v221
	s_mov_b64 s[22:23], 0
	v_pk_mov_b32 v[16:17], v[14:15], v[14:15] op_sel:[0,1]
	s_and_saveexec_b64 s[4:5], vcc
	s_cbranch_execz .LBB125_107
; %bb.106:                              ;   in Loop: Header=BB125_100 Depth=1
	v_add_co_u32_e32 v14, vcc, v184, v237
	v_addc_co_u32_e32 v15, vcc, v181, v238, vcc
	global_load_dwordx4 v[14:17], v[14:15], off offset:-8
.LBB125_107:                            ;   in Loop: Header=BB125_100 Depth=1
	s_or_b64 exec, exec, s[4:5]
	v_cmp_gt_i32_e64 s[4:5], s24, v222
	s_mov_b64 s[16:17], 0
	s_and_b64 vcc, exec, s[22:23]
	s_cbranch_vccnz .LBB125_109
	s_branch .LBB125_110
.LBB125_108:                            ;   in Loop: Header=BB125_100 Depth=1
	s_mov_b64 s[4:5], 0
                                        ; implicit-def: $sgpr16_sgpr17
                                        ; implicit-def: $vgpr16_vgpr17
                                        ; implicit-def: $vgpr12_vgpr13
                                        ; implicit-def: $vgpr8_vgpr9
	s_cbranch_execz .LBB125_110
.LBB125_109:                            ;   in Loop: Header=BB125_100 Depth=1
	s_waitcnt vmcnt(0)
	v_add_co_u32_e32 v10, vcc, v180, v237
	v_addc_co_u32_e32 v11, vcc, v177, v238, vcc
	v_add_co_u32_e32 v14, vcc, v176, v237
	v_addc_co_u32_e32 v15, vcc, v173, v238, vcc
	global_load_dwordx4 v[6:9], v[18:19], off offset:-8
	s_or_b64 s[4:5], s[4:5], exec
	global_load_dwordx4 v[10:13], v[10:11], off offset:-8
                                        ; implicit-def: $sgpr16_sgpr17
	s_nop 0
	global_load_dwordx4 v[14:17], v[14:15], off
.LBB125_110:                            ;   in Loop: Header=BB125_100 Depth=1
	v_pk_mov_b32 v[18:19], s[16:17], s[16:17] op_sel:[0,1]
	v_pk_mov_b32 v[20:21], s[16:17], s[16:17] op_sel:[0,1]
	s_and_saveexec_b64 s[16:17], s[4:5]
	s_cbranch_execz .LBB125_112
; %bb.111:                              ;   in Loop: Header=BB125_100 Depth=1
	v_add_co_u32_e32 v18, vcc, v188, v237
	v_addc_co_u32_e32 v19, vcc, v185, v238, vcc
	global_load_dwordx4 v[18:21], v[18:19], off offset:-8
.LBB125_112:                            ;   in Loop: Header=BB125_100 Depth=1
	s_or_b64 exec, exec, s[16:17]
	ds_read_b128 v[34:37], v216
	ds_read_b128 v[22:25], v223
	v_cndmask_b32_e64 v5, 0, 1, s[8:9]
	s_andn2_b64 vcc, exec, s[8:9]
	v_add_co_u32_e64 v50, s[8:9], v192, v237
	s_waitcnt vmcnt(0) lgkmcnt(1)
	v_mul_f64 v[26:27], v[8:9], v[36:37]
	v_mul_f64 v[28:29], v[6:7], v[36:37]
	v_mul_f64 v[30:31], v[12:13], v[36:37]
	v_fma_f64 v[26:27], v[6:7], v[34:35], -v[26:27]
	v_fmac_f64_e32 v[28:29], v[8:9], v[34:35]
	v_mul_f64 v[32:33], v[10:11], v[36:37]
	ds_write_b128 v224, v[26:29]
	v_fma_f64 v[30:31], v[10:11], v[34:35], -v[30:31]
	v_fmac_f64_e32 v[32:33], v[12:13], v[34:35]
	v_mul_f64 v[38:39], v[16:17], v[36:37]
	v_mul_f64 v[40:41], v[14:15], v[36:37]
	ds_read_b128 v[26:29], v223 offset:16
	ds_write_b128 v224, v[30:33] offset:1072
	v_fma_f64 v[38:39], v[14:15], v[34:35], -v[38:39]
	v_fmac_f64_e32 v[40:41], v[16:17], v[34:35]
	v_mul_f64 v[42:43], v[20:21], v[36:37]
	v_mul_f64 v[44:45], v[18:19], v[36:37]
	ds_read_b128 v[30:33], v223 offset:32
	ds_write_b128 v224, v[38:41] offset:2144
	v_fma_f64 v[42:43], v[18:19], v[34:35], -v[42:43]
	v_fmac_f64_e32 v[44:45], v[20:21], v[34:35]
	ds_read_b128 v[38:41], v223 offset:48
	ds_write_b128 v224, v[42:45] offset:3216
	s_waitcnt lgkmcnt(0)
	s_barrier
	ds_read_b128 v[94:97], v219
	ds_read_b128 v[90:93], v219 offset:16
	ds_read_b128 v[86:89], v219 offset:32
	;; [unrolled: 1-line block ×3, first 2 shown]
	v_cmp_ne_u32_e64 s[4:5], 1, v5
	v_addc_co_u32_e64 v51, s[8:9], v189, v238, s[8:9]
	s_waitcnt lgkmcnt(0)
	s_barrier
	s_cbranch_vccnz .LBB125_120
; %bb.113:                              ;   in Loop: Header=BB125_100 Depth=1
	v_pk_mov_b32 v[42:43], 0, 0
	v_cmp_gt_i32_e32 vcc, s24, v225
	v_pk_mov_b32 v[34:35], v[42:43], v[42:43] op_sel:[0,1]
	v_pk_mov_b32 v[36:37], v[42:43], v[42:43] op_sel:[0,1]
	s_and_saveexec_b64 s[8:9], vcc
	s_cbranch_execz .LBB125_115
; %bb.114:                              ;   in Loop: Header=BB125_100 Depth=1
	global_load_dwordx4 v[34:37], v[50:51], off offset:-8
.LBB125_115:                            ;   in Loop: Header=BB125_100 Depth=1
	s_or_b64 exec, exec, s[8:9]
	v_cmp_gt_i32_e32 vcc, s24, v226
	v_pk_mov_b32 v[44:45], v[42:43], v[42:43] op_sel:[0,1]
	s_and_saveexec_b64 s[8:9], vcc
	s_cbranch_execz .LBB125_117
; %bb.116:                              ;   in Loop: Header=BB125_100 Depth=1
	v_add_co_u32_e32 v42, vcc, v196, v237
	v_addc_co_u32_e32 v43, vcc, v193, v238, vcc
	global_load_dwordx4 v[42:45], v[42:43], off offset:-8
.LBB125_117:                            ;   in Loop: Header=BB125_100 Depth=1
	s_or_b64 exec, exec, s[8:9]
	v_pk_mov_b32 v[46:47], 0, 0
	v_cmp_gt_i32_e32 vcc, s24, v227
	s_mov_b64 s[22:23], 0
	v_pk_mov_b32 v[48:49], v[46:47], v[46:47] op_sel:[0,1]
	s_and_saveexec_b64 s[8:9], vcc
	s_cbranch_execz .LBB125_119
; %bb.118:                              ;   in Loop: Header=BB125_100 Depth=1
	v_add_co_u32_e32 v46, vcc, v200, v237
	v_addc_co_u32_e32 v47, vcc, v197, v238, vcc
	global_load_dwordx4 v[46:49], v[46:47], off offset:-8
.LBB125_119:                            ;   in Loop: Header=BB125_100 Depth=1
	s_or_b64 exec, exec, s[8:9]
	v_cmp_gt_i32_e64 s[8:9], s24, v228
	s_mov_b64 s[16:17], 0
	s_and_b64 vcc, exec, s[22:23]
	s_cbranch_vccnz .LBB125_121
	s_branch .LBB125_122
.LBB125_120:                            ;   in Loop: Header=BB125_100 Depth=1
	s_mov_b64 s[8:9], 0
                                        ; implicit-def: $sgpr16_sgpr17
                                        ; implicit-def: $vgpr48_vgpr49
                                        ; implicit-def: $vgpr44_vgpr45
                                        ; implicit-def: $vgpr36_vgpr37
	s_cbranch_execz .LBB125_122
.LBB125_121:                            ;   in Loop: Header=BB125_100 Depth=1
	s_waitcnt vmcnt(0)
	v_add_co_u32_e32 v42, vcc, v196, v237
	v_addc_co_u32_e32 v43, vcc, v193, v238, vcc
	v_add_co_u32_e32 v46, vcc, v204, v237
	v_addc_co_u32_e32 v47, vcc, v201, v238, vcc
	global_load_dwordx4 v[34:37], v[50:51], off offset:-8
	s_or_b64 s[8:9], s[8:9], exec
	global_load_dwordx4 v[42:45], v[42:43], off offset:-8
                                        ; implicit-def: $sgpr16_sgpr17
	s_nop 0
	global_load_dwordx4 v[46:49], v[46:47], off
.LBB125_122:                            ;   in Loop: Header=BB125_100 Depth=1
	v_pk_mov_b32 v[50:51], s[16:17], s[16:17] op_sel:[0,1]
	v_pk_mov_b32 v[52:53], s[16:17], s[16:17] op_sel:[0,1]
	s_and_saveexec_b64 s[16:17], s[8:9]
	s_cbranch_execz .LBB125_124
; %bb.123:                              ;   in Loop: Header=BB125_100 Depth=1
	v_add_co_u32_e32 v50, vcc, v208, v237
	v_addc_co_u32_e32 v51, vcc, v205, v238, vcc
	global_load_dwordx4 v[50:53], v[50:51], off offset:-8
.LBB125_124:                            ;   in Loop: Header=BB125_100 Depth=1
	s_or_b64 exec, exec, s[16:17]
	ds_read_b128 v[66:69], v216
	ds_read_b128 v[54:57], v223 offset:256
	v_add_co_u32_e64 v98, s[8:9], v210, v237
	s_and_b64 vcc, exec, s[4:5]
	s_waitcnt vmcnt(0) lgkmcnt(1)
	v_mul_f64 v[58:59], v[36:37], v[68:69]
	v_mul_f64 v[60:61], v[34:35], v[68:69]
	;; [unrolled: 1-line block ×3, first 2 shown]
	v_fma_f64 v[58:59], v[34:35], v[66:67], -v[58:59]
	v_fmac_f64_e32 v[60:61], v[36:37], v[66:67]
	v_mul_f64 v[64:65], v[42:43], v[68:69]
	ds_write_b128 v224, v[58:61]
	v_fma_f64 v[62:63], v[42:43], v[66:67], -v[62:63]
	v_fmac_f64_e32 v[64:65], v[44:45], v[66:67]
	v_mul_f64 v[70:71], v[48:49], v[68:69]
	v_mul_f64 v[72:73], v[46:47], v[68:69]
	ds_read_b128 v[58:61], v223 offset:272
	ds_write_b128 v224, v[62:65] offset:1072
	v_fma_f64 v[70:71], v[46:47], v[66:67], -v[70:71]
	v_fmac_f64_e32 v[72:73], v[48:49], v[66:67]
	v_mul_f64 v[74:75], v[52:53], v[68:69]
	v_mul_f64 v[76:77], v[50:51], v[68:69]
	ds_read_b128 v[62:65], v223 offset:288
	ds_write_b128 v224, v[70:73] offset:2144
	v_fma_f64 v[74:75], v[50:51], v[66:67], -v[74:75]
	v_fmac_f64_e32 v[76:77], v[52:53], v[66:67]
	ds_read_b128 v[70:73], v223 offset:304
	ds_write_b128 v224, v[74:77] offset:3216
	s_waitcnt lgkmcnt(0)
	s_barrier
	ds_read_b128 v[146:149], v219
	ds_read_b128 v[142:145], v219 offset:16
	ds_read_b128 v[138:141], v219 offset:32
	;; [unrolled: 1-line block ×3, first 2 shown]
	v_addc_co_u32_e64 v99, s[8:9], v207, v238, s[8:9]
	s_waitcnt lgkmcnt(0)
	s_barrier
	s_cbranch_vccnz .LBB125_132
; %bb.125:                              ;   in Loop: Header=BB125_100 Depth=1
	v_pk_mov_b32 v[74:75], 0, 0
	v_cmp_gt_i32_e32 vcc, s24, v229
	v_pk_mov_b32 v[66:67], v[74:75], v[74:75] op_sel:[0,1]
	v_pk_mov_b32 v[68:69], v[74:75], v[74:75] op_sel:[0,1]
	s_and_saveexec_b64 s[8:9], vcc
	s_cbranch_execz .LBB125_127
; %bb.126:                              ;   in Loop: Header=BB125_100 Depth=1
	global_load_dwordx4 v[66:69], v[98:99], off offset:-8
.LBB125_127:                            ;   in Loop: Header=BB125_100 Depth=1
	s_or_b64 exec, exec, s[8:9]
	v_cmp_gt_i32_e32 vcc, s24, v230
	v_pk_mov_b32 v[76:77], v[74:75], v[74:75] op_sel:[0,1]
	s_and_saveexec_b64 s[8:9], vcc
	s_cbranch_execz .LBB125_129
; %bb.128:                              ;   in Loop: Header=BB125_100 Depth=1
	v_add_co_u32_e32 v74, vcc, v206, v237
	v_addc_co_u32_e32 v75, vcc, v203, v238, vcc
	global_load_dwordx4 v[74:77], v[74:75], off
.LBB125_129:                            ;   in Loop: Header=BB125_100 Depth=1
	s_or_b64 exec, exec, s[8:9]
	v_pk_mov_b32 v[78:79], 0, 0
	v_cmp_gt_i32_e32 vcc, s24, v231
	s_mov_b64 s[22:23], 0
	v_pk_mov_b32 v[80:81], v[78:79], v[78:79] op_sel:[0,1]
	s_and_saveexec_b64 s[8:9], vcc
	s_cbranch_execz .LBB125_131
; %bb.130:                              ;   in Loop: Header=BB125_100 Depth=1
	v_add_co_u32_e32 v78, vcc, v202, v237
	v_addc_co_u32_e32 v79, vcc, v199, v238, vcc
	global_load_dwordx4 v[78:81], v[78:79], off
.LBB125_131:                            ;   in Loop: Header=BB125_100 Depth=1
	s_or_b64 exec, exec, s[8:9]
	v_cmp_gt_i32_e64 s[8:9], s24, v232
	s_mov_b64 s[16:17], 0
	s_and_b64 vcc, exec, s[22:23]
	s_cbranch_vccnz .LBB125_133
	s_branch .LBB125_134
.LBB125_132:                            ;   in Loop: Header=BB125_100 Depth=1
	s_mov_b64 s[8:9], 0
                                        ; implicit-def: $sgpr16_sgpr17
                                        ; implicit-def: $vgpr80_vgpr81
                                        ; implicit-def: $vgpr76_vgpr77
                                        ; implicit-def: $vgpr68_vgpr69
	s_cbranch_execz .LBB125_134
.LBB125_133:                            ;   in Loop: Header=BB125_100 Depth=1
	s_waitcnt vmcnt(0)
	v_add_co_u32_e32 v74, vcc, v206, v237
	v_addc_co_u32_e32 v75, vcc, v203, v238, vcc
	v_add_co_u32_e32 v78, vcc, v198, v237
	v_addc_co_u32_e32 v79, vcc, v195, v238, vcc
	global_load_dwordx4 v[66:69], v[98:99], off offset:-8
	s_or_b64 s[8:9], s[8:9], exec
	global_load_dwordx4 v[74:77], v[74:75], off
                                        ; implicit-def: $sgpr16_sgpr17
	s_nop 0
	global_load_dwordx4 v[78:81], v[78:79], off offset:-8
.LBB125_134:                            ;   in Loop: Header=BB125_100 Depth=1
	v_pk_mov_b32 v[98:99], s[16:17], s[16:17] op_sel:[0,1]
	v_pk_mov_b32 v[100:101], s[16:17], s[16:17] op_sel:[0,1]
	s_and_saveexec_b64 s[16:17], s[8:9]
	s_cbranch_execz .LBB125_136
; %bb.135:                              ;   in Loop: Header=BB125_100 Depth=1
	v_add_co_u32_e32 v98, vcc, v194, v237
	v_addc_co_u32_e32 v99, vcc, v191, v238, vcc
	global_load_dwordx4 v[98:101], v[98:99], off
.LBB125_136:                            ;   in Loop: Header=BB125_100 Depth=1
	s_or_b64 exec, exec, s[16:17]
	ds_read_b128 v[114:117], v216
	ds_read_b128 v[102:105], v223 offset:512
	s_and_b64 vcc, exec, s[4:5]
	v_add_co_u32_e64 v130, s[4:5], v190, v237
	s_waitcnt vmcnt(0) lgkmcnt(1)
	v_mul_f64 v[106:107], v[68:69], v[116:117]
	v_mul_f64 v[108:109], v[66:67], v[116:117]
	;; [unrolled: 1-line block ×3, first 2 shown]
	v_fma_f64 v[106:107], v[66:67], v[114:115], -v[106:107]
	v_fmac_f64_e32 v[108:109], v[68:69], v[114:115]
	v_mul_f64 v[112:113], v[74:75], v[116:117]
	ds_write_b128 v224, v[106:109]
	v_fma_f64 v[110:111], v[74:75], v[114:115], -v[110:111]
	v_fmac_f64_e32 v[112:113], v[76:77], v[114:115]
	v_mul_f64 v[118:119], v[80:81], v[116:117]
	v_mul_f64 v[120:121], v[78:79], v[116:117]
	ds_read_b128 v[106:109], v223 offset:528
	ds_write_b128 v224, v[110:113] offset:1072
	v_fma_f64 v[118:119], v[78:79], v[114:115], -v[118:119]
	v_fmac_f64_e32 v[120:121], v[80:81], v[114:115]
	v_mul_f64 v[122:123], v[100:101], v[116:117]
	v_mul_f64 v[124:125], v[98:99], v[116:117]
	ds_read_b128 v[110:113], v223 offset:544
	ds_write_b128 v224, v[118:121] offset:2144
	v_fma_f64 v[122:123], v[98:99], v[114:115], -v[122:123]
	v_fmac_f64_e32 v[124:125], v[100:101], v[114:115]
	ds_read_b128 v[118:121], v223 offset:560
	ds_write_b128 v224, v[122:125] offset:3216
	s_waitcnt lgkmcnt(0)
	s_barrier
	ds_read_b128 v[162:165], v219
	ds_read_b128 v[158:161], v219 offset:16
	ds_read_b128 v[154:157], v219 offset:32
	;; [unrolled: 1-line block ×3, first 2 shown]
	v_addc_co_u32_e64 v131, s[4:5], v187, v238, s[4:5]
	s_waitcnt lgkmcnt(0)
	s_barrier
	s_cbranch_vccnz .LBB125_144
; %bb.137:                              ;   in Loop: Header=BB125_100 Depth=1
	v_pk_mov_b32 v[122:123], 0, 0
	v_cmp_gt_i32_e32 vcc, s24, v233
	v_pk_mov_b32 v[114:115], v[122:123], v[122:123] op_sel:[0,1]
	v_pk_mov_b32 v[116:117], v[122:123], v[122:123] op_sel:[0,1]
	s_and_saveexec_b64 s[4:5], vcc
	s_cbranch_execz .LBB125_139
; %bb.138:                              ;   in Loop: Header=BB125_100 Depth=1
	global_load_dwordx4 v[114:117], v[130:131], off
.LBB125_139:                            ;   in Loop: Header=BB125_100 Depth=1
	s_or_b64 exec, exec, s[4:5]
	v_cmp_gt_i32_e32 vcc, s24, v234
	v_pk_mov_b32 v[124:125], v[122:123], v[122:123] op_sel:[0,1]
	s_and_saveexec_b64 s[4:5], vcc
	s_cbranch_execz .LBB125_141
; %bb.140:                              ;   in Loop: Header=BB125_100 Depth=1
	v_add_co_u32_e32 v122, vcc, v186, v237
	v_addc_co_u32_e32 v123, vcc, v183, v238, vcc
	global_load_dwordx4 v[122:125], v[122:123], off
.LBB125_141:                            ;   in Loop: Header=BB125_100 Depth=1
	s_or_b64 exec, exec, s[4:5]
	v_pk_mov_b32 v[126:127], 0, 0
	v_cmp_gt_i32_e32 vcc, s24, v235
	s_mov_b64 s[16:17], 0
	v_pk_mov_b32 v[128:129], v[126:127], v[126:127] op_sel:[0,1]
	s_and_saveexec_b64 s[4:5], vcc
	s_cbranch_execz .LBB125_143
; %bb.142:                              ;   in Loop: Header=BB125_100 Depth=1
	v_add_co_u32_e32 v126, vcc, v182, v237
	v_addc_co_u32_e32 v127, vcc, v179, v238, vcc
	global_load_dwordx4 v[126:129], v[126:127], off
.LBB125_143:                            ;   in Loop: Header=BB125_100 Depth=1
	s_or_b64 exec, exec, s[4:5]
	v_cmp_gt_i32_e64 s[4:5], s24, v236
	s_mov_b64 s[8:9], 0
	s_and_b64 vcc, exec, s[16:17]
	s_cbranch_vccnz .LBB125_145
	s_branch .LBB125_146
.LBB125_144:                            ;   in Loop: Header=BB125_100 Depth=1
	s_mov_b64 s[4:5], 0
                                        ; implicit-def: $sgpr8_sgpr9
                                        ; implicit-def: $vgpr128_vgpr129
                                        ; implicit-def: $vgpr124_vgpr125
                                        ; implicit-def: $vgpr116_vgpr117
	s_cbranch_execz .LBB125_146
.LBB125_145:                            ;   in Loop: Header=BB125_100 Depth=1
	s_waitcnt vmcnt(0)
	v_add_co_u32_e32 v122, vcc, v186, v237
	v_addc_co_u32_e32 v123, vcc, v183, v238, vcc
	v_add_co_u32_e32 v126, vcc, v178, v237
	v_addc_co_u32_e32 v127, vcc, v175, v238, vcc
	global_load_dwordx4 v[114:117], v[130:131], off
	s_or_b64 s[4:5], s[4:5], exec
	global_load_dwordx4 v[122:125], v[122:123], off
                                        ; implicit-def: $sgpr8_sgpr9
	s_nop 0
	global_load_dwordx4 v[126:129], v[126:127], off offset:-8
.LBB125_146:                            ;   in Loop: Header=BB125_100 Depth=1
	v_pk_mov_b32 v[130:131], s[8:9], s[8:9] op_sel:[0,1]
	v_pk_mov_b32 v[132:133], s[8:9], s[8:9] op_sel:[0,1]
	s_and_saveexec_b64 s[8:9], s[4:5]
	s_cbranch_execz .LBB125_148
; %bb.147:                              ;   in Loop: Header=BB125_100 Depth=1
	v_add_co_u32_e32 v130, vcc, v174, v237
	v_addc_co_u32_e32 v131, vcc, v169, v238, vcc
	global_load_dwordx4 v[130:133], v[130:131], off
.LBB125_148:                            ;   in Loop: Header=BB125_100 Depth=1
	s_or_b64 exec, exec, s[8:9]
	v_add_f64 v[146:147], v[146:147], 0
	v_add_f64 v[148:149], v[148:149], 0
	;; [unrolled: 1-line block ×6, first 2 shown]
	ds_read_b128 v[142:145], v216
	v_add_f64 v[162:163], v[162:163], 0
	v_add_f64 v[94:95], v[94:95], 0
	;; [unrolled: 1-line block ×11, first 2 shown]
	ds_read_b128 v[86:89], v223 offset:768
	s_waitcnt vmcnt(0) lgkmcnt(1)
	v_mul_f64 v[90:91], v[116:117], v[144:145]
	v_mul_f64 v[92:93], v[114:115], v[144:145]
	v_fma_f64 v[90:91], v[114:115], v[142:143], -v[90:91]
	v_fmac_f64_e32 v[92:93], v[116:117], v[142:143]
	v_mul_f64 v[94:95], v[124:125], v[144:145]
	v_mul_f64 v[96:97], v[122:123], v[144:145]
	v_add_f64 v[138:139], v[138:139], v[134:135]
	v_add_f64 v[140:141], v[140:141], v[136:137]
	ds_write_b128 v224, v[90:93]
	v_fma_f64 v[94:95], v[122:123], v[142:143], -v[94:95]
	v_fmac_f64_e32 v[96:97], v[124:125], v[142:143]
	v_mul_f64 v[134:135], v[128:129], v[144:145]
	v_mul_f64 v[136:137], v[126:127], v[144:145]
	ds_read_b128 v[90:93], v223 offset:784
	ds_write_b128 v224, v[94:97] offset:1072
	v_fma_f64 v[134:135], v[126:127], v[142:143], -v[134:135]
	v_fmac_f64_e32 v[136:137], v[128:129], v[142:143]
	v_mul_f64 v[146:147], v[132:133], v[144:145]
	v_mul_f64 v[148:149], v[130:131], v[144:145]
	ds_read_b128 v[94:97], v223 offset:800
	ds_write_b128 v224, v[134:137] offset:2144
	v_fma_f64 v[146:147], v[130:131], v[142:143], -v[146:147]
	v_fmac_f64_e32 v[148:149], v[132:133], v[142:143]
	v_add_f64 v[164:165], v[164:165], 0
	ds_read_b128 v[134:137], v223 offset:816
	ds_write_b128 v224, v[146:149] offset:3216
	s_waitcnt lgkmcnt(0)
	s_barrier
	ds_read_b128 v[142:145], v219
	v_add_f64 v[160:161], v[164:165], v[160:161]
	v_add_f64 v[156:157], v[160:161], v[156:157]
	;; [unrolled: 1-line block ×4, first 2 shown]
	ds_read_b128 v[146:149], v219 offset:16
	ds_read_b128 v[154:157], v219 offset:32
	;; [unrolled: 1-line block ×3, first 2 shown]
	s_waitcnt lgkmcnt(3)
	v_add_f64 v[142:143], v[142:143], 0
	v_add_f64 v[144:145], v[144:145], 0
	v_cmp_gt_i32_e32 vcc, s24, v168
	s_waitcnt lgkmcnt(2)
	v_add_f64 v[142:143], v[142:143], v[146:147]
	v_add_f64 v[144:145], v[144:145], v[148:149]
	s_or_b64 s[4:5], s[14:15], vcc
	s_waitcnt lgkmcnt(1)
	v_add_f64 v[142:143], v[142:143], v[154:155]
	v_add_f64 v[144:145], v[144:145], v[156:157]
	s_and_b64 s[8:9], s[2:3], s[4:5]
	s_waitcnt lgkmcnt(0)
	v_add_f64 v[142:143], v[142:143], v[158:159]
	v_add_f64 v[144:145], v[144:145], v[160:161]
	s_barrier
	ds_write_b128 v239, v[82:85]
	ds_write_b128 v239, v[138:141] offset:256
	ds_write_b128 v239, v[150:153] offset:512
	;; [unrolled: 1-line block ×3, first 2 shown]
	s_waitcnt lgkmcnt(0)
	s_barrier
	s_and_saveexec_b64 s[4:5], s[8:9]
	s_cbranch_execz .LBB125_150
; %bb.149:                              ;   in Loop: Header=BB125_100 Depth=1
	ds_read_b128 v[82:85], v217
	ds_read_b128 v[138:141], v217 offset:16
	ds_read_b128 v[142:145], v217 offset:32
	;; [unrolled: 1-line block ×3, first 2 shown]
	v_ashrrev_i32_e32 v171, 31, v170
	v_mov_b32_e32 v5, s19
	s_waitcnt lgkmcnt(2)
	v_add_f64 v[82:83], v[138:139], v[82:83]
	v_add_f64 v[138:139], v[140:141], v[84:85]
	s_waitcnt lgkmcnt(1)
	v_add_f64 v[140:141], v[82:83], v[142:143]
	ds_read_b128 v[82:85], v217 offset:64
	v_add_f64 v[142:143], v[138:139], v[144:145]
	s_waitcnt lgkmcnt(1)
	v_add_f64 v[144:145], v[140:141], v[146:147]
	ds_read_b128 v[138:141], v217 offset:80
	;; [unrolled: 4-line block ×9, first 2 shown]
	v_add_f64 v[84:85], v[146:147], v[84:85]
	s_waitcnt lgkmcnt(1)
	v_add_f64 v[138:139], v[82:83], v[138:139]
	v_add_f64 v[146:147], v[84:85], v[140:141]
	ds_read_b128 v[82:85], v217 offset:208
	s_waitcnt lgkmcnt(1)
	v_add_f64 v[148:149], v[138:139], v[142:143]
	ds_read_b128 v[138:141], v217 offset:224
	v_add_f64 v[146:147], v[146:147], v[144:145]
	ds_read_b128 v[142:145], v218
	s_waitcnt lgkmcnt(2)
	v_add_f64 v[82:83], v[148:149], v[82:83]
	v_add_f64 v[84:85], v[146:147], v[84:85]
	s_waitcnt lgkmcnt(1)
	v_add_f64 v[82:83], v[82:83], v[138:139]
	v_lshlrev_b64 v[138:139], 4, v[170:171]
	v_add_f64 v[84:85], v[84:85], v[140:141]
	v_add_co_u32_e32 v138, vcc, s7, v138
	s_waitcnt lgkmcnt(0)
	v_add_f64 v[82:83], v[82:83], v[142:143]
	v_add_f64 v[84:85], v[84:85], v[144:145]
	v_addc_co_u32_e32 v139, vcc, v5, v139, vcc
	global_store_dwordx4 v[138:139], v[82:85], off
.LBB125_150:                            ;   in Loop: Header=BB125_100 Depth=1
	s_or_b64 exec, exec, s[4:5]
	v_mov_b32_e32 v5, s13
	v_add_co_u32_e32 v172, vcc, s12, v172
	v_addc_co_u32_e32 v167, vcc, v167, v5, vcc
	v_add_co_u32_e32 v174, vcc, s12, v174
	v_addc_co_u32_e32 v169, vcc, v169, v5, vcc
	;; [unrolled: 2-line block ×4, first 2 shown]
	v_add_co_u32_e32 v180, vcc, s12, v180
	v_mul_f64 v[82:83], v[8:9], v[24:25]
	v_addc_co_u32_e32 v177, vcc, v177, v5, vcc
	v_fma_f64 v[82:83], v[6:7], v[22:23], -v[82:83]
	v_mul_f64 v[6:7], v[6:7], v[24:25]
	v_mul_f64 v[24:25], v[12:13], v[28:29]
	v_add_co_u32_e32 v182, vcc, s12, v182
	v_add_f64 v[0:1], v[0:1], v[82:83]
	v_fma_f64 v[24:25], v[10:11], v[26:27], -v[24:25]
	v_addc_co_u32_e32 v179, vcc, v179, v5, vcc
	v_add_f64 v[0:1], v[0:1], v[24:25]
	v_mul_f64 v[24:25], v[16:17], v[32:33]
	v_add_co_u32_e32 v184, vcc, s12, v184
	v_fma_f64 v[24:25], v[14:15], v[30:31], -v[24:25]
	v_addc_co_u32_e32 v181, vcc, v181, v5, vcc
	v_add_f64 v[0:1], v[0:1], v[24:25]
	v_mul_f64 v[24:25], v[20:21], v[40:41]
	v_fmac_f64_e32 v[6:7], v[8:9], v[22:23]
	v_add_co_u32_e32 v186, vcc, s12, v186
	v_fma_f64 v[24:25], v[18:19], v[38:39], -v[24:25]
	v_add_f64 v[2:3], v[2:3], v[6:7]
	v_mul_f64 v[6:7], v[36:37], v[56:57]
	v_addc_co_u32_e32 v183, vcc, v183, v5, vcc
	v_add_f64 v[0:1], v[0:1], v[24:25]
	v_fma_f64 v[6:7], v[34:35], v[54:55], -v[6:7]
	v_add_co_u32_e32 v188, vcc, s12, v188
	v_add_f64 v[0:1], v[0:1], v[6:7]
	v_mul_f64 v[6:7], v[44:45], v[60:61]
	v_addc_co_u32_e32 v185, vcc, v185, v5, vcc
	v_fma_f64 v[6:7], v[42:43], v[58:59], -v[6:7]
	v_add_co_u32_e32 v190, vcc, s12, v190
	v_add_f64 v[0:1], v[0:1], v[6:7]
	v_mul_f64 v[6:7], v[48:49], v[64:65]
	v_addc_co_u32_e32 v187, vcc, v187, v5, vcc
	;; [unrolled: 5-line block ×3, first 2 shown]
	v_fma_f64 v[6:7], v[50:51], v[70:71], -v[6:7]
	v_add_co_u32_e32 v194, vcc, s12, v194
	v_mul_f64 v[10:11], v[10:11], v[28:29]
	v_add_f64 v[0:1], v[0:1], v[6:7]
	v_mul_f64 v[6:7], v[68:69], v[104:105]
	v_addc_co_u32_e32 v191, vcc, v191, v5, vcc
	v_mul_f64 v[14:15], v[14:15], v[32:33]
	v_fmac_f64_e32 v[10:11], v[12:13], v[26:27]
	v_fma_f64 v[6:7], v[66:67], v[102:103], -v[6:7]
	v_add_co_u32_e32 v196, vcc, s12, v196
	v_mul_f64 v[18:19], v[18:19], v[40:41]
	v_add_f64 v[2:3], v[2:3], v[10:11]
	v_fmac_f64_e32 v[14:15], v[16:17], v[30:31]
	v_add_f64 v[0:1], v[0:1], v[6:7]
	v_mul_f64 v[6:7], v[76:77], v[108:109]
	v_addc_co_u32_e32 v193, vcc, v193, v5, vcc
	v_add_f64 v[2:3], v[2:3], v[14:15]
	v_fmac_f64_e32 v[18:19], v[20:21], v[38:39]
	v_mul_f64 v[8:9], v[34:35], v[56:57]
	v_fma_f64 v[6:7], v[74:75], v[106:107], -v[6:7]
	v_add_co_u32_e32 v198, vcc, s12, v198
	v_add_f64 v[2:3], v[2:3], v[18:19]
	v_mul_f64 v[10:11], v[42:43], v[60:61]
	v_fmac_f64_e32 v[8:9], v[36:37], v[54:55]
	v_add_f64 v[0:1], v[0:1], v[6:7]
	v_mul_f64 v[6:7], v[80:81], v[112:113]
	v_addc_co_u32_e32 v195, vcc, v195, v5, vcc
	v_mul_f64 v[12:13], v[46:47], v[64:65]
	v_add_f64 v[2:3], v[2:3], v[8:9]
	v_fmac_f64_e32 v[10:11], v[44:45], v[58:59]
	v_fma_f64 v[6:7], v[78:79], v[110:111], -v[6:7]
	v_add_co_u32_e32 v200, vcc, s12, v200
	v_mul_f64 v[14:15], v[50:51], v[72:73]
	v_add_f64 v[2:3], v[2:3], v[10:11]
	v_fmac_f64_e32 v[12:13], v[48:49], v[62:63]
	v_add_f64 v[0:1], v[0:1], v[6:7]
	v_mul_f64 v[6:7], v[100:101], v[120:121]
	v_addc_co_u32_e32 v197, vcc, v197, v5, vcc
	v_add_f64 v[2:3], v[2:3], v[12:13]
	v_fmac_f64_e32 v[14:15], v[52:53], v[70:71]
	v_mul_f64 v[8:9], v[66:67], v[104:105]
	v_fma_f64 v[6:7], v[98:99], v[118:119], -v[6:7]
	v_add_co_u32_e32 v202, vcc, s12, v202
	v_add_f64 v[2:3], v[2:3], v[14:15]
	v_mul_f64 v[10:11], v[74:75], v[108:109]
	v_add_f64 v[0:1], v[0:1], v[6:7]
	v_fmac_f64_e32 v[8:9], v[68:69], v[102:103]
	v_mul_f64 v[6:7], v[116:117], v[88:89]
	v_addc_co_u32_e32 v199, vcc, v199, v5, vcc
	v_mul_f64 v[12:13], v[78:79], v[112:113]
	v_add_f64 v[2:3], v[2:3], v[8:9]
	v_fmac_f64_e32 v[10:11], v[76:77], v[106:107]
	v_fma_f64 v[6:7], v[114:115], v[86:87], -v[6:7]
	v_add_co_u32_e32 v204, vcc, s12, v204
	v_mul_f64 v[14:15], v[98:99], v[120:121]
	v_add_f64 v[2:3], v[2:3], v[10:11]
	v_fmac_f64_e32 v[12:13], v[80:81], v[110:111]
	v_add_f64 v[0:1], v[0:1], v[6:7]
	v_mul_f64 v[6:7], v[124:125], v[92:93]
	v_addc_co_u32_e32 v201, vcc, v201, v5, vcc
	v_add_f64 v[2:3], v[2:3], v[12:13]
	v_fmac_f64_e32 v[14:15], v[100:101], v[118:119]
	v_mul_f64 v[8:9], v[114:115], v[88:89]
	v_fma_f64 v[6:7], v[122:123], v[90:91], -v[6:7]
	v_add_co_u32_e32 v206, vcc, s12, v206
	v_add_f64 v[2:3], v[2:3], v[14:15]
	v_mul_f64 v[10:11], v[122:123], v[92:93]
	v_add_f64 v[0:1], v[0:1], v[6:7]
	v_mul_f64 v[6:7], v[128:129], v[96:97]
	v_fmac_f64_e32 v[8:9], v[116:117], v[86:87]
	v_addc_co_u32_e32 v203, vcc, v203, v5, vcc
	v_fma_f64 v[6:7], v[126:127], v[94:95], -v[6:7]
	v_mul_f64 v[12:13], v[126:127], v[96:97]
	v_fmac_f64_e32 v[10:11], v[124:125], v[90:91]
	v_add_f64 v[2:3], v[2:3], v[8:9]
	v_add_co_u32_e32 v208, vcc, s12, v208
	v_add_f64 v[0:1], v[0:1], v[6:7]
	v_mul_f64 v[6:7], v[132:133], v[136:137]
	v_mul_f64 v[14:15], v[130:131], v[136:137]
	v_fmac_f64_e32 v[12:13], v[128:129], v[94:95]
	v_add_f64 v[2:3], v[2:3], v[10:11]
	v_addc_co_u32_e32 v205, vcc, v205, v5, vcc
	v_fma_f64 v[6:7], v[130:131], v[134:135], -v[6:7]
	v_fmac_f64_e32 v[14:15], v[132:133], v[134:135]
	v_add_f64 v[2:3], v[2:3], v[12:13]
	s_add_i32 s4, s6, 1
	s_add_i32 s10, s10, s31
	s_add_i32 s5, s6, 2
	v_add_co_u32_e32 v210, vcc, s12, v210
	v_add_f64 v[0:1], v[0:1], v[6:7]
	v_add_f64 v[2:3], v[2:3], v[14:15]
	v_add_u32_e32 v170, 64, v170
	s_cmp_ge_u32 s5, s33
	v_addc_co_u32_e32 v207, vcc, v207, v5, vcc
	s_barrier
	s_cbranch_scc1 .LBB125_152
; %bb.151:                              ;   in Loop: Header=BB125_100 Depth=1
	s_mov_b32 s6, s4
	s_cmp_eq_u32 s30, s6
	s_cselect_b32 s24, s38, 0
	s_and_saveexec_b64 s[4:5], s[0:1]
	s_cbranch_execnz .LBB125_96
	s_branch .LBB125_100
.LBB125_152:
	s_movk_i32 s2, 0x430
	v_cmp_gt_i32_e32 vcc, s18, v168
	v_mad_u32_u24 v4, v209, s2, v211
	s_or_b64 s[2:3], s[20:21], vcc
	s_and_b64 s[0:1], s[0:1], s[2:3]
	ds_write_b128 v4, v[0:3]
	s_waitcnt lgkmcnt(0)
	s_barrier
	s_and_saveexec_b64 s[2:3], s[0:1]
	s_cbranch_execz .LBB125_154
; %bb.153:
	ds_read_b128 v[0:3], v211 offset:1072
	ds_read_b128 v[4:7], v211
	ds_read_b128 v[8:11], v211 offset:2144
	ds_read_b128 v[12:15], v211 offset:3216
	v_ashrrev_i32_e32 v167, 31, v166
	s_waitcnt lgkmcnt(2)
	v_add_f64 v[0:1], v[0:1], v[4:5]
	v_add_f64 v[2:3], v[2:3], v[6:7]
	v_lshlrev_b64 v[4:5], 4, v[166:167]
	s_waitcnt lgkmcnt(1)
	v_add_f64 v[0:1], v[0:1], v[8:9]
	v_add_f64 v[2:3], v[2:3], v[10:11]
	v_mov_b32_e32 v6, s19
	v_add_co_u32_e32 v4, vcc, s7, v4
	s_waitcnt lgkmcnt(0)
	v_add_f64 v[0:1], v[0:1], v[12:13]
	v_add_f64 v[2:3], v[2:3], v[14:15]
	v_addc_co_u32_e32 v5, vcc, v6, v5, vcc
	global_store_dwordx4 v[4:5], v[0:3], off
.LBB125_154:
	s_endpgm
	.section	.rodata,"a",@progbits
	.p2align	6, 0x0
	.amdhsa_kernel _ZL26rocblas_hemvn_kernel_upperILb0ELi64ELi4ELi33ELi32ELi16Ei19rocblas_complex_numIdEPKS1_PS1_EviT6_lT7_lT5_lS6_lS7_lS5_lT8_i
		.amdhsa_group_segment_fixed_size 19200
		.amdhsa_private_segment_fixed_size 0
		.amdhsa_kernarg_size 392
		.amdhsa_user_sgpr_count 6
		.amdhsa_user_sgpr_private_segment_buffer 1
		.amdhsa_user_sgpr_dispatch_ptr 0
		.amdhsa_user_sgpr_queue_ptr 0
		.amdhsa_user_sgpr_kernarg_segment_ptr 1
		.amdhsa_user_sgpr_dispatch_id 0
		.amdhsa_user_sgpr_flat_scratch_init 0
		.amdhsa_user_sgpr_kernarg_preload_length 0
		.amdhsa_user_sgpr_kernarg_preload_offset 0
		.amdhsa_user_sgpr_private_segment_size 0
		.amdhsa_uses_dynamic_stack 0
		.amdhsa_system_sgpr_private_segment_wavefront_offset 0
		.amdhsa_system_sgpr_workgroup_id_x 1
		.amdhsa_system_sgpr_workgroup_id_y 0
		.amdhsa_system_sgpr_workgroup_id_z 1
		.amdhsa_system_sgpr_workgroup_info 0
		.amdhsa_system_vgpr_workitem_id 1
		.amdhsa_next_free_vgpr 240
		.amdhsa_next_free_sgpr 44
		.amdhsa_accum_offset 240
		.amdhsa_reserve_vcc 1
		.amdhsa_reserve_flat_scratch 0
		.amdhsa_float_round_mode_32 0
		.amdhsa_float_round_mode_16_64 0
		.amdhsa_float_denorm_mode_32 3
		.amdhsa_float_denorm_mode_16_64 3
		.amdhsa_dx10_clamp 1
		.amdhsa_ieee_mode 1
		.amdhsa_fp16_overflow 0
		.amdhsa_tg_split 0
		.amdhsa_exception_fp_ieee_invalid_op 0
		.amdhsa_exception_fp_denorm_src 0
		.amdhsa_exception_fp_ieee_div_zero 0
		.amdhsa_exception_fp_ieee_overflow 0
		.amdhsa_exception_fp_ieee_underflow 0
		.amdhsa_exception_fp_ieee_inexact 0
		.amdhsa_exception_int_div_zero 0
	.end_amdhsa_kernel
	.section	.text._ZL26rocblas_hemvn_kernel_upperILb0ELi64ELi4ELi33ELi32ELi16Ei19rocblas_complex_numIdEPKS1_PS1_EviT6_lT7_lT5_lS6_lS7_lS5_lT8_i,"axG",@progbits,_ZL26rocblas_hemvn_kernel_upperILb0ELi64ELi4ELi33ELi32ELi16Ei19rocblas_complex_numIdEPKS1_PS1_EviT6_lT7_lT5_lS6_lS7_lS5_lT8_i,comdat
.Lfunc_end125:
	.size	_ZL26rocblas_hemvn_kernel_upperILb0ELi64ELi4ELi33ELi32ELi16Ei19rocblas_complex_numIdEPKS1_PS1_EviT6_lT7_lT5_lS6_lS7_lS5_lT8_i, .Lfunc_end125-_ZL26rocblas_hemvn_kernel_upperILb0ELi64ELi4ELi33ELi32ELi16Ei19rocblas_complex_numIdEPKS1_PS1_EviT6_lT7_lT5_lS6_lS7_lS5_lT8_i
                                        ; -- End function
	.section	.AMDGPU.csdata,"",@progbits
; Kernel info:
; codeLenInByte = 10692
; NumSgprs: 48
; NumVgprs: 240
; NumAgprs: 0
; TotalNumVgprs: 240
; ScratchSize: 0
; MemoryBound: 1
; FloatMode: 240
; IeeeMode: 1
; LDSByteSize: 19200 bytes/workgroup (compile time only)
; SGPRBlocks: 5
; VGPRBlocks: 29
; NumSGPRsForWavesPerEU: 48
; NumVGPRsForWavesPerEU: 240
; AccumOffset: 240
; Occupancy: 2
; WaveLimiterHint : 1
; COMPUTE_PGM_RSRC2:SCRATCH_EN: 0
; COMPUTE_PGM_RSRC2:USER_SGPR: 6
; COMPUTE_PGM_RSRC2:TRAP_HANDLER: 0
; COMPUTE_PGM_RSRC2:TGID_X_EN: 1
; COMPUTE_PGM_RSRC2:TGID_Y_EN: 0
; COMPUTE_PGM_RSRC2:TGID_Z_EN: 1
; COMPUTE_PGM_RSRC2:TIDIG_COMP_CNT: 1
; COMPUTE_PGM_RSRC3_GFX90A:ACCUM_OFFSET: 59
; COMPUTE_PGM_RSRC3_GFX90A:TG_SPLIT: 0
	.section	.text._ZL26rocblas_hemvn_kernel_lowerILb0ELi64ELi4ELi33ELi32ELi16ElPK19rocblas_complex_numIdES3_PS1_EviT6_lT7_lT5_lS6_lS7_lS5_lT8_i,"axG",@progbits,_ZL26rocblas_hemvn_kernel_lowerILb0ELi64ELi4ELi33ELi32ELi16ElPK19rocblas_complex_numIdES3_PS1_EviT6_lT7_lT5_lS6_lS7_lS5_lT8_i,comdat
	.globl	_ZL26rocblas_hemvn_kernel_lowerILb0ELi64ELi4ELi33ELi32ELi16ElPK19rocblas_complex_numIdES3_PS1_EviT6_lT7_lT5_lS6_lS7_lS5_lT8_i ; -- Begin function _ZL26rocblas_hemvn_kernel_lowerILb0ELi64ELi4ELi33ELi32ELi16ElPK19rocblas_complex_numIdES3_PS1_EviT6_lT7_lT5_lS6_lS7_lS5_lT8_i
	.p2align	8
	.type	_ZL26rocblas_hemvn_kernel_lowerILb0ELi64ELi4ELi33ELi32ELi16ElPK19rocblas_complex_numIdES3_PS1_EviT6_lT7_lT5_lS6_lS7_lS5_lT8_i,@function
_ZL26rocblas_hemvn_kernel_lowerILb0ELi64ELi4ELi33ELi32ELi16ElPK19rocblas_complex_numIdES3_PS1_EviT6_lT7_lT5_lS6_lS7_lS5_lT8_i: ; @_ZL26rocblas_hemvn_kernel_lowerILb0ELi64ELi4ELi33ELi32ELi16ElPK19rocblas_complex_numIdES3_PS1_EviT6_lT7_lT5_lS6_lS7_lS5_lT8_i
; %bb.0:
	s_load_dwordx2 s[2:3], s[4:5], 0x84
	s_add_u32 s0, s4, 0x78
	s_addc_u32 s1, s5, 0
	s_waitcnt lgkmcnt(0)
	s_lshr_b32 s8, s2, 16
	s_and_b32 s2, s2, 0xffff
	s_and_b32 s3, s3, 0xffff
	s_mul_i32 s2, s8, s2
	s_mul_i32 s2, s2, s3
	s_cmpk_lg_i32 s2, 0x100
	s_cbranch_scc1 .LBB126_103
; %bb.1:
	s_load_dwordx16 s[12:27], s[4:5], 0x8
	s_waitcnt lgkmcnt(0)
	s_mul_i32 s3, s7, s15
	s_mul_hi_u32 s8, s7, s14
	s_mul_i32 s2, s7, s14
	s_add_i32 s3, s8, s3
	s_lshl_b64 s[2:3], s[2:3], 4
	s_add_u32 s2, s12, s2
	s_addc_u32 s3, s13, s3
	s_load_dwordx4 s[8:11], s[2:3], 0x0
	s_load_dwordx2 s[28:29], s[4:5], 0x68
	s_load_dwordx8 s[36:43], s[4:5], 0x48
	s_waitcnt lgkmcnt(0)
	v_cmp_neq_f64_e64 s[2:3], s[8:9], 0
	v_cmp_neq_f64_e64 s[8:9], s[10:11], 0
	s_or_b64 s[2:3], s[2:3], s[8:9]
	s_mov_b64 s[8:9], -1
	s_and_b64 vcc, exec, s[2:3]
	s_cbranch_vccnz .LBB126_3
; %bb.2:
	s_mul_i32 s8, s7, s43
	s_mul_hi_u32 s9, s7, s42
	s_add_i32 s9, s9, s8
	s_mul_i32 s8, s7, s42
	s_lshl_b64 s[8:9], s[8:9], 4
	s_add_u32 s8, s40, s8
	s_addc_u32 s9, s41, s9
	s_load_dwordx4 s[8:11], s[8:9], 0x0
	s_waitcnt lgkmcnt(0)
	v_cmp_neq_f64_e64 s[8:9], s[8:9], 1.0
	v_cmp_neq_f64_e64 s[10:11], s[10:11], 0
	s_or_b64 s[8:9], s[8:9], s[10:11]
.LBB126_3:
	s_andn2_b64 vcc, exec, s[8:9]
	s_cbranch_vccnz .LBB126_103
; %bb.4:
	s_andn2_b64 vcc, exec, s[2:3]
	s_cbranch_vccnz .LBB126_103
; %bb.5:
	s_load_dword s40, s[0:1], 0x0
	s_load_dword s33, s[4:5], 0x0
	s_mul_i32 s0, s7, s39
	s_mul_hi_u32 s1, s7, s38
	s_add_i32 s1, s1, s0
	s_mul_i32 s0, s7, s38
	s_lshl_b64 s[0:1], s[0:1], 4
	s_add_u32 s2, s24, s0
	s_addc_u32 s3, s25, s1
	s_lshl_b64 s[0:1], s[26:27], 4
	s_add_u32 s2, s2, s0
	s_addc_u32 s3, s3, s1
	s_waitcnt lgkmcnt(0)
	s_ashr_i32 s41, s33, 31
	s_lshr_b32 s1, s41, 26
	s_add_i32 s1, s33, s1
	v_and_b32_e32 v42, 0x3ff, v0
	s_lshl_b32 s26, s6, 6
	s_andn2_b32 s1, s1, 63
	s_add_i32 s0, s40, -1
	s_sub_i32 s1, s33, s1
	v_add_u32_e32 v148, s26, v42
	s_cmp_eq_u32 s6, s0
	v_ashrrev_i32_e32 v149, 31, v148
	v_bfe_u32 v154, v0, 10, 10
	s_cselect_b32 s24, s1, 0
	v_mul_lo_u32 v2, v149, s36
	v_mul_lo_u32 v3, v148, s37
	v_mad_u64_u32 v[0:1], s[0:1], v148, s36, 0
	v_add3_u32 v1, v1, v3, v2
	v_lshlrev_b64 v[0:1], 4, v[0:1]
	v_mov_b32_e32 v2, s3
	v_add_co_u32_e32 v36, vcc, s2, v0
	v_addc_co_u32_e32 v37, vcc, v2, v1, vcc
	v_cmp_ne_u32_e64 s[0:1], 0, v154
	v_cmp_eq_u32_e64 s[2:3], 0, v154
	s_and_saveexec_b64 s[4:5], s[2:3]
	s_cbranch_execz .LBB126_10
; %bb.6:
	s_cmp_lg_u32 s24, 0
	s_cselect_b64 s[8:9], -1, 0
	v_cmp_le_i32_e32 vcc, s24, v42
	v_mov_b32_e32 v0, 0x4700
	s_and_b64 s[8:9], s[8:9], vcc
	v_lshl_add_u32 v0, v42, 4, v0
	s_and_saveexec_b64 s[10:11], s[8:9]
	s_xor_b64 s[8:9], exec, s[10:11]
	s_cbranch_execz .LBB126_8
; %bb.7:
	v_mov_b32_e32 v2, 0
	v_mov_b32_e32 v3, v2
	;; [unrolled: 1-line block ×4, first 2 shown]
	ds_write_b128 v0, v[2:5]
                                        ; implicit-def: $vgpr0
.LBB126_8:
	s_andn2_saveexec_b64 s[8:9], s[8:9]
	s_cbranch_execz .LBB126_10
; %bb.9:
	global_load_dwordx4 v[2:5], v[36:37], off
	s_waitcnt vmcnt(0)
	ds_write2_b64 v0, v[2:3], v[4:5] offset1:1
.LBB126_10:
	s_or_b64 exec, exec, s[4:5]
	s_mul_i32 s4, s7, s23
	s_mul_hi_u32 s5, s7, s22
	s_add_i32 s5, s5, s4
	s_mul_i32 s4, s7, s22
	s_lshl_b64 s[4:5], s[4:5], 4
	s_add_u32 s8, s16, s4
	s_addc_u32 s9, s17, s5
	s_lshl_b64 s[4:5], s[18:19], 4
	s_add_u32 s8, s8, s4
	s_addc_u32 s9, s9, s5
	s_ashr_i32 s27, s26, 31
	v_lshl_add_u32 v43, v154, 6, v42
	s_lshl_b64 s[4:5], s[26:27], 4
	v_and_b32_e32 v4, 31, v42
	v_lshrrev_b32_e32 v10, 5, v43
	s_add_u32 s8, s8, s4
	v_mov_b32_e32 v5, 0
	s_addc_u32 s9, s9, s5
	v_mad_u64_u32 v[0:1], s[4:5], v10, s20, v[4:5]
	v_mov_b32_e32 v2, v1
	v_mad_u64_u32 v[2:3], s[4:5], v10, s21, v[2:3]
	s_mul_i32 s4, s26, s21
	s_mul_hi_u32 s5, s26, s20
	s_add_i32 s4, s5, s4
	s_mul_i32 s5, s27, s20
	s_add_i32 s5, s4, s5
	s_mul_i32 s4, s26, s20
	s_lshl_b64 s[22:23], s[4:5], 4
	v_mov_b32_e32 v1, v2
	s_add_u32 s4, s22, s8
	v_lshlrev_b64 v[38:39], 4, v[0:1]
	s_addc_u32 s5, s23, s9
	v_mov_b32_e32 v0, s5
	v_add_co_u32_e32 v6, vcc, s4, v38
	s_cmp_lg_u32 s24, 0
	v_addc_co_u32_e32 v7, vcc, v0, v39, vcc
	s_cselect_b64 s[30:31], -1, 0
	s_cmp_eq_u32 s24, 0
	s_cselect_b64 s[34:35], -1, 0
	s_and_b64 vcc, exec, s[30:31]
	s_cbranch_vccnz .LBB126_12
; %bb.11:
	s_lshl_b64 s[4:5], s[20:21], 7
	v_mov_b32_e32 v5, s5
	v_add_co_u32_e32 v8, vcc, s4, v6
	v_addc_co_u32_e32 v9, vcc, v7, v5, vcc
	global_load_dwordx4 v[0:3], v[8:9], off
	global_load_dwordx4 v[12:15], v[6:7], off
	v_add_co_u32_e32 v8, vcc, s4, v8
	v_addc_co_u32_e32 v9, vcc, v9, v5, vcc
	v_mov_b32_e32 v5, 0x180
	v_mad_u64_u32 v[24:25], s[4:5], s20, v5, v[6:7]
	s_mul_i32 s4, s21, 0x180
	v_add_u32_e32 v25, s4, v25
	global_load_dwordx4 v[16:19], v[24:25], off
	global_load_dwordx4 v[20:23], v[8:9], off
	v_mul_u32_u24_e32 v5, 33, v10
	v_add_lshl_u32 v5, v5, v4, 4
	v_add_u32_e32 v8, 0x1080, v5
	v_add_u32_e32 v9, 0x2100, v5
	;; [unrolled: 1-line block ×3, first 2 shown]
	s_waitcnt vmcnt(2)
	ds_write2_b64 v5, v[12:13], v[14:15] offset1:1
	ds_write2_b64 v8, v[0:1], v[2:3] offset1:1
	s_waitcnt vmcnt(1)
	ds_write2_b64 v11, v[16:17], v[18:19] offset1:1
	s_waitcnt vmcnt(0)
	ds_write2_b64 v9, v[20:21], v[22:23] offset1:1
	s_cbranch_execz .LBB126_13
	s_branch .LBB126_30
.LBB126_12:
.LBB126_13:
	v_lshlrev_b32_e32 v2, 4, v4
	v_sub_co_u32_e32 v0, vcc, v6, v2
	s_ashr_i32 s25, s24, 31
	v_subbrev_co_u32_e32 v1, vcc, 0, v7, vcc
	s_lshl_b64 s[8:9], s[24:25], 4
	v_mov_b32_e32 v3, s9
	v_add_co_u32_e32 v0, vcc, s8, v0
	v_addc_co_u32_e32 v1, vcc, v1, v3, vcc
	v_add_co_u32_e32 v0, vcc, -16, v0
	v_addc_co_u32_e32 v1, vcc, -1, v1, vcc
	v_cmp_gt_i32_e32 vcc, s24, v4
	v_mul_u32_u24_e32 v3, 33, v10
	v_cndmask_b32_e32 v1, v1, v7, vcc
	v_cndmask_b32_e32 v0, v0, v6, vcc
	v_cmp_le_i32_e64 s[4:5], s24, v10
	v_add_lshl_u32 v3, v3, v4, 4
	s_and_saveexec_b64 s[10:11], s[4:5]
	s_xor_b64 s[4:5], exec, s[10:11]
	s_cbranch_execz .LBB126_15
; %bb.14:
	v_mov_b32_e32 v12, 0
	v_mov_b32_e32 v13, v12
	;; [unrolled: 1-line block ×4, first 2 shown]
	ds_write_b128 v3, v[12:15]
.LBB126_15:
	s_andn2_saveexec_b64 s[4:5], s[4:5]
	s_cbranch_execz .LBB126_17
; %bb.16:
	global_load_dwordx4 v[12:15], v[0:1], off
	s_waitcnt vmcnt(0)
	ds_write2_b64 v3, v[12:13], v[14:15] offset1:1
.LBB126_17:
	s_or_b64 exec, exec, s[4:5]
	v_add_u32_e32 v5, 8, v10
	v_cmp_le_i32_e64 s[4:5], s24, v5
	s_and_saveexec_b64 s[10:11], s[4:5]
	s_xor_b64 s[4:5], exec, s[10:11]
	s_cbranch_execz .LBB126_19
; %bb.18:
	v_mul_u32_u24_e32 v5, 33, v5
	v_mov_b32_e32 v12, 0
	v_add_lshl_u32 v5, v5, v4, 4
	v_mov_b32_e32 v13, v12
	v_mov_b32_e32 v14, v12
	;; [unrolled: 1-line block ×3, first 2 shown]
	ds_write_b128 v5, v[12:15]
.LBB126_19:
	s_andn2_saveexec_b64 s[10:11], s[4:5]
	s_cbranch_execz .LBB126_21
; %bb.20:
	s_lshl_b64 s[4:5], s[20:21], 7
	v_mov_b32_e32 v5, s5
	v_add_co_u32_e64 v8, s[4:5], s4, v0
	v_addc_co_u32_e64 v9, s[4:5], v1, v5, s[4:5]
	global_load_dwordx4 v[12:15], v[8:9], off
	v_add_u32_e32 v5, 0x1080, v3
	s_waitcnt vmcnt(0)
	ds_write2_b64 v5, v[12:13], v[14:15] offset1:1
.LBB126_21:
	s_or_b64 exec, exec, s[10:11]
	v_add_u32_e32 v5, 16, v10
	v_cmp_le_i32_e64 s[4:5], s24, v5
	s_and_saveexec_b64 s[10:11], s[4:5]
	s_xor_b64 s[4:5], exec, s[10:11]
	s_cbranch_execz .LBB126_23
; %bb.22:
	v_mov_b32_e32 v12, 0
	v_mov_b32_e32 v13, v12
	;; [unrolled: 1-line block ×4, first 2 shown]
	ds_write_b128 v3, v[12:15] offset:8448
.LBB126_23:
	s_andn2_saveexec_b64 s[10:11], s[4:5]
	s_cbranch_execz .LBB126_25
; %bb.24:
	s_lshl_b64 s[4:5], s[20:21], 8
	v_mov_b32_e32 v5, s5
	v_add_co_u32_e64 v8, s[4:5], s4, v0
	v_addc_co_u32_e64 v9, s[4:5], v1, v5, s[4:5]
	global_load_dwordx4 v[12:15], v[8:9], off
	v_add_u32_e32 v5, 0x2100, v3
	s_waitcnt vmcnt(0)
	ds_write2_b64 v5, v[12:13], v[14:15] offset1:1
.LBB126_25:
	s_or_b64 exec, exec, s[10:11]
	v_add_u32_e32 v5, 24, v10
	v_cmp_le_i32_e64 s[4:5], s24, v5
	s_and_saveexec_b64 s[10:11], s[4:5]
	s_xor_b64 s[4:5], exec, s[10:11]
	s_cbranch_execz .LBB126_27
; %bb.26:
	v_mov_b32_e32 v12, 0
	v_mov_b32_e32 v13, v12
	;; [unrolled: 1-line block ×4, first 2 shown]
	ds_write_b128 v3, v[12:15] offset:12672
                                        ; implicit-def: $vgpr3
.LBB126_27:
	s_andn2_saveexec_b64 s[4:5], s[4:5]
	s_cbranch_execz .LBB126_29
; %bb.28:
	v_mov_b32_e32 v5, 0x180
	v_mad_u64_u32 v[8:9], s[10:11], s20, v5, v[0:1]
	s_mul_i32 s10, s21, 0x180
	v_add_u32_e32 v9, s10, v9
	global_load_dwordx4 v[12:15], v[8:9], off
	v_add_u32_e32 v3, 0x3180, v3
	s_waitcnt vmcnt(0)
	ds_write2_b64 v3, v[12:13], v[14:15] offset1:1
.LBB126_29:
	s_or_b64 exec, exec, s[4:5]
	v_add_co_u32_e64 v0, s[4:5], v0, v2
	v_addc_co_u32_e64 v1, s[4:5], 0, v1, s[4:5]
	v_mov_b32_e32 v2, s9
	v_subrev_co_u32_e64 v0, s[4:5], s8, v0
	v_subb_co_u32_e64 v1, s[4:5], v1, v2, s[4:5]
	v_add_co_u32_e64 v0, s[4:5], 16, v0
	v_addc_co_u32_e64 v1, s[4:5], 0, v1, s[4:5]
	v_cndmask_b32_e32 v7, v1, v7, vcc
	v_cndmask_b32_e32 v6, v0, v6, vcc
.LBB126_30:
	v_lshlrev_b32_e32 v0, 2, v10
	v_mul_u32_u24_e32 v44, 33, v4
	v_cmp_lt_u32_e64 s[18:19], v0, v4
	v_add_lshl_u32 v5, v0, v44, 4
	s_waitcnt lgkmcnt(0)
	s_barrier
	s_and_saveexec_b64 s[4:5], s[18:19]
	s_cbranch_execz .LBB126_32
; %bb.31:
	v_mul_u32_u24_e32 v1, 0x84, v10
	v_add_lshl_u32 v1, v1, v4, 4
	ds_read_b128 v[12:15], v1
	s_waitcnt lgkmcnt(0)
	ds_write_b128 v5, v[12:15]
.LBB126_32:
	s_or_b64 exec, exec, s[4:5]
	v_or_b32_e32 v1, 1, v0
	v_cmp_lt_u32_e64 s[8:9], v1, v4
	s_and_saveexec_b64 s[4:5], s[8:9]
	s_cbranch_execz .LBB126_34
; %bb.33:
	v_mul_u32_u24_e32 v1, 33, v1
	v_add_lshl_u32 v1, v1, v4, 4
	ds_read_b128 v[12:15], v1
	s_waitcnt lgkmcnt(0)
	ds_write_b128 v5, v[12:15] offset:16
.LBB126_34:
	s_or_b64 exec, exec, s[4:5]
	v_or_b32_e32 v1, 2, v0
	v_cmp_lt_u32_e64 s[10:11], v1, v4
	s_and_saveexec_b64 s[4:5], s[10:11]
	s_cbranch_execz .LBB126_36
; %bb.35:
	v_mul_u32_u24_e32 v1, 33, v1
	v_add_lshl_u32 v1, v1, v4, 4
	ds_read_b128 v[12:15], v1
	s_waitcnt lgkmcnt(0)
	ds_write_b128 v5, v[12:15] offset:32
.LBB126_36:
	s_or_b64 exec, exec, s[4:5]
	v_or_b32_e32 v1, 3, v0
	v_cmp_lt_u32_e64 s[12:13], v1, v4
	v_mad_u32_u24 v1, v1, 33, v4
	v_lshlrev_b32_e32 v11, 4, v1
	s_and_saveexec_b64 s[4:5], s[12:13]
	s_cbranch_execz .LBB126_38
; %bb.37:
	ds_read_b128 v[12:15], v11
	s_waitcnt lgkmcnt(0)
	ds_write_b128 v5, v[12:15] offset:48
.LBB126_38:
	s_or_b64 exec, exec, s[4:5]
	v_mul_u32_u24_e32 v1, 0x84, v10
	v_lshlrev_b32_e32 v14, 4, v0
	s_waitcnt lgkmcnt(0)
	s_barrier
	v_add_lshl_u32 v13, v1, v4, 4
	ds_read_b128 v[0:3], v14 offset:18176
	ds_read_b128 v[16:19], v13
	ds_read_b128 v[20:23], v14 offset:18192
	ds_read_b128 v[24:27], v14 offset:18208
	v_add_u32_e32 v12, 0xfffffbe0, v11
	ds_read_b128 v[28:31], v12
	ds_read_b128 v[32:35], v12 offset:528
	s_waitcnt lgkmcnt(4)
	v_mul_f64 v[8:9], v[2:3], v[18:19]
	v_fma_f64 v[8:9], v[0:1], v[16:17], -v[8:9]
	v_mul_f64 v[0:1], v[0:1], v[18:19]
	v_fmac_f64_e32 v[0:1], v[2:3], v[16:17]
	s_waitcnt lgkmcnt(1)
	v_mul_f64 v[16:17], v[20:21], v[30:31]
	v_add_f64 v[2:3], v[8:9], 0
	v_add_f64 v[0:1], v[0:1], 0
	v_mul_f64 v[8:9], v[22:23], v[30:31]
	v_fmac_f64_e32 v[16:17], v[22:23], v[28:29]
	v_fma_f64 v[8:9], v[20:21], v[28:29], -v[8:9]
	v_add_f64 v[20:21], v[0:1], v[16:17]
	s_waitcnt lgkmcnt(0)
	v_mul_f64 v[0:1], v[26:27], v[34:35]
	v_add_f64 v[8:9], v[2:3], v[8:9]
	v_fma_f64 v[22:23], v[24:25], v[32:33], -v[0:1]
	ds_read_b128 v[0:3], v14 offset:18224
	ds_read_b128 v[16:19], v11
	v_mul_f64 v[24:25], v[24:25], v[34:35]
	v_fmac_f64_e32 v[24:25], v[26:27], v[32:33]
	v_add_f64 v[8:9], v[8:9], v[22:23]
	v_add_f64 v[20:21], v[20:21], v[24:25]
	s_waitcnt lgkmcnt(0)
	v_mul_f64 v[22:23], v[2:3], v[18:19]
	v_mul_f64 v[18:19], v[0:1], v[18:19]
	v_fma_f64 v[22:23], v[0:1], v[16:17], -v[22:23]
	v_fmac_f64_e32 v[18:19], v[2:3], v[16:17]
	v_add_f64 v[0:1], v[8:9], v[22:23]
	v_add_f64 v[2:3], v[20:21], v[18:19]
	v_add_lshl_u32 v45, v10, v44, 4
	s_barrier
	ds_write_b128 v45, v[0:3]
	v_pk_mov_b32 v[0:1], 0, 0
	v_cmp_gt_u32_e64 s[4:5], 32, v43
	v_pk_mov_b32 v[2:3], v[0:1], v[0:1] op_sel:[0,1]
	s_waitcnt lgkmcnt(0)
	s_barrier
	s_and_saveexec_b64 s[14:15], s[4:5]
	s_cbranch_execz .LBB126_40
; %bb.39:
	v_lshlrev_b32_e32 v15, 4, v44
	ds_read_b128 v[0:3], v15
	ds_read_b128 v[16:19], v15 offset:16
	ds_read_b128 v[20:23], v15 offset:32
	;; [unrolled: 1-line block ×3, first 2 shown]
	s_waitcnt lgkmcnt(2)
	v_add_f64 v[0:1], v[16:17], v[0:1]
	v_add_f64 v[8:9], v[18:19], v[2:3]
	s_waitcnt lgkmcnt(1)
	v_add_f64 v[16:17], v[0:1], v[20:21]
	ds_read_b128 v[0:3], v15 offset:64
	v_add_f64 v[8:9], v[8:9], v[22:23]
	s_waitcnt lgkmcnt(1)
	v_add_f64 v[20:21], v[16:17], v[24:25]
	ds_read_b128 v[16:19], v15 offset:80
	;; [unrolled: 4-line block ×3, first 2 shown]
	v_add_f64 v[8:9], v[8:9], v[2:3]
	ds_read_b128 v[0:3], v15 offset:112
	s_waitcnt lgkmcnt(2)
	v_add_f64 v[16:17], v[24:25], v[16:17]
	v_add_f64 v[8:9], v[8:9], v[18:19]
	s_waitcnt lgkmcnt(1)
	v_add_f64 v[16:17], v[16:17], v[20:21]
	v_add_f64 v[8:9], v[8:9], v[22:23]
	;; [unrolled: 3-line block ×3, first 2 shown]
.LBB126_40:
	s_or_b64 exec, exec, s[14:15]
	s_lshl_b64 s[14:15], s[20:21], 9
	v_mov_b32_e32 v9, s15
	v_add_co_u32_e32 v8, vcc, s14, v6
	v_addc_co_u32_e32 v9, vcc, v7, v9, vcc
	v_add_co_u32_e32 v6, vcc, 0x200, v8
	v_cndmask_b32_e64 v7, 0, 1, s[34:35]
	s_mov_b64 s[16:17], vcc
	v_cmp_ne_u32_e64 s[14:15], 1, v7
	s_andn2_b64 vcc, exec, s[34:35]
	v_addc_co_u32_e64 v7, s[16:17], 0, v9, s[16:17]
	s_barrier
	s_cbranch_vccnz .LBB126_42
; %bb.41:
	s_lshl_b64 s[16:17], s[20:21], 7
	v_mov_b32_e32 v15, s17
	v_add_co_u32_e32 v20, vcc, s16, v8
	v_addc_co_u32_e32 v21, vcc, v9, v15, vcc
	v_add_co_u32_e32 v32, vcc, s16, v20
	v_addc_co_u32_e32 v33, vcc, v21, v15, vcc
	v_mov_b32_e32 v15, 0x180
	v_mad_u64_u32 v[8:9], s[16:17], s20, v15, v[8:9]
	s_mul_i32 s16, s21, 0x180
	v_add_u32_e32 v9, s16, v9
	global_load_dwordx4 v[16:19], v[20:21], off offset:512
	s_nop 0
	global_load_dwordx4 v[20:23], v[6:7], off
	global_load_dwordx4 v[24:27], v[8:9], off offset:512
	global_load_dwordx4 v[28:31], v[32:33], off offset:512
	v_mul_u32_u24_e32 v8, 33, v10
	v_add_lshl_u32 v8, v8, v4, 4
	v_add_u32_e32 v9, 0x1080, v8
	v_add_u32_e32 v15, 0x2100, v8
	;; [unrolled: 1-line block ×3, first 2 shown]
	s_waitcnt vmcnt(2)
	ds_write2_b64 v8, v[20:21], v[22:23] offset1:1
	ds_write2_b64 v9, v[16:17], v[18:19] offset1:1
	s_waitcnt vmcnt(1)
	ds_write2_b64 v32, v[24:25], v[26:27] offset1:1
	s_waitcnt vmcnt(0)
	ds_write2_b64 v15, v[28:29], v[30:31] offset1:1
	s_cbranch_execz .LBB126_43
	s_branch .LBB126_60
.LBB126_42:
.LBB126_43:
	v_lshlrev_b32_e32 v15, 4, v4
	v_sub_co_u32_e32 v9, vcc, v6, v15
	s_ashr_i32 s25, s24, 31
	v_subbrev_co_u32_e32 v16, vcc, 0, v7, vcc
	s_lshl_b64 s[34:35], s[24:25], 4
	v_mov_b32_e32 v17, s35
	v_add_co_u32_e32 v9, vcc, s34, v9
	v_addc_co_u32_e32 v16, vcc, v16, v17, vcc
	v_or_b32_e32 v8, 32, v4
	v_add_co_u32_e32 v17, vcc, 0xfffffdf0, v9
	v_addc_co_u32_e32 v9, vcc, -1, v16, vcc
	v_cmp_gt_i32_e64 s[16:17], s24, v8
	s_sub_i32 s25, s24, 32
	v_mul_u32_u24_e32 v16, 33, v10
	v_cndmask_b32_e64 v9, v9, v7, s[16:17]
	v_cndmask_b32_e64 v8, v17, v6, s[16:17]
	v_cmp_le_i32_e32 vcc, s25, v10
	v_add_lshl_u32 v16, v16, v4, 4
	s_and_saveexec_b64 s[38:39], vcc
	s_xor_b64 s[38:39], exec, s[38:39]
	s_cbranch_execz .LBB126_45
; %bb.44:
	v_mov_b32_e32 v18, 0
	v_mov_b32_e32 v19, v18
	;; [unrolled: 1-line block ×4, first 2 shown]
	ds_write_b128 v16, v[18:21]
.LBB126_45:
	s_andn2_saveexec_b64 s[38:39], s[38:39]
	s_cbranch_execz .LBB126_47
; %bb.46:
	global_load_dwordx4 v[18:21], v[8:9], off
	s_waitcnt vmcnt(0)
	ds_write2_b64 v16, v[18:19], v[20:21] offset1:1
.LBB126_47:
	s_or_b64 exec, exec, s[38:39]
	v_add_u32_e32 v17, 8, v10
	v_cmp_le_i32_e32 vcc, s25, v17
	s_and_saveexec_b64 s[38:39], vcc
	s_xor_b64 s[38:39], exec, s[38:39]
	s_cbranch_execz .LBB126_49
; %bb.48:
	v_mul_u32_u24_e32 v17, 33, v17
	v_mov_b32_e32 v18, 0
	v_add_lshl_u32 v17, v17, v4, 4
	v_mov_b32_e32 v19, v18
	v_mov_b32_e32 v20, v18
	;; [unrolled: 1-line block ×3, first 2 shown]
	ds_write_b128 v17, v[18:21]
.LBB126_49:
	s_andn2_saveexec_b64 s[38:39], s[38:39]
	s_cbranch_execz .LBB126_51
; %bb.50:
	s_lshl_b64 s[42:43], s[20:21], 7
	v_mov_b32_e32 v17, s43
	v_add_co_u32_e32 v18, vcc, s42, v8
	v_addc_co_u32_e32 v19, vcc, v9, v17, vcc
	global_load_dwordx4 v[18:21], v[18:19], off
	v_add_u32_e32 v17, 0x1080, v16
	s_waitcnt vmcnt(0)
	ds_write2_b64 v17, v[18:19], v[20:21] offset1:1
.LBB126_51:
	s_or_b64 exec, exec, s[38:39]
	v_add_u32_e32 v17, 16, v10
	v_cmp_le_i32_e32 vcc, s25, v17
	s_and_saveexec_b64 s[38:39], vcc
	s_xor_b64 s[38:39], exec, s[38:39]
	s_cbranch_execz .LBB126_53
; %bb.52:
	v_mov_b32_e32 v18, 0
	v_mov_b32_e32 v19, v18
	;; [unrolled: 1-line block ×4, first 2 shown]
	ds_write_b128 v16, v[18:21] offset:8448
.LBB126_53:
	s_andn2_saveexec_b64 s[38:39], s[38:39]
	s_cbranch_execz .LBB126_55
; %bb.54:
	s_lshl_b64 s[42:43], s[20:21], 8
	v_mov_b32_e32 v17, s43
	v_add_co_u32_e32 v18, vcc, s42, v8
	v_addc_co_u32_e32 v19, vcc, v9, v17, vcc
	global_load_dwordx4 v[18:21], v[18:19], off
	v_add_u32_e32 v17, 0x2100, v16
	s_waitcnt vmcnt(0)
	ds_write2_b64 v17, v[18:19], v[20:21] offset1:1
.LBB126_55:
	s_or_b64 exec, exec, s[38:39]
	v_add_u32_e32 v17, 24, v10
	v_cmp_le_i32_e32 vcc, s25, v17
	s_and_saveexec_b64 s[38:39], vcc
	s_xor_b64 s[38:39], exec, s[38:39]
	s_cbranch_execz .LBB126_57
; %bb.56:
	v_mov_b32_e32 v18, 0
	v_mov_b32_e32 v19, v18
	;; [unrolled: 1-line block ×4, first 2 shown]
	ds_write_b128 v16, v[18:21] offset:12672
                                        ; implicit-def: $vgpr16
.LBB126_57:
	s_andn2_saveexec_b64 s[38:39], s[38:39]
	s_cbranch_execz .LBB126_59
; %bb.58:
	v_mov_b32_e32 v17, 0x180
	v_mad_u64_u32 v[18:19], s[42:43], s20, v17, v[8:9]
	s_mul_i32 s25, s21, 0x180
	v_add_u32_e32 v19, s25, v19
	global_load_dwordx4 v[18:21], v[18:19], off
	v_add_u32_e32 v16, 0x3180, v16
	s_waitcnt vmcnt(0)
	ds_write2_b64 v16, v[18:19], v[20:21] offset1:1
.LBB126_59:
	s_or_b64 exec, exec, s[38:39]
	v_add_co_u32_e32 v8, vcc, v8, v15
	v_addc_co_u32_e32 v9, vcc, 0, v9, vcc
	v_mov_b32_e32 v15, s35
	v_subrev_co_u32_e32 v8, vcc, s34, v8
	v_subb_co_u32_e32 v9, vcc, v9, v15, vcc
	v_add_co_u32_e32 v8, vcc, 0x210, v8
	v_addc_co_u32_e32 v9, vcc, 0, v9, vcc
	v_cndmask_b32_e64 v7, v9, v7, s[16:17]
	v_cndmask_b32_e64 v6, v8, v6, s[16:17]
.LBB126_60:
	v_add_u32_e32 v8, 0x4700, v14
	v_add_u32_e32 v9, 0x210, v12
	s_lshl_b64 s[16:17], s[20:21], 5
	s_waitcnt lgkmcnt(0)
	s_barrier
	s_and_saveexec_b64 s[34:35], s[18:19]
	s_cbranch_execnz .LBB126_69
; %bb.61:
	s_or_b64 exec, exec, s[34:35]
	s_and_saveexec_b64 s[18:19], s[8:9]
	s_cbranch_execnz .LBB126_70
.LBB126_62:
	s_or_b64 exec, exec, s[18:19]
	s_and_saveexec_b64 s[8:9], s[10:11]
	s_cbranch_execnz .LBB126_71
.LBB126_63:
	s_or_b64 exec, exec, s[8:9]
	s_and_saveexec_b64 s[8:9], s[12:13]
	s_cbranch_execz .LBB126_65
.LBB126_64:
	ds_read_b128 v[14:17], v11
	s_waitcnt lgkmcnt(0)
	ds_write_b128 v5, v[14:17] offset:48
.LBB126_65:
	s_or_b64 exec, exec, s[8:9]
	s_waitcnt lgkmcnt(0)
	s_barrier
	ds_read_b128 v[14:17], v8 offset:512
	ds_read_b128 v[18:21], v13
	ds_read_b128 v[22:25], v8 offset:528
	ds_read_b128 v[26:29], v8 offset:544
	v_cmp_eq_u32_e64 s[10:11], 1, v10
	s_waitcnt lgkmcnt(2)
	v_mul_f64 v[30:31], v[16:17], v[20:21]
	v_fma_f64 v[34:35], v[14:15], v[18:19], -v[30:31]
	ds_read_b128 v[30:33], v8 offset:560
	ds_read_b128 v[46:49], v12
	v_mul_f64 v[14:15], v[14:15], v[20:21]
	v_fmac_f64_e32 v[14:15], v[16:17], v[18:19]
	v_add_f64 v[18:19], v[14:15], 0
	v_add_f64 v[16:17], v[34:35], 0
	s_waitcnt lgkmcnt(0)
	v_mul_f64 v[14:15], v[24:25], v[48:49]
	v_fma_f64 v[20:21], v[22:23], v[46:47], -v[14:15]
	v_mul_f64 v[22:23], v[22:23], v[48:49]
	ds_read_b128 v[12:15], v12 offset:528
	v_fmac_f64_e32 v[22:23], v[24:25], v[46:47]
	v_add_f64 v[20:21], v[16:17], v[20:21]
	v_add_f64 v[22:23], v[18:19], v[22:23]
	ds_read_b128 v[16:19], v11
	s_waitcnt lgkmcnt(1)
	v_mul_f64 v[24:25], v[28:29], v[14:15]
	v_fma_f64 v[24:25], v[26:27], v[12:13], -v[24:25]
	v_mul_f64 v[14:15], v[26:27], v[14:15]
	v_fmac_f64_e32 v[14:15], v[28:29], v[12:13]
	v_add_f64 v[12:13], v[20:21], v[24:25]
	s_waitcnt lgkmcnt(0)
	v_mul_f64 v[20:21], v[32:33], v[18:19]
	v_mul_f64 v[18:19], v[30:31], v[18:19]
	v_add_f64 v[14:15], v[22:23], v[14:15]
	v_fma_f64 v[20:21], v[30:31], v[16:17], -v[20:21]
	v_fmac_f64_e32 v[18:19], v[32:33], v[16:17]
	v_add_f64 v[12:13], v[12:13], v[20:21]
	v_add_f64 v[14:15], v[14:15], v[18:19]
	s_barrier
	ds_write_b128 v45, v[12:15]
	s_waitcnt lgkmcnt(0)
	s_barrier
	s_and_saveexec_b64 s[8:9], s[10:11]
	s_cbranch_execz .LBB126_67
; %bb.66:
	v_lshlrev_b32_e32 v9, 4, v44
	ds_read_b128 v[0:3], v9
	ds_read_b128 v[12:15], v9 offset:16
	ds_read_b128 v[16:19], v9 offset:32
	;; [unrolled: 1-line block ×3, first 2 shown]
	s_waitcnt lgkmcnt(2)
	v_add_f64 v[0:1], v[12:13], v[0:1]
	v_add_f64 v[12:13], v[14:15], v[2:3]
	s_waitcnt lgkmcnt(1)
	v_add_f64 v[14:15], v[0:1], v[16:17]
	ds_read_b128 v[0:3], v9 offset:64
	v_add_f64 v[12:13], v[12:13], v[18:19]
	s_waitcnt lgkmcnt(1)
	v_add_f64 v[16:17], v[14:15], v[20:21]
	v_add_f64 v[20:21], v[12:13], v[22:23]
	ds_read_b128 v[12:15], v9 offset:80
	s_waitcnt lgkmcnt(1)
	v_add_f64 v[22:23], v[16:17], v[0:1]
	ds_read_b128 v[16:19], v9 offset:96
	v_add_f64 v[20:21], v[20:21], v[2:3]
	ds_read_b128 v[0:3], v9 offset:112
	s_waitcnt lgkmcnt(2)
	v_add_f64 v[12:13], v[22:23], v[12:13]
	v_add_f64 v[14:15], v[20:21], v[14:15]
	s_waitcnt lgkmcnt(1)
	v_add_f64 v[12:13], v[12:13], v[16:17]
	v_add_f64 v[14:15], v[14:15], v[18:19]
	;; [unrolled: 3-line block ×3, first 2 shown]
.LBB126_67:
	s_or_b64 exec, exec, s[8:9]
	s_lshl_b64 s[8:9], s[16:17], 4
	v_mov_b32_e32 v9, s9
	v_subrev_co_u32_e64 v40, s[8:9], s8, v6
	s_and_b64 vcc, exec, s[14:15]
	v_subb_co_u32_e64 v41, s[8:9], v7, v9, s[8:9]
	s_barrier
	s_cbranch_vccnz .LBB126_72
; %bb.68:
	s_lshl_b64 s[8:9], s[20:21], 7
	v_mov_b32_e32 v9, s9
	v_add_co_u32_e32 v6, vcc, s8, v40
	v_addc_co_u32_e32 v7, vcc, v41, v9, vcc
	global_load_dwordx4 v[16:19], v[40:41], off
	global_load_dwordx4 v[20:23], v[6:7], off
	v_add_co_u32_e32 v6, vcc, s8, v6
	v_addc_co_u32_e32 v7, vcc, v7, v9, vcc
	v_mov_b32_e32 v9, 0x180
	v_mad_u64_u32 v[12:13], s[8:9], s20, v9, v[40:41]
	s_mul_i32 s8, s21, 0x180
	v_add_u32_e32 v13, s8, v13
	global_load_dwordx4 v[24:27], v[6:7], off
	global_load_dwordx4 v[28:31], v[12:13], off
	v_mad_u32_u24 v9, v10, 33, v4
	v_add_u32_e32 v11, 8, v10
	v_add_u32_e32 v12, 16, v10
	;; [unrolled: 1-line block ×3, first 2 shown]
	v_lshlrev_b32_e32 v15, 4, v9
	v_add_u32_e32 v7, 0x108, v9
	v_add_u32_e32 v6, 0x210, v9
	;; [unrolled: 1-line block ×6, first 2 shown]
	s_waitcnt vmcnt(3)
	ds_write2_b64 v15, v[16:17], v[18:19] offset1:1
	s_waitcnt vmcnt(2)
	ds_write2_b64 v32, v[20:21], v[22:23] offset1:1
	;; [unrolled: 2-line block ×4, first 2 shown]
	s_cbranch_execz .LBB126_73
	s_branch .LBB126_90
.LBB126_69:
	ds_read_b128 v[14:17], v13
	s_waitcnt lgkmcnt(0)
	ds_write_b128 v5, v[14:17]
	s_or_b64 exec, exec, s[34:35]
	s_and_saveexec_b64 s[18:19], s[8:9]
	s_cbranch_execz .LBB126_62
.LBB126_70:
	ds_read_b128 v[14:17], v12
	s_waitcnt lgkmcnt(0)
	ds_write_b128 v5, v[14:17] offset:16
	s_or_b64 exec, exec, s[18:19]
	s_and_saveexec_b64 s[8:9], s[10:11]
	s_cbranch_execz .LBB126_63
.LBB126_71:
	ds_read_b128 v[14:17], v9
	s_waitcnt lgkmcnt(0)
	ds_write_b128 v5, v[14:17] offset:32
	s_or_b64 exec, exec, s[8:9]
	s_and_saveexec_b64 s[8:9], s[12:13]
	s_cbranch_execnz .LBB126_64
	s_branch .LBB126_65
.LBB126_72:
                                        ; implicit-def: $vgpr9
                                        ; implicit-def: $vgpr11
                                        ; implicit-def: $vgpr7
                                        ; implicit-def: $vgpr12
                                        ; implicit-def: $vgpr6
                                        ; implicit-def: $vgpr13
                                        ; implicit-def: $vgpr14
.LBB126_73:
	v_lshlrev_b32_e32 v15, 4, v4
	v_sub_co_u32_e32 v7, vcc, v40, v15
	s_ashr_i32 s25, s24, 31
	v_subbrev_co_u32_e32 v9, vcc, 0, v41, vcc
	s_lshl_b64 s[12:13], s[24:25], 4
	v_mov_b32_e32 v11, s13
	v_add_co_u32_e32 v7, vcc, s12, v7
	v_addc_co_u32_e32 v9, vcc, v9, v11, vcc
	v_or_b32_e32 v6, 32, v4
	v_add_co_u32_e32 v11, vcc, 0xfffffdf0, v7
	v_addc_co_u32_e32 v7, vcc, -1, v9, vcc
	v_cmp_gt_i32_e64 s[8:9], s24, v6
	v_mad_u32_u24 v9, v10, 33, v4
	v_cndmask_b32_e64 v7, v7, v41, s[8:9]
	v_cndmask_b32_e64 v6, v11, v40, s[8:9]
	v_cmp_le_i32_e32 vcc, s24, v10
	v_lshlrev_b32_e32 v16, 4, v9
	s_and_saveexec_b64 s[14:15], vcc
	s_xor_b64 s[14:15], exec, s[14:15]
	s_cbranch_execz .LBB126_75
; %bb.74:
	v_mov_b32_e32 v18, 0
	v_mov_b32_e32 v19, v18
	;; [unrolled: 1-line block ×4, first 2 shown]
	ds_write_b128 v16, v[18:21]
.LBB126_75:
	s_andn2_saveexec_b64 s[14:15], s[14:15]
	s_cbranch_execz .LBB126_77
; %bb.76:
	global_load_dwordx4 v[18:21], v[6:7], off
	s_waitcnt vmcnt(0)
	ds_write2_b64 v16, v[18:19], v[20:21] offset1:1
.LBB126_77:
	s_or_b64 exec, exec, s[14:15]
	v_add_u32_e32 v11, 8, v10
	v_cmp_le_i32_e32 vcc, s24, v11
	s_and_saveexec_b64 s[14:15], vcc
	s_xor_b64 s[14:15], exec, s[14:15]
	s_cbranch_execz .LBB126_79
; %bb.78:
	v_mul_u32_u24_e32 v12, 33, v11
	v_mov_b32_e32 v18, 0
	v_add_lshl_u32 v12, v12, v4, 4
	v_mov_b32_e32 v19, v18
	v_mov_b32_e32 v20, v18
	;; [unrolled: 1-line block ×3, first 2 shown]
	ds_write_b128 v12, v[18:21]
.LBB126_79:
	s_andn2_saveexec_b64 s[14:15], s[14:15]
	s_cbranch_execz .LBB126_81
; %bb.80:
	s_lshl_b64 s[16:17], s[20:21], 7
	v_mov_b32_e32 v13, s17
	v_add_co_u32_e32 v12, vcc, s16, v6
	v_addc_co_u32_e32 v13, vcc, v7, v13, vcc
	global_load_dwordx4 v[18:21], v[12:13], off
	v_add_u32_e32 v12, 0x1080, v16
	s_waitcnt vmcnt(0)
	ds_write2_b64 v12, v[18:19], v[20:21] offset1:1
.LBB126_81:
	s_or_b64 exec, exec, s[14:15]
	v_add_u32_e32 v12, 16, v10
	v_cmp_le_i32_e32 vcc, s24, v12
	s_and_saveexec_b64 s[14:15], vcc
	s_xor_b64 s[14:15], exec, s[14:15]
	s_cbranch_execz .LBB126_83
; %bb.82:
	v_mul_u32_u24_e32 v13, 33, v12
	v_mov_b32_e32 v18, 0
	v_add_lshl_u32 v4, v13, v4, 4
	v_mov_b32_e32 v19, v18
	v_mov_b32_e32 v20, v18
	;; [unrolled: 1-line block ×3, first 2 shown]
	ds_write_b128 v4, v[18:21]
.LBB126_83:
	s_andn2_saveexec_b64 s[14:15], s[14:15]
	s_cbranch_execz .LBB126_85
; %bb.84:
	s_lshl_b64 s[16:17], s[20:21], 8
	v_mov_b32_e32 v4, s17
	v_add_co_u32_e32 v18, vcc, s16, v6
	v_addc_co_u32_e32 v19, vcc, v7, v4, vcc
	global_load_dwordx4 v[18:21], v[18:19], off
	v_add_u32_e32 v4, 0x2100, v16
	s_waitcnt vmcnt(0)
	ds_write2_b64 v4, v[18:19], v[20:21] offset1:1
.LBB126_85:
	s_or_b64 exec, exec, s[14:15]
	v_add_u32_e32 v13, 24, v10
	v_cmp_le_i32_e32 vcc, s24, v13
                                        ; implicit-def: $vgpr14
	s_and_saveexec_b64 s[14:15], vcc
	s_xor_b64 s[14:15], exec, s[14:15]
	s_cbranch_execz .LBB126_87
; %bb.86:
	v_mov_b32_e32 v18, 0
	v_add_u32_e32 v14, 0x318, v9
	v_mov_b32_e32 v19, v18
	v_mov_b32_e32 v20, v18
	;; [unrolled: 1-line block ×3, first 2 shown]
	ds_write_b128 v16, v[18:21] offset:12672
                                        ; implicit-def: $vgpr16
.LBB126_87:
	s_andn2_saveexec_b64 s[14:15], s[14:15]
	s_cbranch_execz .LBB126_89
; %bb.88:
	v_mov_b32_e32 v4, 0x180
	v_mad_u64_u32 v[18:19], s[16:17], s20, v4, v[6:7]
	s_mul_i32 s16, s21, 0x180
	v_add_u32_e32 v19, s16, v19
	global_load_dwordx4 v[18:21], v[18:19], off
	v_add_u32_e32 v14, 0x318, v9
	v_add_u32_e32 v4, 0x3180, v16
	s_waitcnt vmcnt(0)
	ds_write2_b64 v4, v[18:19], v[20:21] offset1:1
.LBB126_89:
	s_or_b64 exec, exec, s[14:15]
	v_add_co_u32_e32 v4, vcc, v6, v15
	v_addc_co_u32_e32 v6, vcc, 0, v7, vcc
	v_mov_b32_e32 v7, s13
	v_subrev_co_u32_e32 v4, vcc, s12, v4
	v_subb_co_u32_e32 v6, vcc, v6, v7, vcc
	v_add_co_u32_e32 v4, vcc, 0x210, v4
	v_addc_co_u32_e32 v6, vcc, 0, v6, vcc
	v_cndmask_b32_e64 v41, v6, v41, s[8:9]
	v_cndmask_b32_e64 v40, v4, v40, s[8:9]
	v_add_u32_e32 v7, 0x108, v9
	v_add_u32_e32 v6, 0x210, v9
.LBB126_90:
	v_lshlrev_b32_e32 v4, 4, v9
	v_lshlrev_b32_e32 v9, 4, v10
	s_waitcnt lgkmcnt(0)
	s_barrier
	ds_read_b128 v[46:49], v9 offset:18176
	ds_read_b128 v[50:53], v4
	v_lshlrev_b32_e32 v4, 4, v7
	v_lshlrev_b32_e32 v7, 4, v11
	ds_read_b128 v[54:57], v7 offset:18176
	ds_read_b128 v[58:61], v4
	v_lshlrev_b32_e32 v4, 4, v6
	v_lshlrev_b32_e32 v6, 4, v12
	ds_read_b128 v[62:65], v6 offset:18176
	ds_read_b128 v[66:69], v4
	v_lshlrev_b32_e32 v6, 4, v13
	s_waitcnt lgkmcnt(4)
	v_mul_f64 v[10:11], v[48:49], v[52:53]
	v_lshlrev_b32_e32 v4, 4, v14
	ds_read_b128 v[70:73], v6 offset:18176
	ds_read_b128 v[74:77], v4
	v_fma_f64 v[10:11], v[46:47], v[50:51], -v[10:11]
	s_waitcnt lgkmcnt(4)
	v_mul_f64 v[16:17], v[56:57], v[60:61]
	v_add_f64 v[10:11], v[10:11], 0
	v_fma_f64 v[16:17], v[54:55], v[58:59], -v[16:17]
	v_add_f64 v[6:7], v[10:11], v[16:17]
	s_waitcnt lgkmcnt(2)
	v_mul_f64 v[10:11], v[64:65], v[68:69]
	v_fma_f64 v[10:11], v[62:63], v[66:67], -v[10:11]
	v_add_f64 v[6:7], v[6:7], v[10:11]
	s_waitcnt lgkmcnt(0)
	v_mul_f64 v[10:11], v[72:73], v[76:77]
	v_fma_f64 v[10:11], v[70:71], v[74:75], -v[10:11]
	v_add_f64 v[78:79], v[6:7], v[10:11]
	ds_read_b128 v[28:31], v5
	ds_read_b128 v[20:23], v5 offset:16
	ds_read_b128 v[12:15], v5 offset:32
	;; [unrolled: 1-line block ×7, first 2 shown]
	v_mul_f64 v[46:47], v[46:47], v[52:53]
	v_fmac_f64_e32 v[46:47], v[48:49], v[50:51]
	v_mul_f64 v[48:49], v[54:55], v[60:61]
	v_add_f64 v[46:47], v[46:47], 0
	v_fmac_f64_e32 v[48:49], v[56:57], v[58:59]
	v_add_f64 v[46:47], v[46:47], v[48:49]
	v_mul_f64 v[48:49], v[62:63], v[68:69]
	v_fmac_f64_e32 v[48:49], v[64:65], v[66:67]
	v_add_f64 v[46:47], v[46:47], v[48:49]
	v_mul_f64 v[48:49], v[70:71], v[76:77]
	v_fmac_f64_e32 v[48:49], v[72:73], v[74:75]
	v_add_f64 v[80:81], v[46:47], v[48:49]
	s_waitcnt lgkmcnt(0)
	s_barrier
	ds_write_b128 v45, v[78:81]
	s_waitcnt lgkmcnt(0)
	s_barrier
	s_and_saveexec_b64 s[8:9], s[10:11]
	s_cbranch_execz .LBB126_92
; %bb.91:
	v_lshlrev_b32_e32 v62, 4, v44
	ds_read_b128 v[46:49], v62
	ds_read_b128 v[50:53], v62 offset:16
	ds_read_b128 v[54:57], v62 offset:32
	;; [unrolled: 1-line block ×3, first 2 shown]
	s_waitcnt lgkmcnt(3)
	v_add_f64 v[0:1], v[0:1], v[46:47]
	v_add_f64 v[2:3], v[2:3], v[48:49]
	s_waitcnt lgkmcnt(2)
	v_add_f64 v[0:1], v[0:1], v[50:51]
	v_add_f64 v[46:47], v[2:3], v[52:53]
	s_waitcnt lgkmcnt(1)
	v_add_f64 v[48:49], v[0:1], v[54:55]
	ds_read_b128 v[0:3], v62 offset:64
	v_add_f64 v[46:47], v[46:47], v[56:57]
	s_waitcnt lgkmcnt(1)
	v_add_f64 v[50:51], v[48:49], v[58:59]
	v_add_f64 v[54:55], v[46:47], v[60:61]
	ds_read_b128 v[46:49], v62 offset:80
	s_waitcnt lgkmcnt(1)
	v_add_f64 v[56:57], v[50:51], v[0:1]
	ds_read_b128 v[50:53], v62 offset:96
	v_add_f64 v[54:55], v[54:55], v[2:3]
	ds_read_b128 v[0:3], v62 offset:112
	s_waitcnt lgkmcnt(2)
	v_add_f64 v[46:47], v[56:57], v[46:47]
	v_add_f64 v[48:49], v[54:55], v[48:49]
	s_waitcnt lgkmcnt(1)
	v_add_f64 v[46:47], v[46:47], v[50:51]
	v_add_f64 v[48:49], v[48:49], v[52:53]
	;; [unrolled: 3-line block ×3, first 2 shown]
.LBB126_92:
	s_or_b64 exec, exec, s[8:9]
	v_mul_f64 v[46:47], v[30:31], v[34:35]
	v_fma_f64 v[46:47], v[28:29], v[32:33], -v[46:47]
	v_mul_f64 v[28:29], v[28:29], v[34:35]
	v_fmac_f64_e32 v[28:29], v[30:31], v[32:33]
	v_mul_f64 v[32:33], v[22:23], v[26:27]
	v_fma_f64 v[32:33], v[20:21], v[24:25], -v[32:33]
	v_mul_f64 v[20:21], v[20:21], v[26:27]
	v_fmac_f64_e32 v[20:21], v[22:23], v[24:25]
	v_mul_f64 v[24:25], v[14:15], v[18:19]
	v_add_f64 v[30:31], v[46:47], 0
	v_add_f64 v[28:29], v[28:29], 0
	v_fma_f64 v[24:25], v[12:13], v[16:17], -v[24:25]
	v_mul_f64 v[12:13], v[12:13], v[18:19]
	v_add_f64 v[22:23], v[30:31], v[32:33]
	v_add_f64 v[20:21], v[28:29], v[20:21]
	v_fmac_f64_e32 v[12:13], v[14:15], v[16:17]
	v_mul_f64 v[16:17], v[6:7], v[10:11]
	v_mul_f64 v[10:11], v[4:5], v[10:11]
	v_add_f64 v[14:15], v[22:23], v[24:25]
	v_add_f64 v[12:13], v[20:21], v[12:13]
	v_fma_f64 v[16:17], v[4:5], v[8:9], -v[16:17]
	v_fmac_f64_e32 v[10:11], v[6:7], v[8:9]
	v_add_f64 v[4:5], v[14:15], v[16:17]
	v_add_f64 v[6:7], v[12:13], v[10:11]
	s_barrier
	ds_write_b128 v45, v[4:7]
	s_waitcnt lgkmcnt(0)
	s_barrier
	s_and_saveexec_b64 s[8:9], s[4:5]
	s_cbranch_execz .LBB126_94
; %bb.93:
	v_lshlrev_b32_e32 v20, 4, v44
	ds_read_b128 v[4:7], v20
	ds_read_b128 v[8:11], v20 offset:16
	ds_read_b128 v[12:15], v20 offset:32
	ds_read_b128 v[16:19], v20 offset:48
	s_waitcnt lgkmcnt(3)
	v_add_f64 v[0:1], v[0:1], v[4:5]
	v_add_f64 v[2:3], v[2:3], v[6:7]
	s_waitcnt lgkmcnt(2)
	v_add_f64 v[0:1], v[0:1], v[8:9]
	v_add_f64 v[4:5], v[2:3], v[10:11]
	s_waitcnt lgkmcnt(1)
	v_add_f64 v[6:7], v[0:1], v[12:13]
	ds_read_b128 v[0:3], v20 offset:64
	v_add_f64 v[4:5], v[4:5], v[14:15]
	s_waitcnt lgkmcnt(1)
	v_add_f64 v[8:9], v[6:7], v[16:17]
	v_add_f64 v[12:13], v[4:5], v[18:19]
	ds_read_b128 v[4:7], v20 offset:80
	s_waitcnt lgkmcnt(1)
	v_add_f64 v[14:15], v[8:9], v[0:1]
	ds_read_b128 v[8:11], v20 offset:96
	v_add_f64 v[12:13], v[12:13], v[2:3]
	ds_read_b128 v[0:3], v20 offset:112
	s_waitcnt lgkmcnt(2)
	v_add_f64 v[4:5], v[14:15], v[4:5]
	v_add_f64 v[6:7], v[12:13], v[6:7]
	s_waitcnt lgkmcnt(1)
	v_add_f64 v[4:5], v[4:5], v[8:9]
	v_add_f64 v[6:7], v[6:7], v[10:11]
	;; [unrolled: 3-line block ×3, first 2 shown]
.LBB126_94:
	s_or_b64 exec, exec, s[8:9]
	s_mul_hi_u32 s4, s33, s7
	s_mul_i32 s41, s41, s7
	s_add_i32 s4, s4, s41
	s_mul_i32 s7, s33, s7
	s_mul_i32 s4, s4, s40
	s_mul_hi_u32 s5, s7, s40
	s_add_i32 s5, s5, s4
	s_mul_i32 s4, s7, s40
	s_lshl_b64 s[4:5], s[4:5], 4
	s_add_u32 s7, s28, s4
	s_mul_i32 s4, s6, s33
	s_addc_u32 s8, s29, s5
	s_ashr_i32 s5, s4, 31
	s_lshl_b64 s[4:5], s[4:5], 4
	s_add_u32 s7, s7, s4
	v_cmp_le_i32_e32 vcc, s24, v42
	s_addc_u32 s14, s8, s5
	s_and_b64 vcc, s[30:31], vcc
	s_cmp_lt_i32 s6, 1
	v_lshlrev_b32_e32 v155, 4, v42
	s_barrier
	s_cbranch_scc1 .LBB126_101
; %bb.95:
	s_mul_i32 s4, s26, s37
	s_mul_hi_u32 s5, s26, s36
	s_add_i32 s4, s5, s4
	s_mul_i32 s5, s27, s36
	s_add_i32 s5, s4, s5
	s_mul_i32 s4, s26, s36
	s_lshl_b64 s[4:5], s[4:5], 4
	v_mov_b32_e32 v4, s5
	v_subrev_co_u32_e64 v156, s[4:5], s4, v36
	v_subb_co_u32_e64 v157, s[4:5], v37, v4, s[4:5]
	v_mov_b32_e32 v4, s23
	v_subrev_co_u32_e64 v5, s[4:5], s22, v40
	v_subb_co_u32_e64 v4, s[4:5], v41, v4, s[4:5]
	v_lshlrev_b32_e32 v7, 2, v154
	v_sub_co_u32_e64 v8, s[4:5], v5, v38
	v_subb_co_u32_e64 v9, s[4:5], v4, v39, s[4:5]
	v_mad_u64_u32 v[4:5], s[4:5], v7, s20, 0
	v_mov_b32_e32 v6, v5
	v_mad_u64_u32 v[6:7], s[4:5], v7, s21, v[6:7]
	v_mov_b32_e32 v5, v6
	v_lshlrev_b64 v[4:5], 4, v[4:5]
	v_add_co_u32_e64 v4, s[4:5], v8, v4
	v_addc_co_u32_e64 v5, s[4:5], v9, v5, s[4:5]
	s_ashr_i32 s25, s24, 31
	s_lshl_b64 s[4:5], s[24:25], 4
	v_mov_b32_e32 v6, s5
	v_add_co_u32_e64 v7, s[4:5], s4, v4
	v_addc_co_u32_e64 v6, s[4:5], v5, v6, s[4:5]
	s_movk_i32 s4, 0xfdf0
	v_add_co_u32_e64 v7, s[4:5], s4, v7
	v_addc_co_u32_e64 v6, s[4:5], -1, v6, s[4:5]
	v_add_co_u32_e64 v4, s[4:5], v4, v155
	v_addc_co_u32_e64 v5, s[4:5], 0, v5, s[4:5]
	s_movk_i32 s4, 0xfe00
	v_add_co_u32_e64 v4, s[4:5], s4, v4
	v_addc_co_u32_e64 v5, s[4:5], -1, v5, s[4:5]
	v_cndmask_b32_e32 v8, v4, v7, vcc
	v_and_b32_e32 v4, 48, v42
	v_and_b32_e32 v10, 15, v42
	v_cndmask_b32_e32 v9, v5, v6, vcc
	v_lshlrev_b32_e32 v5, 4, v4
	s_movk_i32 s8, 0x430
	v_mad_u32_u24 v160, v10, s8, v5
	v_or_b32_e32 v5, 0xf0, v155
	v_mad_u32_u24 v161, v10, s8, v5
	v_lshlrev_b32_e32 v5, 2, v43
	v_and_b32_e32 v5, 0x7ffc0, v5
	v_mad_u32_u24 v162, v10, s8, v5
	v_mov_b32_e32 v5, 0x4300
	v_lshl_add_u32 v163, v154, 6, v5
	s_movk_i32 s9, 0x10c0
	v_and_b32_e32 v5, 0x1fff0, v43
	v_mad_u32_u24 v164, v154, s9, v155
	v_mad_u32_u24 v165, v10, s8, v5
	s_mul_i32 s8, s21, 0xd0
	s_mul_hi_u32 s9, s20, 0xd0
	s_lshl_b64 s[10:11], s[20:21], 4
	s_add_i32 s15, s9, s8
	v_mov_b32_e32 v151, 0
	v_add_u32_e32 v158, 0x4300, v155
	v_add_u32_e32 v159, 0x4700, v155
	v_cmp_gt_u32_e64 s[4:5], 64, v43
	s_mul_i32 s16, s20, 0xd0
	v_or_b32_e32 v166, v4, v10
	s_mov_b32 s17, 0
	v_mov_b32_e32 v167, s11
	v_mov_b32_e32 v168, s15
	s_branch .LBB126_97
.LBB126_96:                             ;   in Loop: Header=BB126_97 Depth=1
	s_or_b64 exec, exec, s[12:13]
	v_mul_f64 v[132:133], v[6:7], v[22:23]
	v_fma_f64 v[132:133], v[4:5], v[20:21], -v[132:133]
	v_mul_f64 v[4:5], v[4:5], v[22:23]
	v_mul_f64 v[22:23], v[10:11], v[42:43]
	v_add_f64 v[0:1], v[0:1], v[132:133]
	v_fma_f64 v[22:23], v[8:9], v[40:41], -v[22:23]
	v_add_f64 v[0:1], v[0:1], v[22:23]
	v_mul_f64 v[22:23], v[14:15], v[46:47]
	v_fma_f64 v[22:23], v[12:13], v[44:45], -v[22:23]
	v_add_f64 v[0:1], v[0:1], v[22:23]
	v_mul_f64 v[22:23], v[18:19], v[50:51]
	v_fmac_f64_e32 v[4:5], v[6:7], v[20:21]
	v_fma_f64 v[22:23], v[16:17], v[48:49], -v[22:23]
	v_add_f64 v[2:3], v[2:3], v[4:5]
	v_mul_f64 v[4:5], v[26:27], v[70:71]
	v_add_f64 v[0:1], v[0:1], v[22:23]
	v_fma_f64 v[4:5], v[24:25], v[68:69], -v[4:5]
	v_add_f64 v[0:1], v[0:1], v[4:5]
	v_mul_f64 v[4:5], v[34:35], v[82:83]
	v_fma_f64 v[4:5], v[32:33], v[80:81], -v[4:5]
	v_add_f64 v[0:1], v[0:1], v[4:5]
	v_mul_f64 v[4:5], v[30:31], v[78:79]
	;; [unrolled: 3-line block ×4, first 2 shown]
	v_mul_f64 v[8:9], v[8:9], v[42:43]
	v_fma_f64 v[4:5], v[52:53], v[100:101], -v[4:5]
	v_mul_f64 v[12:13], v[12:13], v[46:47]
	v_fmac_f64_e32 v[8:9], v[10:11], v[40:41]
	v_add_f64 v[0:1], v[0:1], v[4:5]
	v_mul_f64 v[4:5], v[62:63], v[118:119]
	v_mul_f64 v[16:17], v[16:17], v[50:51]
	v_add_f64 v[2:3], v[2:3], v[8:9]
	v_fmac_f64_e32 v[12:13], v[14:15], v[44:45]
	v_fma_f64 v[4:5], v[60:61], v[116:117], -v[4:5]
	v_add_f64 v[2:3], v[2:3], v[12:13]
	v_fmac_f64_e32 v[16:17], v[18:19], v[48:49]
	v_mul_f64 v[6:7], v[24:25], v[70:71]
	v_add_f64 v[0:1], v[0:1], v[4:5]
	v_mul_f64 v[4:5], v[58:59], v[114:115]
	v_add_f64 v[2:3], v[2:3], v[16:17]
	v_mul_f64 v[8:9], v[32:33], v[82:83]
	v_fmac_f64_e32 v[6:7], v[26:27], v[68:69]
	v_fma_f64 v[4:5], v[56:57], v[112:113], -v[4:5]
	v_mul_f64 v[10:11], v[28:29], v[78:79]
	v_add_f64 v[2:3], v[2:3], v[6:7]
	v_fmac_f64_e32 v[8:9], v[34:35], v[80:81]
	v_add_f64 v[0:1], v[0:1], v[4:5]
	v_mul_f64 v[4:5], v[66:67], v[110:111]
	v_mul_f64 v[12:13], v[36:37], v[74:75]
	v_add_f64 v[2:3], v[2:3], v[8:9]
	v_fmac_f64_e32 v[10:11], v[30:31], v[76:77]
	v_fma_f64 v[4:5], v[64:65], v[108:109], -v[4:5]
	v_add_f64 v[2:3], v[2:3], v[10:11]
	v_fmac_f64_e32 v[12:13], v[38:39], v[72:73]
	v_mul_f64 v[6:7], v[52:53], v[102:103]
	v_add_f64 v[0:1], v[0:1], v[4:5]
	v_mul_f64 v[4:5], v[90:91], v[106:107]
	v_add_f64 v[2:3], v[2:3], v[12:13]
	v_mul_f64 v[8:9], v[60:61], v[118:119]
	v_fmac_f64_e32 v[6:7], v[54:55], v[100:101]
	v_fma_f64 v[4:5], v[88:89], v[104:105], -v[4:5]
	v_mul_f64 v[10:11], v[56:57], v[114:115]
	v_add_f64 v[2:3], v[2:3], v[6:7]
	v_fmac_f64_e32 v[8:9], v[62:63], v[116:117]
	v_add_f64 v[0:1], v[0:1], v[4:5]
	v_mul_f64 v[4:5], v[94:95], v[122:123]
	v_mul_f64 v[12:13], v[64:65], v[110:111]
	v_add_f64 v[2:3], v[2:3], v[8:9]
	v_fmac_f64_e32 v[10:11], v[58:59], v[112:113]
	v_fma_f64 v[4:5], v[92:93], v[120:121], -v[4:5]
	v_add_f64 v[2:3], v[2:3], v[10:11]
	v_fmac_f64_e32 v[12:13], v[66:67], v[108:109]
	v_mul_f64 v[6:7], v[88:89], v[106:107]
	v_add_f64 v[0:1], v[0:1], v[4:5]
	v_mul_f64 v[4:5], v[86:87], v[126:127]
	v_add_f64 v[2:3], v[2:3], v[12:13]
	v_mul_f64 v[8:9], v[92:93], v[122:123]
	v_fma_f64 v[4:5], v[84:85], v[124:125], -v[4:5]
	v_fmac_f64_e32 v[6:7], v[90:91], v[104:105]
	v_mul_f64 v[10:11], v[84:85], v[126:127]
	v_add_f64 v[0:1], v[0:1], v[4:5]
	v_mul_f64 v[4:5], v[98:99], v[130:131]
	v_fmac_f64_e32 v[8:9], v[94:95], v[120:121]
	v_add_f64 v[2:3], v[2:3], v[6:7]
	v_fma_f64 v[4:5], v[96:97], v[128:129], -v[4:5]
	v_mul_f64 v[12:13], v[96:97], v[130:131]
	v_fmac_f64_e32 v[10:11], v[86:87], v[124:125]
	v_add_f64 v[2:3], v[2:3], v[8:9]
	v_add_f64 v[0:1], v[0:1], v[4:5]
	v_fmac_f64_e32 v[12:13], v[98:99], v[128:129]
	v_add_f64 v[2:3], v[2:3], v[10:11]
	s_add_i32 s17, s17, 64
	s_add_i32 s6, s6, -1
	v_mov_b32_e32 v4, s15
	v_add_co_u32_e64 v8, s[8:9], s16, v152
	v_add_f64 v[2:3], v[2:3], v[12:13]
	s_cmp_eq_u32 s6, 0
	v_addc_co_u32_e64 v9, s[8:9], v153, v4, s[8:9]
	s_barrier
	s_cbranch_scc1 .LBB126_101
.LBB126_97:                             ; =>This Inner Loop Header: Depth=1
	s_and_saveexec_b64 s[12:13], s[2:3]
	s_cbranch_execz .LBB126_99
; %bb.98:                               ;   in Loop: Header=BB126_97 Depth=1
	s_mul_i32 s8, s17, s37
	s_mul_hi_u32 s9, s17, s36
	s_add_i32 s9, s9, s8
	s_mul_i32 s8, s17, s36
	s_lshl_b64 s[8:9], s[8:9], 4
	v_mov_b32_e32 v5, s9
	v_add_co_u32_e64 v4, s[8:9], s8, v156
	v_addc_co_u32_e64 v5, s[8:9], v157, v5, s[8:9]
	global_load_dwordx4 v[4:7], v[4:5], off
	s_waitcnt vmcnt(0)
	ds_write2_b64 v158, v[4:5], v[6:7] offset1:1
.LBB126_99:                             ;   in Loop: Header=BB126_97 Depth=1
	s_or_b64 exec, exec, s[12:13]
	v_add_co_u32_e64 v12, s[8:9], s10, v8
	v_addc_co_u32_e64 v13, s[8:9], v9, v167, s[8:9]
	v_add_co_u32_e64 v16, s[8:9], s10, v12
	s_waitcnt lgkmcnt(0)
	s_barrier
	global_load_dwordx4 v[4:7], v[8:9], off
	v_addc_co_u32_e64 v17, s[8:9], v13, v167, s[8:9]
	global_load_dwordx4 v[8:11], v[12:13], off
	v_add_co_u32_e64 v28, s[8:9], s10, v16
	global_load_dwordx4 v[12:15], v[16:17], off
	v_addc_co_u32_e64 v29, s[8:9], v17, v167, s[8:9]
	global_load_dwordx4 v[16:19], v[28:29], off
	ds_read_b128 v[24:27], v159
	ds_read_b128 v[20:23], v163
	v_add_co_u32_e64 v36, s[8:9], s16, v28
	v_addc_co_u32_e64 v37, s[8:9], v29, v168, s[8:9]
	v_add_co_u32_e64 v38, s[8:9], s10, v36
	v_addc_co_u32_e64 v39, s[8:9], v37, v167, s[8:9]
	;; [unrolled: 2-line block ×3, first 2 shown]
	s_waitcnt vmcnt(3) lgkmcnt(1)
	v_mul_f64 v[28:29], v[6:7], v[26:27]
	v_mul_f64 v[30:31], v[4:5], v[26:27]
	v_fma_f64 v[28:29], v[4:5], v[24:25], -v[28:29]
	v_fmac_f64_e32 v[30:31], v[6:7], v[24:25]
	s_waitcnt vmcnt(2)
	v_mul_f64 v[34:35], v[10:11], v[26:27]
	v_mul_f64 v[32:33], v[8:9], v[26:27]
	ds_write_b128 v164, v[28:31]
	v_fma_f64 v[30:31], v[8:9], v[24:25], -v[34:35]
	v_fmac_f64_e32 v[32:33], v[10:11], v[24:25]
	s_waitcnt vmcnt(1)
	v_mul_f64 v[28:29], v[14:15], v[26:27]
	v_mul_f64 v[34:35], v[12:13], v[26:27]
	ds_read_b128 v[40:43], v163 offset:16
	ds_write_b128 v164, v[30:33] offset:1072
	v_fma_f64 v[32:33], v[12:13], v[24:25], -v[28:29]
	v_fmac_f64_e32 v[34:35], v[14:15], v[24:25]
	s_waitcnt vmcnt(0)
	v_mul_f64 v[30:31], v[18:19], v[26:27]
	v_mul_f64 v[28:29], v[16:17], v[26:27]
	ds_read_b128 v[44:47], v163 offset:32
	ds_write_b128 v164, v[32:35] offset:2144
	v_fma_f64 v[26:27], v[16:17], v[24:25], -v[30:31]
	v_fmac_f64_e32 v[28:29], v[18:19], v[24:25]
	ds_read_b128 v[48:51], v163 offset:48
	ds_write_b128 v164, v[26:29] offset:3216
	s_waitcnt lgkmcnt(0)
	s_barrier
	ds_read_b128 v[128:131], v162
	ds_read_b128 v[124:127], v162 offset:16
	ds_read_b128 v[120:123], v162 offset:32
	;; [unrolled: 1-line block ×3, first 2 shown]
	s_waitcnt lgkmcnt(0)
	s_barrier
	global_load_dwordx4 v[24:27], v[36:37], off
	global_load_dwordx4 v[32:35], v[38:39], off
	;; [unrolled: 1-line block ×3, first 2 shown]
	v_add_co_u32_e64 v52, s[8:9], s10, v52
	v_addc_co_u32_e64 v53, s[8:9], v53, v167, s[8:9]
	global_load_dwordx4 v[36:39], v[52:53], off
	v_add_co_u32_e64 v66, s[8:9], s16, v52
	v_addc_co_u32_e64 v67, s[8:9], v53, v168, s[8:9]
	ds_read_b128 v[52:55], v159
	ds_read_b128 v[68:71], v163 offset:256
	v_add_co_u32_e64 v88, s[8:9], s10, v66
	v_addc_co_u32_e64 v89, s[8:9], v67, v167, s[8:9]
	v_add_co_u32_e64 v90, s[8:9], s10, v88
	v_addc_co_u32_e64 v91, s[8:9], v89, v167, s[8:9]
	v_add_f64 v[128:129], v[128:129], 0
	v_add_f64 v[130:131], v[130:131], 0
	;; [unrolled: 1-line block ×7, first 2 shown]
	s_waitcnt vmcnt(3) lgkmcnt(1)
	v_mul_f64 v[58:59], v[26:27], v[54:55]
	v_mul_f64 v[56:57], v[24:25], v[54:55]
	s_waitcnt vmcnt(2)
	v_mul_f64 v[62:63], v[34:35], v[54:55]
	v_mul_f64 v[60:61], v[32:33], v[54:55]
	s_waitcnt vmcnt(1)
	v_mul_f64 v[72:73], v[30:31], v[54:55]
	v_mul_f64 v[64:65], v[28:29], v[54:55]
	v_fmac_f64_e32 v[56:57], v[26:27], v[52:53]
	s_waitcnt vmcnt(0)
	v_mul_f64 v[74:75], v[38:39], v[54:55]
	v_mul_f64 v[86:87], v[36:37], v[54:55]
	v_fma_f64 v[54:55], v[24:25], v[52:53], -v[58:59]
	v_fma_f64 v[58:59], v[32:33], v[52:53], -v[62:63]
	v_fmac_f64_e32 v[60:61], v[34:35], v[52:53]
	ds_write_b128 v164, v[54:57]
	v_fma_f64 v[62:63], v[28:29], v[52:53], -v[72:73]
	v_fmac_f64_e32 v[64:65], v[30:31], v[52:53]
	ds_read_b128 v[80:83], v163 offset:272
	ds_write_b128 v164, v[58:61] offset:1072
	v_fma_f64 v[84:85], v[36:37], v[52:53], -v[74:75]
	v_fmac_f64_e32 v[86:87], v[38:39], v[52:53]
	ds_read_b128 v[76:79], v163 offset:288
	ds_write_b128 v164, v[62:65] offset:2144
	ds_read_b128 v[72:75], v163 offset:304
	ds_write_b128 v164, v[84:87] offset:3216
	v_add_co_u32_e64 v84, s[8:9], s10, v90
	v_addc_co_u32_e64 v85, s[8:9], v91, v167, s[8:9]
	s_waitcnt lgkmcnt(0)
	s_barrier
	ds_read_b128 v[144:147], v162
	ds_read_b128 v[140:143], v162 offset:16
	ds_read_b128 v[136:139], v162 offset:32
	;; [unrolled: 1-line block ×3, first 2 shown]
	s_waitcnt lgkmcnt(0)
	s_barrier
	global_load_dwordx4 v[52:55], v[66:67], off
	global_load_dwordx4 v[60:63], v[88:89], off
	global_load_dwordx4 v[56:59], v[90:91], off
	v_add_co_u32_e64 v98, s[8:9], s16, v84
	global_load_dwordx4 v[64:67], v[84:85], off
	v_addc_co_u32_e64 v99, s[8:9], v85, v168, s[8:9]
	ds_read_b128 v[84:87], v159
	ds_read_b128 v[100:103], v163 offset:512
	v_add_co_u32_e64 v152, s[8:9], s10, v98
	v_addc_co_u32_e64 v153, s[8:9], v99, v167, s[8:9]
	v_add_co_u32_e64 v186, s[8:9], s10, v152
	v_addc_co_u32_e64 v187, s[8:9], v153, v167, s[8:9]
	v_add_f64 v[106:107], v[146:147], 0
	v_add_f64 v[106:107], v[106:107], v[142:143]
	;; [unrolled: 1-line block ×4, first 2 shown]
	s_waitcnt vmcnt(3) lgkmcnt(1)
	v_mul_f64 v[90:91], v[54:55], v[86:87]
	v_mul_f64 v[88:89], v[52:53], v[86:87]
	s_waitcnt vmcnt(2)
	v_mul_f64 v[94:95], v[62:63], v[86:87]
	v_mul_f64 v[92:93], v[60:61], v[86:87]
	s_waitcnt vmcnt(1)
	;; [unrolled: 3-line block ×3, first 2 shown]
	v_mul_f64 v[110:111], v[66:67], v[86:87]
	v_mul_f64 v[172:173], v[64:65], v[86:87]
	v_fma_f64 v[86:87], v[52:53], v[84:85], -v[90:91]
	v_fmac_f64_e32 v[88:89], v[54:55], v[84:85]
	v_fma_f64 v[90:91], v[60:61], v[84:85], -v[94:95]
	v_fmac_f64_e32 v[92:93], v[62:63], v[84:85]
	ds_write_b128 v164, v[86:89]
	v_fma_f64 v[94:95], v[56:57], v[84:85], -v[108:109]
	v_fmac_f64_e32 v[96:97], v[58:59], v[84:85]
	ds_read_b128 v[116:119], v163 offset:528
	ds_write_b128 v164, v[90:93] offset:1072
	v_fma_f64 v[170:171], v[64:65], v[84:85], -v[110:111]
	v_fmac_f64_e32 v[172:173], v[66:67], v[84:85]
	ds_read_b128 v[112:115], v163 offset:544
	ds_write_b128 v164, v[94:97] offset:2144
	ds_read_b128 v[108:111], v163 offset:560
	ds_write_b128 v164, v[170:173] offset:3216
	s_waitcnt lgkmcnt(0)
	s_barrier
	ds_read_b128 v[170:173], v162
	ds_read_b128 v[174:177], v162 offset:16
	ds_read_b128 v[178:181], v162 offset:32
	;; [unrolled: 1-line block ×3, first 2 shown]
	s_waitcnt lgkmcnt(0)
	s_barrier
	global_load_dwordx4 v[88:91], v[98:99], off
	global_load_dwordx4 v[92:95], v[152:153], off
	;; [unrolled: 1-line block ×3, first 2 shown]
	v_add_co_u32_e64 v152, s[8:9], s10, v186
	v_addc_co_u32_e64 v153, s[8:9], v187, v167, s[8:9]
	global_load_dwordx4 v[96:99], v[152:153], off
	v_add_f64 v[186:187], v[120:121], v[104:105]
	v_add_f64 v[104:105], v[144:145], 0
	;; [unrolled: 1-line block ×5, first 2 shown]
	ds_read_b128 v[120:123], v159
	ds_read_b128 v[104:107], v163 offset:768
	v_add_f64 v[124:125], v[170:171], 0
	v_add_f64 v[126:127], v[172:173], 0
	;; [unrolled: 1-line block ×8, first 2 shown]
	s_waitcnt vmcnt(3) lgkmcnt(1)
	v_mul_f64 v[126:127], v[90:91], v[122:123]
	v_mul_f64 v[124:125], v[88:89], v[122:123]
	s_waitcnt vmcnt(2)
	v_mul_f64 v[130:131], v[94:95], v[122:123]
	v_mul_f64 v[128:129], v[92:93], v[122:123]
	s_waitcnt vmcnt(1)
	v_mul_f64 v[140:141], v[86:87], v[122:123]
	v_mul_f64 v[142:143], v[84:85], v[122:123]
	v_fmac_f64_e32 v[124:125], v[90:91], v[120:121]
	s_waitcnt vmcnt(0)
	v_mul_f64 v[144:145], v[98:99], v[122:123]
	v_mul_f64 v[146:147], v[96:97], v[122:123]
	v_fma_f64 v[122:123], v[88:89], v[120:121], -v[126:127]
	v_fma_f64 v[126:127], v[92:93], v[120:121], -v[130:131]
	v_fmac_f64_e32 v[128:129], v[94:95], v[120:121]
	ds_write_b128 v164, v[122:125]
	v_fma_f64 v[140:141], v[84:85], v[120:121], -v[140:141]
	v_fma_f64 v[144:145], v[96:97], v[120:121], -v[144:145]
	v_fmac_f64_e32 v[142:143], v[86:87], v[120:121]
	v_fmac_f64_e32 v[146:147], v[98:99], v[120:121]
	ds_read_b128 v[120:123], v163 offset:784
	ds_write_b128 v164, v[126:129] offset:1072
	ds_read_b128 v[124:127], v163 offset:800
	ds_write_b128 v164, v[140:143] offset:2144
	;; [unrolled: 2-line block ×3, first 2 shown]
	s_waitcnt lgkmcnt(0)
	s_barrier
	ds_read_b128 v[140:143], v162
	ds_read_b128 v[144:147], v162 offset:16
	ds_read_b128 v[170:173], v162 offset:32
	;; [unrolled: 1-line block ×3, first 2 shown]
	s_waitcnt lgkmcnt(0)
	s_barrier
	ds_write_b128 v165, v[186:189]
	ds_write_b128 v165, v[132:135] offset:256
	ds_write_b128 v165, v[136:139] offset:512
	v_add_f64 v[132:133], v[140:141], 0
	v_add_f64 v[134:135], v[142:143], 0
	;; [unrolled: 1-line block ×8, first 2 shown]
	ds_write_b128 v165, v[132:135] offset:768
	s_waitcnt lgkmcnt(0)
	s_barrier
	s_and_saveexec_b64 s[12:13], s[4:5]
	s_cbranch_execz .LBB126_96
; %bb.100:                              ;   in Loop: Header=BB126_97 Depth=1
	ds_read_b128 v[132:135], v160
	ds_read_b128 v[136:139], v160 offset:16
	ds_read_b128 v[140:143], v160 offset:32
	;; [unrolled: 1-line block ×3, first 2 shown]
	v_add_u32_e32 v150, s17, v166
	s_waitcnt lgkmcnt(2)
	v_add_f64 v[132:133], v[136:137], v[132:133]
	v_add_f64 v[136:137], v[138:139], v[134:135]
	s_waitcnt lgkmcnt(1)
	v_add_f64 v[138:139], v[132:133], v[140:141]
	ds_read_b128 v[132:135], v160 offset:64
	v_add_f64 v[140:141], v[136:137], v[142:143]
	s_waitcnt lgkmcnt(1)
	v_add_f64 v[142:143], v[138:139], v[144:145]
	ds_read_b128 v[136:139], v160 offset:80
	;; [unrolled: 4-line block ×9, first 2 shown]
	v_add_f64 v[134:135], v[144:145], v[134:135]
	s_waitcnt lgkmcnt(1)
	v_add_f64 v[136:137], v[132:133], v[136:137]
	v_add_f64 v[144:145], v[134:135], v[138:139]
	ds_read_b128 v[132:135], v160 offset:208
	s_waitcnt lgkmcnt(1)
	v_add_f64 v[146:147], v[136:137], v[140:141]
	ds_read_b128 v[136:139], v160 offset:224
	v_add_f64 v[144:145], v[144:145], v[142:143]
	ds_read_b128 v[140:143], v161
	s_waitcnt lgkmcnt(2)
	v_add_f64 v[132:133], v[146:147], v[132:133]
	v_add_f64 v[134:135], v[144:145], v[134:135]
	s_waitcnt lgkmcnt(1)
	v_add_f64 v[132:133], v[132:133], v[136:137]
	v_lshlrev_b64 v[136:137], 4, v[150:151]
	v_add_f64 v[134:135], v[134:135], v[138:139]
	v_mov_b32_e32 v138, s14
	v_add_co_u32_e64 v136, s[8:9], s7, v136
	s_waitcnt lgkmcnt(0)
	v_add_f64 v[132:133], v[132:133], v[140:141]
	v_add_f64 v[134:135], v[134:135], v[142:143]
	v_addc_co_u32_e64 v137, s[8:9], v138, v137, s[8:9]
	global_store_dwordx4 v[136:137], v[132:135], off
	s_branch .LBB126_96
.LBB126_101:
	s_movk_i32 s2, 0x430
	s_or_b64 s[0:1], s[0:1], vcc
	v_mad_u32_u24 v4, v154, s2, v155
	s_xor_b64 s[0:1], s[0:1], -1
	ds_write_b128 v4, v[0:3]
	s_waitcnt lgkmcnt(0)
	s_barrier
	s_and_saveexec_b64 s[2:3], s[0:1]
	s_cbranch_execz .LBB126_103
; %bb.102:
	ds_read_b128 v[0:3], v155 offset:1072
	ds_read_b128 v[4:7], v155
	ds_read_b128 v[8:11], v155 offset:2144
	ds_read_b128 v[12:15], v155 offset:3216
	s_waitcnt lgkmcnt(2)
	v_add_f64 v[0:1], v[0:1], v[4:5]
	v_add_f64 v[2:3], v[2:3], v[6:7]
	v_lshlrev_b64 v[4:5], 4, v[148:149]
	s_waitcnt lgkmcnt(1)
	v_add_f64 v[0:1], v[0:1], v[8:9]
	v_add_f64 v[2:3], v[2:3], v[10:11]
	v_mov_b32_e32 v6, s14
	v_add_co_u32_e32 v4, vcc, s7, v4
	s_waitcnt lgkmcnt(0)
	v_add_f64 v[0:1], v[0:1], v[12:13]
	v_add_f64 v[2:3], v[2:3], v[14:15]
	v_addc_co_u32_e32 v5, vcc, v6, v5, vcc
	global_store_dwordx4 v[4:5], v[0:3], off
.LBB126_103:
	s_endpgm
	.section	.rodata,"a",@progbits
	.p2align	6, 0x0
	.amdhsa_kernel _ZL26rocblas_hemvn_kernel_lowerILb0ELi64ELi4ELi33ELi32ELi16ElPK19rocblas_complex_numIdES3_PS1_EviT6_lT7_lT5_lS6_lS7_lS5_lT8_i
		.amdhsa_group_segment_fixed_size 19200
		.amdhsa_private_segment_fixed_size 0
		.amdhsa_kernarg_size 376
		.amdhsa_user_sgpr_count 6
		.amdhsa_user_sgpr_private_segment_buffer 1
		.amdhsa_user_sgpr_dispatch_ptr 0
		.amdhsa_user_sgpr_queue_ptr 0
		.amdhsa_user_sgpr_kernarg_segment_ptr 1
		.amdhsa_user_sgpr_dispatch_id 0
		.amdhsa_user_sgpr_flat_scratch_init 0
		.amdhsa_user_sgpr_kernarg_preload_length 0
		.amdhsa_user_sgpr_kernarg_preload_offset 0
		.amdhsa_user_sgpr_private_segment_size 0
		.amdhsa_uses_dynamic_stack 0
		.amdhsa_system_sgpr_private_segment_wavefront_offset 0
		.amdhsa_system_sgpr_workgroup_id_x 1
		.amdhsa_system_sgpr_workgroup_id_y 0
		.amdhsa_system_sgpr_workgroup_id_z 1
		.amdhsa_system_sgpr_workgroup_info 0
		.amdhsa_system_vgpr_workitem_id 1
		.amdhsa_next_free_vgpr 190
		.amdhsa_next_free_sgpr 44
		.amdhsa_accum_offset 192
		.amdhsa_reserve_vcc 1
		.amdhsa_reserve_flat_scratch 0
		.amdhsa_float_round_mode_32 0
		.amdhsa_float_round_mode_16_64 0
		.amdhsa_float_denorm_mode_32 3
		.amdhsa_float_denorm_mode_16_64 3
		.amdhsa_dx10_clamp 1
		.amdhsa_ieee_mode 1
		.amdhsa_fp16_overflow 0
		.amdhsa_tg_split 0
		.amdhsa_exception_fp_ieee_invalid_op 0
		.amdhsa_exception_fp_denorm_src 0
		.amdhsa_exception_fp_ieee_div_zero 0
		.amdhsa_exception_fp_ieee_overflow 0
		.amdhsa_exception_fp_ieee_underflow 0
		.amdhsa_exception_fp_ieee_inexact 0
		.amdhsa_exception_int_div_zero 0
	.end_amdhsa_kernel
	.section	.text._ZL26rocblas_hemvn_kernel_lowerILb0ELi64ELi4ELi33ELi32ELi16ElPK19rocblas_complex_numIdES3_PS1_EviT6_lT7_lT5_lS6_lS7_lS5_lT8_i,"axG",@progbits,_ZL26rocblas_hemvn_kernel_lowerILb0ELi64ELi4ELi33ELi32ELi16ElPK19rocblas_complex_numIdES3_PS1_EviT6_lT7_lT5_lS6_lS7_lS5_lT8_i,comdat
.Lfunc_end126:
	.size	_ZL26rocblas_hemvn_kernel_lowerILb0ELi64ELi4ELi33ELi32ELi16ElPK19rocblas_complex_numIdES3_PS1_EviT6_lT7_lT5_lS6_lS7_lS5_lT8_i, .Lfunc_end126-_ZL26rocblas_hemvn_kernel_lowerILb0ELi64ELi4ELi33ELi32ELi16ElPK19rocblas_complex_numIdES3_PS1_EviT6_lT7_lT5_lS6_lS7_lS5_lT8_i
                                        ; -- End function
	.section	.AMDGPU.csdata,"",@progbits
; Kernel info:
; codeLenInByte = 9240
; NumSgprs: 48
; NumVgprs: 190
; NumAgprs: 0
; TotalNumVgprs: 190
; ScratchSize: 0
; MemoryBound: 0
; FloatMode: 240
; IeeeMode: 1
; LDSByteSize: 19200 bytes/workgroup (compile time only)
; SGPRBlocks: 5
; VGPRBlocks: 23
; NumSGPRsForWavesPerEU: 48
; NumVGPRsForWavesPerEU: 190
; AccumOffset: 192
; Occupancy: 2
; WaveLimiterHint : 0
; COMPUTE_PGM_RSRC2:SCRATCH_EN: 0
; COMPUTE_PGM_RSRC2:USER_SGPR: 6
; COMPUTE_PGM_RSRC2:TRAP_HANDLER: 0
; COMPUTE_PGM_RSRC2:TGID_X_EN: 1
; COMPUTE_PGM_RSRC2:TGID_Y_EN: 0
; COMPUTE_PGM_RSRC2:TGID_Z_EN: 1
; COMPUTE_PGM_RSRC2:TIDIG_COMP_CNT: 1
; COMPUTE_PGM_RSRC3_GFX90A:ACCUM_OFFSET: 47
; COMPUTE_PGM_RSRC3_GFX90A:TG_SPLIT: 0
	.section	.text._ZL26rocblas_hemvn_kernel_lowerILb0ELi64ELi4ELi33ELi32ELi16EiPK19rocblas_complex_numIdES3_PS1_EviT6_lT7_lT5_lS6_lS7_lS5_lT8_i,"axG",@progbits,_ZL26rocblas_hemvn_kernel_lowerILb0ELi64ELi4ELi33ELi32ELi16EiPK19rocblas_complex_numIdES3_PS1_EviT6_lT7_lT5_lS6_lS7_lS5_lT8_i,comdat
	.globl	_ZL26rocblas_hemvn_kernel_lowerILb0ELi64ELi4ELi33ELi32ELi16EiPK19rocblas_complex_numIdES3_PS1_EviT6_lT7_lT5_lS6_lS7_lS5_lT8_i ; -- Begin function _ZL26rocblas_hemvn_kernel_lowerILb0ELi64ELi4ELi33ELi32ELi16EiPK19rocblas_complex_numIdES3_PS1_EviT6_lT7_lT5_lS6_lS7_lS5_lT8_i
	.p2align	8
	.type	_ZL26rocblas_hemvn_kernel_lowerILb0ELi64ELi4ELi33ELi32ELi16EiPK19rocblas_complex_numIdES3_PS1_EviT6_lT7_lT5_lS6_lS7_lS5_lT8_i,@function
_ZL26rocblas_hemvn_kernel_lowerILb0ELi64ELi4ELi33ELi32ELi16EiPK19rocblas_complex_numIdES3_PS1_EviT6_lT7_lT5_lS6_lS7_lS5_lT8_i: ; @_ZL26rocblas_hemvn_kernel_lowerILb0ELi64ELi4ELi33ELi32ELi16EiPK19rocblas_complex_numIdES3_PS1_EviT6_lT7_lT5_lS6_lS7_lS5_lT8_i
; %bb.0:
	s_load_dwordx2 s[2:3], s[4:5], 0x84
	s_add_u32 s0, s4, 0x78
	s_addc_u32 s1, s5, 0
	s_waitcnt lgkmcnt(0)
	s_lshr_b32 s8, s2, 16
	s_and_b32 s2, s2, 0xffff
	s_and_b32 s3, s3, 0xffff
	s_mul_i32 s2, s8, s2
	s_mul_i32 s2, s2, s3
	s_cmpk_lg_i32 s2, 0x100
	s_cbranch_scc1 .LBB127_103
; %bb.1:
	s_load_dwordx8 s[8:15], s[4:5], 0x8
	s_waitcnt lgkmcnt(0)
	s_mul_i32 s3, s7, s11
	s_mul_hi_u32 s11, s7, s10
	s_mul_i32 s2, s7, s10
	s_add_i32 s3, s11, s3
	s_lshl_b64 s[2:3], s[2:3], 4
	s_add_u32 s2, s8, s2
	s_addc_u32 s3, s9, s3
	s_load_dwordx4 s[8:11], s[2:3], 0x0
	s_load_dwordx8 s[16:23], s[4:5], 0x50
	s_waitcnt lgkmcnt(0)
	v_cmp_neq_f64_e64 s[2:3], s[8:9], 0
	v_cmp_neq_f64_e64 s[8:9], s[10:11], 0
	s_or_b64 s[2:3], s[2:3], s[8:9]
	s_mov_b64 s[8:9], -1
	s_and_b64 vcc, exec, s[2:3]
	s_cbranch_vccnz .LBB127_3
; %bb.2:
	s_mul_i32 s8, s7, s21
	s_mul_hi_u32 s9, s7, s20
	s_add_i32 s9, s9, s8
	s_mul_i32 s8, s7, s20
	s_lshl_b64 s[8:9], s[8:9], 4
	s_add_u32 s8, s18, s8
	s_addc_u32 s9, s19, s9
	s_load_dwordx4 s[8:11], s[8:9], 0x0
	s_waitcnt lgkmcnt(0)
	v_cmp_neq_f64_e64 s[8:9], s[8:9], 1.0
	v_cmp_neq_f64_e64 s[10:11], s[10:11], 0
	s_or_b64 s[8:9], s[8:9], s[10:11]
.LBB127_3:
	s_andn2_b64 vcc, exec, s[8:9]
	s_cbranch_vccnz .LBB127_103
; %bb.4:
	s_andn2_b64 vcc, exec, s[2:3]
	s_cbranch_vccnz .LBB127_103
; %bb.5:
	s_load_dword s41, s[0:1], 0x0
	s_load_dword s40, s[4:5], 0x0
	s_load_dwordx4 s[8:11], s[4:5], 0x30
	s_load_dwordx2 s[2:3], s[4:5], 0x40
	s_load_dword s33, s[4:5], 0x48
	s_mul_i32 s0, s7, s17
	s_mul_hi_u32 s1, s7, s16
	s_add_i32 s1, s1, s0
	s_mul_i32 s0, s7, s16
	s_lshl_b64 s[0:1], s[0:1], 4
	s_waitcnt lgkmcnt(0)
	s_add_u32 s10, s10, s0
	s_addc_u32 s11, s11, s1
	s_lshl_b64 s[0:1], s[2:3], 4
	s_add_u32 s0, s10, s0
	s_addc_u32 s1, s11, s1
	v_and_b32_e32 v42, 0x3ff, v0
	s_lshl_b32 s24, s6, 6
	s_ashr_i32 s42, s40, 31
	s_lshr_b32 s3, s42, 26
	v_add_u32_e32 v148, s24, v42
	v_bfe_u32 v149, v0, 10, 10
	s_add_i32 s3, s40, s3
	v_mul_lo_u32 v0, v148, s33
	s_andn2_b32 s3, s3, 63
	v_ashrrev_i32_e32 v1, 31, v0
	s_add_i32 s2, s41, -1
	s_sub_i32 s3, s40, s3
	v_lshlrev_b64 v[0:1], 4, v[0:1]
	s_cmp_eq_u32 s6, s2
	v_mov_b32_e32 v2, s1
	v_add_co_u32_e32 v36, vcc, s0, v0
	s_cselect_b32 s20, s3, 0
	v_addc_co_u32_e32 v37, vcc, v2, v1, vcc
	v_cmp_ne_u32_e64 s[0:1], 0, v149
	v_cmp_eq_u32_e64 s[2:3], 0, v149
	s_and_saveexec_b64 s[10:11], s[2:3]
	s_cbranch_execz .LBB127_10
; %bb.6:
	s_cmp_lg_u32 s20, 0
	s_cselect_b64 s[16:17], -1, 0
	v_cmp_le_i32_e32 vcc, s20, v42
	v_mov_b32_e32 v0, 0x4700
	s_and_b64 s[16:17], s[16:17], vcc
	v_lshl_add_u32 v0, v42, 4, v0
	s_and_saveexec_b64 s[18:19], s[16:17]
	s_xor_b64 s[16:17], exec, s[18:19]
	s_cbranch_execz .LBB127_8
; %bb.7:
	v_mov_b32_e32 v2, 0
	v_mov_b32_e32 v3, v2
	;; [unrolled: 1-line block ×4, first 2 shown]
	ds_write_b128 v0, v[2:5]
                                        ; implicit-def: $vgpr0
.LBB127_8:
	s_andn2_saveexec_b64 s[16:17], s[16:17]
	s_cbranch_execz .LBB127_10
; %bb.9:
	global_load_dwordx4 v[2:5], v[36:37], off
	s_waitcnt vmcnt(0)
	ds_write2_b64 v0, v[2:3], v[4:5] offset1:1
.LBB127_10:
	s_or_b64 exec, exec, s[10:11]
	s_mul_i32 s9, s7, s9
	s_mul_hi_u32 s10, s7, s8
	s_add_i32 s9, s10, s9
	s_mul_i32 s8, s7, s8
	s_lshl_b64 s[8:9], s[8:9], 4
	s_add_u32 s10, s12, s8
	s_addc_u32 s11, s13, s9
	s_lshl_b64 s[8:9], s[14:15], 4
	s_load_dword s26, s[4:5], 0x28
	s_add_u32 s8, s10, s8
	s_addc_u32 s9, s11, s9
	s_ashr_i32 s25, s24, 31
	v_lshl_add_u32 v43, v149, 6, v42
	s_lshl_b64 s[4:5], s[24:25], 4
	v_and_b32_e32 v4, 31, v42
	v_lshrrev_b32_e32 v5, 5, v43
	s_add_u32 s8, s8, s4
	s_addc_u32 s9, s9, s5
	s_waitcnt lgkmcnt(0)
	v_mad_u64_u32 v[0:1], s[4:5], v5, s26, v[4:5]
	s_mul_i32 s4, s24, s26
	s_ashr_i32 s5, s4, 31
	s_lshl_b64 s[28:29], s[4:5], 4
	v_ashrrev_i32_e32 v1, 31, v0
	s_add_u32 s4, s28, s8
	v_lshlrev_b64 v[38:39], 4, v[0:1]
	s_addc_u32 s5, s29, s9
	v_mov_b32_e32 v0, s5
	v_add_co_u32_e32 v6, vcc, s4, v38
	s_cmp_lg_u32 s20, 0
	v_addc_co_u32_e32 v7, vcc, v0, v39, vcc
	s_cselect_b64 s[30:31], -1, 0
	s_cmp_eq_u32 s20, 0
	s_cselect_b64 s[34:35], -1, 0
	s_and_b64 vcc, exec, s[30:31]
	s_cbranch_vccnz .LBB127_12
; %bb.11:
	s_lshl_b32 s4, s26, 3
	s_ashr_i32 s5, s4, 31
	s_lshl_b64 s[4:5], s[4:5], 4
	v_mov_b32_e32 v8, s5
	v_add_co_u32_e32 v12, vcc, s4, v6
	s_ashr_i32 s27, s26, 31
	v_addc_co_u32_e32 v13, vcc, v7, v8, vcc
	s_lshl_b64 s[4:5], s[26:27], 7
	v_mov_b32_e32 v18, s5
	v_add_co_u32_e32 v16, vcc, s4, v12
	global_load_dwordx4 v[0:3], v[6:7], off
	global_load_dwordx4 v[8:11], v[12:13], off
	v_addc_co_u32_e32 v17, vcc, v13, v18, vcc
	global_load_dwordx4 v[12:15], v[16:17], off
	v_add_co_u32_e32 v16, vcc, s4, v16
	v_addc_co_u32_e32 v17, vcc, v17, v18, vcc
	global_load_dwordx4 v[16:19], v[16:17], off
	v_mul_u32_u24_e32 v20, 33, v5
	v_add_lshl_u32 v20, v20, v4, 4
	v_add_u32_e32 v21, 0x1080, v20
	v_add_u32_e32 v22, 0x2100, v20
	;; [unrolled: 1-line block ×3, first 2 shown]
	s_waitcnt vmcnt(3)
	ds_write2_b64 v20, v[0:1], v[2:3] offset1:1
	s_waitcnt vmcnt(2)
	ds_write2_b64 v21, v[8:9], v[10:11] offset1:1
	s_waitcnt vmcnt(1)
	ds_write2_b64 v22, v[12:13], v[14:15] offset1:1
	s_waitcnt vmcnt(0)
	ds_write2_b64 v23, v[16:17], v[18:19] offset1:1
	s_cbranch_execz .LBB127_13
	s_branch .LBB127_30
.LBB127_12:
.LBB127_13:
	v_lshlrev_b32_e32 v2, 4, v4
	v_sub_co_u32_e32 v0, vcc, v6, v2
	s_ashr_i32 s21, s20, 31
	v_subbrev_co_u32_e32 v1, vcc, 0, v7, vcc
	s_lshl_b64 s[8:9], s[20:21], 4
	v_mov_b32_e32 v3, s9
	v_add_co_u32_e32 v0, vcc, s8, v0
	v_addc_co_u32_e32 v1, vcc, v1, v3, vcc
	v_add_co_u32_e32 v0, vcc, -16, v0
	v_addc_co_u32_e32 v1, vcc, -1, v1, vcc
	v_cmp_gt_i32_e32 vcc, s20, v4
	v_mul_u32_u24_e32 v3, 33, v5
	v_cndmask_b32_e32 v1, v1, v7, vcc
	v_cndmask_b32_e32 v0, v0, v6, vcc
	v_cmp_le_i32_e64 s[4:5], s20, v5
	v_add_lshl_u32 v3, v3, v4, 4
	s_and_saveexec_b64 s[10:11], s[4:5]
	s_xor_b64 s[4:5], exec, s[10:11]
	s_cbranch_execz .LBB127_15
; %bb.14:
	v_mov_b32_e32 v8, 0
	v_mov_b32_e32 v9, v8
	;; [unrolled: 1-line block ×4, first 2 shown]
	ds_write_b128 v3, v[8:11]
.LBB127_15:
	s_andn2_saveexec_b64 s[4:5], s[4:5]
	s_cbranch_execz .LBB127_17
; %bb.16:
	global_load_dwordx4 v[8:11], v[0:1], off
	s_waitcnt vmcnt(0)
	ds_write2_b64 v3, v[8:9], v[10:11] offset1:1
.LBB127_17:
	s_or_b64 exec, exec, s[4:5]
	v_add_u32_e32 v8, 8, v5
	v_cmp_le_i32_e64 s[4:5], s20, v8
	s_and_saveexec_b64 s[10:11], s[4:5]
	s_xor_b64 s[4:5], exec, s[10:11]
	s_cbranch_execz .LBB127_19
; %bb.18:
	v_mul_u32_u24_e32 v8, 33, v8
	v_add_lshl_u32 v12, v8, v4, 4
	v_mov_b32_e32 v8, 0
	v_mov_b32_e32 v9, v8
	;; [unrolled: 1-line block ×4, first 2 shown]
	ds_write_b128 v12, v[8:11]
.LBB127_19:
	s_andn2_saveexec_b64 s[10:11], s[4:5]
	s_cbranch_execz .LBB127_21
; %bb.20:
	s_lshl_b32 s4, s26, 3
	s_ashr_i32 s5, s4, 31
	s_lshl_b64 s[4:5], s[4:5], 4
	v_mov_b32_e32 v9, s5
	v_add_co_u32_e64 v8, s[4:5], s4, v0
	v_addc_co_u32_e64 v9, s[4:5], v1, v9, s[4:5]
	global_load_dwordx4 v[8:11], v[8:9], off
	v_add_u32_e32 v12, 0x1080, v3
	s_waitcnt vmcnt(0)
	ds_write2_b64 v12, v[8:9], v[10:11] offset1:1
.LBB127_21:
	s_or_b64 exec, exec, s[10:11]
	v_add_u32_e32 v8, 16, v5
	v_cmp_le_i32_e64 s[4:5], s20, v8
	s_and_saveexec_b64 s[10:11], s[4:5]
	s_xor_b64 s[4:5], exec, s[10:11]
	s_cbranch_execz .LBB127_23
; %bb.22:
	v_mul_u32_u24_e32 v8, 33, v8
	v_add_lshl_u32 v12, v8, v4, 4
	v_mov_b32_e32 v8, 0
	v_mov_b32_e32 v9, v8
	;; [unrolled: 1-line block ×4, first 2 shown]
	ds_write_b128 v12, v[8:11]
.LBB127_23:
	s_andn2_saveexec_b64 s[10:11], s[4:5]
	s_cbranch_execz .LBB127_25
; %bb.24:
	s_lshl_b32 s4, s26, 4
	s_ashr_i32 s5, s4, 31
	s_lshl_b64 s[4:5], s[4:5], 4
	v_mov_b32_e32 v9, s5
	v_add_co_u32_e64 v8, s[4:5], s4, v0
	v_addc_co_u32_e64 v9, s[4:5], v1, v9, s[4:5]
	global_load_dwordx4 v[8:11], v[8:9], off
	v_add_u32_e32 v12, 0x2100, v3
	s_waitcnt vmcnt(0)
	ds_write2_b64 v12, v[8:9], v[10:11] offset1:1
.LBB127_25:
	s_or_b64 exec, exec, s[10:11]
	v_add_u32_e32 v8, 24, v5
	v_cmp_le_i32_e64 s[4:5], s20, v8
	s_and_saveexec_b64 s[10:11], s[4:5]
	s_xor_b64 s[4:5], exec, s[10:11]
	s_cbranch_execz .LBB127_27
; %bb.26:
	v_mov_b32_e32 v8, 0
	v_mov_b32_e32 v9, v8
	v_mov_b32_e32 v10, v8
	v_mov_b32_e32 v11, v8
	ds_write_b128 v3, v[8:11] offset:12672
                                        ; implicit-def: $vgpr3
.LBB127_27:
	s_andn2_saveexec_b64 s[10:11], s[4:5]
	s_cbranch_execz .LBB127_29
; %bb.28:
	s_mul_i32 s4, s26, 24
	s_ashr_i32 s5, s4, 31
	s_lshl_b64 s[4:5], s[4:5], 4
	v_mov_b32_e32 v9, s5
	v_add_co_u32_e64 v8, s[4:5], s4, v0
	v_addc_co_u32_e64 v9, s[4:5], v1, v9, s[4:5]
	global_load_dwordx4 v[8:11], v[8:9], off
	v_add_u32_e32 v3, 0x3180, v3
	s_waitcnt vmcnt(0)
	ds_write2_b64 v3, v[8:9], v[10:11] offset1:1
.LBB127_29:
	s_or_b64 exec, exec, s[10:11]
	v_add_co_u32_e64 v0, s[4:5], v0, v2
	v_addc_co_u32_e64 v1, s[4:5], 0, v1, s[4:5]
	v_mov_b32_e32 v2, s9
	v_subrev_co_u32_e64 v0, s[4:5], s8, v0
	v_subb_co_u32_e64 v1, s[4:5], v1, v2, s[4:5]
	v_add_co_u32_e64 v0, s[4:5], 16, v0
	v_addc_co_u32_e64 v1, s[4:5], 0, v1, s[4:5]
	v_cndmask_b32_e32 v7, v1, v7, vcc
	v_cndmask_b32_e32 v6, v0, v6, vcc
.LBB127_30:
	v_lshlrev_b32_e32 v0, 2, v5
	v_mul_u32_u24_e32 v44, 33, v4
	v_cmp_lt_u32_e64 s[18:19], v0, v4
	v_add_lshl_u32 v10, v0, v44, 4
	s_waitcnt lgkmcnt(0)
	s_barrier
	s_and_saveexec_b64 s[4:5], s[18:19]
	s_cbranch_execz .LBB127_32
; %bb.31:
	v_mul_u32_u24_e32 v1, 0x84, v5
	v_add_lshl_u32 v1, v1, v4, 4
	ds_read_b128 v[12:15], v1
	s_waitcnt lgkmcnt(0)
	ds_write_b128 v10, v[12:15]
.LBB127_32:
	s_or_b64 exec, exec, s[4:5]
	v_or_b32_e32 v1, 1, v0
	v_cmp_lt_u32_e64 s[8:9], v1, v4
	s_and_saveexec_b64 s[4:5], s[8:9]
	s_cbranch_execz .LBB127_34
; %bb.33:
	v_mul_u32_u24_e32 v1, 33, v1
	v_add_lshl_u32 v1, v1, v4, 4
	ds_read_b128 v[12:15], v1
	s_waitcnt lgkmcnt(0)
	ds_write_b128 v10, v[12:15] offset:16
.LBB127_34:
	s_or_b64 exec, exec, s[4:5]
	v_or_b32_e32 v1, 2, v0
	v_cmp_lt_u32_e64 s[10:11], v1, v4
	s_and_saveexec_b64 s[4:5], s[10:11]
	s_cbranch_execz .LBB127_36
; %bb.35:
	v_mul_u32_u24_e32 v1, 33, v1
	v_add_lshl_u32 v1, v1, v4, 4
	ds_read_b128 v[12:15], v1
	s_waitcnt lgkmcnt(0)
	ds_write_b128 v10, v[12:15] offset:32
.LBB127_36:
	s_or_b64 exec, exec, s[4:5]
	v_or_b32_e32 v1, 3, v0
	v_cmp_lt_u32_e64 s[12:13], v1, v4
	v_mad_u32_u24 v1, v1, 33, v4
	v_lshlrev_b32_e32 v11, 4, v1
	s_and_saveexec_b64 s[4:5], s[12:13]
	s_cbranch_execz .LBB127_38
; %bb.37:
	ds_read_b128 v[12:15], v11
	s_waitcnt lgkmcnt(0)
	ds_write_b128 v10, v[12:15] offset:48
.LBB127_38:
	s_or_b64 exec, exec, s[4:5]
	v_mul_u32_u24_e32 v1, 0x84, v5
	v_lshlrev_b32_e32 v14, 4, v0
	s_waitcnt lgkmcnt(0)
	s_barrier
	v_add_lshl_u32 v13, v1, v4, 4
	ds_read_b128 v[0:3], v14 offset:18176
	ds_read_b128 v[16:19], v13
	ds_read_b128 v[20:23], v14 offset:18192
	ds_read_b128 v[24:27], v14 offset:18208
	v_add_u32_e32 v12, 0xfffffbe0, v11
	ds_read_b128 v[28:31], v12
	ds_read_b128 v[32:35], v12 offset:528
	s_waitcnt lgkmcnt(4)
	v_mul_f64 v[8:9], v[2:3], v[18:19]
	v_fma_f64 v[8:9], v[0:1], v[16:17], -v[8:9]
	v_mul_f64 v[0:1], v[0:1], v[18:19]
	v_fmac_f64_e32 v[0:1], v[2:3], v[16:17]
	s_waitcnt lgkmcnt(1)
	v_mul_f64 v[16:17], v[20:21], v[30:31]
	v_add_f64 v[2:3], v[8:9], 0
	v_add_f64 v[0:1], v[0:1], 0
	v_mul_f64 v[8:9], v[22:23], v[30:31]
	v_fmac_f64_e32 v[16:17], v[22:23], v[28:29]
	v_fma_f64 v[8:9], v[20:21], v[28:29], -v[8:9]
	v_add_f64 v[20:21], v[0:1], v[16:17]
	s_waitcnt lgkmcnt(0)
	v_mul_f64 v[0:1], v[26:27], v[34:35]
	v_add_f64 v[8:9], v[2:3], v[8:9]
	v_fma_f64 v[22:23], v[24:25], v[32:33], -v[0:1]
	ds_read_b128 v[0:3], v14 offset:18224
	ds_read_b128 v[16:19], v11
	v_mul_f64 v[24:25], v[24:25], v[34:35]
	v_fmac_f64_e32 v[24:25], v[26:27], v[32:33]
	v_add_f64 v[8:9], v[8:9], v[22:23]
	v_add_f64 v[20:21], v[20:21], v[24:25]
	s_waitcnt lgkmcnt(0)
	v_mul_f64 v[22:23], v[2:3], v[18:19]
	v_mul_f64 v[18:19], v[0:1], v[18:19]
	v_fma_f64 v[22:23], v[0:1], v[16:17], -v[22:23]
	v_fmac_f64_e32 v[18:19], v[2:3], v[16:17]
	v_add_f64 v[0:1], v[8:9], v[22:23]
	v_add_f64 v[2:3], v[20:21], v[18:19]
	v_add_lshl_u32 v45, v5, v44, 4
	s_barrier
	ds_write_b128 v45, v[0:3]
	v_pk_mov_b32 v[0:1], 0, 0
	v_cmp_gt_u32_e64 s[4:5], 32, v43
	v_pk_mov_b32 v[2:3], v[0:1], v[0:1] op_sel:[0,1]
	s_waitcnt lgkmcnt(0)
	s_barrier
	s_and_saveexec_b64 s[14:15], s[4:5]
	s_cbranch_execz .LBB127_40
; %bb.39:
	v_lshlrev_b32_e32 v15, 4, v44
	ds_read_b128 v[0:3], v15
	ds_read_b128 v[16:19], v15 offset:16
	ds_read_b128 v[20:23], v15 offset:32
	ds_read_b128 v[24:27], v15 offset:48
	s_waitcnt lgkmcnt(2)
	v_add_f64 v[0:1], v[16:17], v[0:1]
	v_add_f64 v[8:9], v[18:19], v[2:3]
	s_waitcnt lgkmcnt(1)
	v_add_f64 v[16:17], v[0:1], v[20:21]
	ds_read_b128 v[0:3], v15 offset:64
	v_add_f64 v[8:9], v[8:9], v[22:23]
	s_waitcnt lgkmcnt(1)
	v_add_f64 v[20:21], v[16:17], v[24:25]
	ds_read_b128 v[16:19], v15 offset:80
	;; [unrolled: 4-line block ×3, first 2 shown]
	v_add_f64 v[8:9], v[8:9], v[2:3]
	ds_read_b128 v[0:3], v15 offset:112
	s_waitcnt lgkmcnt(2)
	v_add_f64 v[16:17], v[24:25], v[16:17]
	v_add_f64 v[8:9], v[8:9], v[18:19]
	s_waitcnt lgkmcnt(1)
	v_add_f64 v[16:17], v[16:17], v[20:21]
	v_add_f64 v[8:9], v[8:9], v[22:23]
	;; [unrolled: 3-line block ×3, first 2 shown]
.LBB127_40:
	s_or_b64 exec, exec, s[14:15]
	s_lshl_b32 s14, s26, 5
	s_ashr_i32 s15, s14, 31
	s_lshl_b64 s[36:37], s[14:15], 4
	v_mov_b32_e32 v9, s37
	v_add_co_u32_e32 v8, vcc, s36, v6
	v_addc_co_u32_e32 v9, vcc, v7, v9, vcc
	v_add_co_u32_e32 v6, vcc, 0x200, v8
	v_cndmask_b32_e64 v7, 0, 1, s[34:35]
	s_mov_b64 s[16:17], vcc
	v_cmp_ne_u32_e64 s[14:15], 1, v7
	s_andn2_b64 vcc, exec, s[34:35]
	v_addc_co_u32_e64 v7, s[16:17], 0, v9, s[16:17]
	s_barrier
	s_cbranch_vccnz .LBB127_42
; %bb.41:
	s_lshl_b32 s16, s26, 3
	s_ashr_i32 s17, s16, 31
	s_lshl_b64 s[16:17], s[16:17], 4
	v_mov_b32_e32 v15, s17
	v_add_co_u32_e32 v8, vcc, s16, v8
	s_ashr_i32 s27, s26, 31
	v_addc_co_u32_e32 v9, vcc, v9, v15, vcc
	s_lshl_b64 s[16:17], s[26:27], 7
	v_mov_b32_e32 v15, s17
	v_add_co_u32_e32 v28, vcc, s16, v8
	global_load_dwordx4 v[16:19], v[6:7], off
	v_addc_co_u32_e32 v29, vcc, v9, v15, vcc
	global_load_dwordx4 v[20:23], v[8:9], off offset:512
	global_load_dwordx4 v[24:27], v[28:29], off offset:512
	v_add_co_u32_e32 v8, vcc, s16, v28
	v_addc_co_u32_e32 v9, vcc, v29, v15, vcc
	global_load_dwordx4 v[28:31], v[8:9], off offset:512
	v_mul_u32_u24_e32 v8, 33, v5
	v_add_lshl_u32 v8, v8, v4, 4
	v_add_u32_e32 v9, 0x1080, v8
	v_add_u32_e32 v15, 0x2100, v8
	;; [unrolled: 1-line block ×3, first 2 shown]
	s_waitcnt vmcnt(3)
	ds_write2_b64 v8, v[16:17], v[18:19] offset1:1
	s_waitcnt vmcnt(2)
	ds_write2_b64 v9, v[20:21], v[22:23] offset1:1
	;; [unrolled: 2-line block ×4, first 2 shown]
	s_cbranch_execz .LBB127_43
	s_branch .LBB127_60
.LBB127_42:
.LBB127_43:
	v_lshlrev_b32_e32 v15, 4, v4
	v_sub_co_u32_e32 v9, vcc, v6, v15
	s_ashr_i32 s21, s20, 31
	v_subbrev_co_u32_e32 v16, vcc, 0, v7, vcc
	s_lshl_b64 s[34:35], s[20:21], 4
	v_mov_b32_e32 v17, s35
	v_add_co_u32_e32 v9, vcc, s34, v9
	v_addc_co_u32_e32 v16, vcc, v16, v17, vcc
	v_or_b32_e32 v8, 32, v4
	v_add_co_u32_e32 v17, vcc, 0xfffffdf0, v9
	v_addc_co_u32_e32 v9, vcc, -1, v16, vcc
	v_cmp_gt_i32_e64 s[16:17], s20, v8
	s_sub_i32 s21, s20, 32
	v_mul_u32_u24_e32 v16, 33, v5
	v_cndmask_b32_e64 v9, v9, v7, s[16:17]
	v_cndmask_b32_e64 v8, v17, v6, s[16:17]
	v_cmp_le_i32_e32 vcc, s21, v5
	v_add_lshl_u32 v16, v16, v4, 4
	s_and_saveexec_b64 s[38:39], vcc
	s_xor_b64 s[38:39], exec, s[38:39]
	s_cbranch_execz .LBB127_45
; %bb.44:
	v_mov_b32_e32 v18, 0
	v_mov_b32_e32 v19, v18
	;; [unrolled: 1-line block ×4, first 2 shown]
	ds_write_b128 v16, v[18:21]
.LBB127_45:
	s_andn2_saveexec_b64 s[38:39], s[38:39]
	s_cbranch_execz .LBB127_47
; %bb.46:
	global_load_dwordx4 v[18:21], v[8:9], off
	s_waitcnt vmcnt(0)
	ds_write2_b64 v16, v[18:19], v[20:21] offset1:1
.LBB127_47:
	s_or_b64 exec, exec, s[38:39]
	v_add_u32_e32 v17, 8, v5
	v_cmp_le_i32_e32 vcc, s21, v17
	s_and_saveexec_b64 s[38:39], vcc
	s_xor_b64 s[38:39], exec, s[38:39]
	s_cbranch_execz .LBB127_49
; %bb.48:
	v_mul_u32_u24_e32 v17, 33, v17
	v_mov_b32_e32 v18, 0
	v_add_lshl_u32 v17, v17, v4, 4
	v_mov_b32_e32 v19, v18
	v_mov_b32_e32 v20, v18
	;; [unrolled: 1-line block ×3, first 2 shown]
	ds_write_b128 v17, v[18:21]
.LBB127_49:
	s_andn2_saveexec_b64 s[38:39], s[38:39]
	s_cbranch_execz .LBB127_51
; %bb.50:
	s_lshl_b32 s44, s26, 3
	s_ashr_i32 s45, s44, 31
	s_lshl_b64 s[44:45], s[44:45], 4
	v_mov_b32_e32 v17, s45
	v_add_co_u32_e32 v18, vcc, s44, v8
	v_addc_co_u32_e32 v19, vcc, v9, v17, vcc
	global_load_dwordx4 v[18:21], v[18:19], off
	v_add_u32_e32 v17, 0x1080, v16
	s_waitcnt vmcnt(0)
	ds_write2_b64 v17, v[18:19], v[20:21] offset1:1
.LBB127_51:
	s_or_b64 exec, exec, s[38:39]
	v_add_u32_e32 v17, 16, v5
	v_cmp_le_i32_e32 vcc, s21, v17
	s_and_saveexec_b64 s[38:39], vcc
	s_xor_b64 s[38:39], exec, s[38:39]
	s_cbranch_execz .LBB127_53
; %bb.52:
	v_mul_u32_u24_e32 v17, 33, v17
	v_mov_b32_e32 v18, 0
	v_add_lshl_u32 v17, v17, v4, 4
	v_mov_b32_e32 v19, v18
	v_mov_b32_e32 v20, v18
	;; [unrolled: 1-line block ×3, first 2 shown]
	ds_write_b128 v17, v[18:21]
.LBB127_53:
	s_andn2_saveexec_b64 s[38:39], s[38:39]
	s_cbranch_execz .LBB127_55
; %bb.54:
	s_lshl_b32 s44, s26, 4
	s_ashr_i32 s45, s44, 31
	s_lshl_b64 s[44:45], s[44:45], 4
	v_mov_b32_e32 v17, s45
	v_add_co_u32_e32 v18, vcc, s44, v8
	v_addc_co_u32_e32 v19, vcc, v9, v17, vcc
	global_load_dwordx4 v[18:21], v[18:19], off
	v_add_u32_e32 v17, 0x2100, v16
	s_waitcnt vmcnt(0)
	ds_write2_b64 v17, v[18:19], v[20:21] offset1:1
.LBB127_55:
	s_or_b64 exec, exec, s[38:39]
	v_add_u32_e32 v17, 24, v5
	v_cmp_le_i32_e32 vcc, s21, v17
	s_and_saveexec_b64 s[38:39], vcc
	s_xor_b64 s[38:39], exec, s[38:39]
	s_cbranch_execz .LBB127_57
; %bb.56:
	v_mov_b32_e32 v18, 0
	v_mov_b32_e32 v19, v18
	;; [unrolled: 1-line block ×4, first 2 shown]
	ds_write_b128 v16, v[18:21] offset:12672
                                        ; implicit-def: $vgpr16
.LBB127_57:
	s_andn2_saveexec_b64 s[38:39], s[38:39]
	s_cbranch_execz .LBB127_59
; %bb.58:
	s_mul_i32 s44, s26, 24
	s_ashr_i32 s45, s44, 31
	s_lshl_b64 s[44:45], s[44:45], 4
	v_mov_b32_e32 v17, s45
	v_add_co_u32_e32 v18, vcc, s44, v8
	v_addc_co_u32_e32 v19, vcc, v9, v17, vcc
	global_load_dwordx4 v[18:21], v[18:19], off
	v_add_u32_e32 v16, 0x3180, v16
	s_waitcnt vmcnt(0)
	ds_write2_b64 v16, v[18:19], v[20:21] offset1:1
.LBB127_59:
	s_or_b64 exec, exec, s[38:39]
	v_add_co_u32_e32 v8, vcc, v8, v15
	v_addc_co_u32_e32 v9, vcc, 0, v9, vcc
	v_mov_b32_e32 v15, s35
	v_subrev_co_u32_e32 v8, vcc, s34, v8
	v_subb_co_u32_e32 v9, vcc, v9, v15, vcc
	v_add_co_u32_e32 v8, vcc, 0x210, v8
	v_addc_co_u32_e32 v9, vcc, 0, v9, vcc
	v_cndmask_b32_e64 v7, v9, v7, s[16:17]
	v_cndmask_b32_e64 v6, v8, v6, s[16:17]
.LBB127_60:
	v_add_u32_e32 v8, 0x4700, v14
	v_add_u32_e32 v9, 0x210, v12
	s_waitcnt lgkmcnt(0)
	s_barrier
	s_and_saveexec_b64 s[16:17], s[18:19]
	s_cbranch_execnz .LBB127_69
; %bb.61:
	s_or_b64 exec, exec, s[16:17]
	s_and_saveexec_b64 s[16:17], s[8:9]
	s_cbranch_execnz .LBB127_70
.LBB127_62:
	s_or_b64 exec, exec, s[16:17]
	s_and_saveexec_b64 s[8:9], s[10:11]
	s_cbranch_execnz .LBB127_71
.LBB127_63:
	s_or_b64 exec, exec, s[8:9]
	s_and_saveexec_b64 s[8:9], s[12:13]
	s_cbranch_execz .LBB127_65
.LBB127_64:
	ds_read_b128 v[14:17], v11
	s_waitcnt lgkmcnt(0)
	ds_write_b128 v10, v[14:17] offset:48
.LBB127_65:
	s_or_b64 exec, exec, s[8:9]
	s_waitcnt lgkmcnt(0)
	s_barrier
	ds_read_b128 v[14:17], v8 offset:512
	ds_read_b128 v[18:21], v13
	ds_read_b128 v[22:25], v8 offset:528
	ds_read_b128 v[26:29], v8 offset:544
	v_cmp_eq_u32_e64 s[10:11], 1, v5
	s_waitcnt lgkmcnt(2)
	v_mul_f64 v[30:31], v[16:17], v[20:21]
	v_fma_f64 v[34:35], v[14:15], v[18:19], -v[30:31]
	ds_read_b128 v[30:33], v8 offset:560
	ds_read_b128 v[46:49], v12
	v_mul_f64 v[14:15], v[14:15], v[20:21]
	v_fmac_f64_e32 v[14:15], v[16:17], v[18:19]
	v_add_f64 v[18:19], v[14:15], 0
	v_add_f64 v[16:17], v[34:35], 0
	s_waitcnt lgkmcnt(0)
	v_mul_f64 v[14:15], v[24:25], v[48:49]
	v_fma_f64 v[20:21], v[22:23], v[46:47], -v[14:15]
	v_mul_f64 v[22:23], v[22:23], v[48:49]
	ds_read_b128 v[12:15], v12 offset:528
	v_fmac_f64_e32 v[22:23], v[24:25], v[46:47]
	v_add_f64 v[20:21], v[16:17], v[20:21]
	v_add_f64 v[22:23], v[18:19], v[22:23]
	ds_read_b128 v[16:19], v11
	s_waitcnt lgkmcnt(1)
	v_mul_f64 v[24:25], v[28:29], v[14:15]
	v_fma_f64 v[24:25], v[26:27], v[12:13], -v[24:25]
	v_mul_f64 v[14:15], v[26:27], v[14:15]
	v_fmac_f64_e32 v[14:15], v[28:29], v[12:13]
	v_add_f64 v[12:13], v[20:21], v[24:25]
	s_waitcnt lgkmcnt(0)
	v_mul_f64 v[20:21], v[32:33], v[18:19]
	v_mul_f64 v[18:19], v[30:31], v[18:19]
	v_add_f64 v[14:15], v[22:23], v[14:15]
	v_fma_f64 v[20:21], v[30:31], v[16:17], -v[20:21]
	v_fmac_f64_e32 v[18:19], v[32:33], v[16:17]
	v_add_f64 v[12:13], v[12:13], v[20:21]
	v_add_f64 v[14:15], v[14:15], v[18:19]
	s_barrier
	ds_write_b128 v45, v[12:15]
	s_waitcnt lgkmcnt(0)
	s_barrier
	s_and_saveexec_b64 s[8:9], s[10:11]
	s_cbranch_execz .LBB127_67
; %bb.66:
	v_lshlrev_b32_e32 v9, 4, v44
	ds_read_b128 v[0:3], v9
	ds_read_b128 v[12:15], v9 offset:16
	ds_read_b128 v[16:19], v9 offset:32
	;; [unrolled: 1-line block ×3, first 2 shown]
	s_waitcnt lgkmcnt(2)
	v_add_f64 v[0:1], v[12:13], v[0:1]
	v_add_f64 v[12:13], v[14:15], v[2:3]
	s_waitcnt lgkmcnt(1)
	v_add_f64 v[14:15], v[0:1], v[16:17]
	ds_read_b128 v[0:3], v9 offset:64
	v_add_f64 v[12:13], v[12:13], v[18:19]
	s_waitcnt lgkmcnt(1)
	v_add_f64 v[16:17], v[14:15], v[20:21]
	v_add_f64 v[20:21], v[12:13], v[22:23]
	ds_read_b128 v[12:15], v9 offset:80
	s_waitcnt lgkmcnt(1)
	v_add_f64 v[22:23], v[16:17], v[0:1]
	ds_read_b128 v[16:19], v9 offset:96
	v_add_f64 v[20:21], v[20:21], v[2:3]
	ds_read_b128 v[0:3], v9 offset:112
	s_waitcnt lgkmcnt(2)
	v_add_f64 v[12:13], v[22:23], v[12:13]
	v_add_f64 v[14:15], v[20:21], v[14:15]
	s_waitcnt lgkmcnt(1)
	v_add_f64 v[12:13], v[12:13], v[16:17]
	v_add_f64 v[14:15], v[14:15], v[18:19]
	s_waitcnt lgkmcnt(0)
	v_add_f64 v[0:1], v[12:13], v[0:1]
	v_add_f64 v[2:3], v[14:15], v[2:3]
.LBB127_67:
	s_or_b64 exec, exec, s[8:9]
	v_mov_b32_e32 v9, s37
	v_subrev_co_u32_e64 v40, s[8:9], s36, v6
	s_and_b64 vcc, exec, s[14:15]
	v_subb_co_u32_e64 v41, s[8:9], v7, v9, s[8:9]
	s_barrier
	s_cbranch_vccnz .LBB127_72
; %bb.68:
	s_lshl_b32 s8, s26, 3
	s_ashr_i32 s9, s8, 31
	s_lshl_b64 s[8:9], s[8:9], 4
	v_mov_b32_e32 v7, s9
	v_add_co_u32_e32 v6, vcc, s8, v40
	s_ashr_i32 s27, s26, 31
	v_addc_co_u32_e32 v7, vcc, v41, v7, vcc
	s_lshl_b64 s[8:9], s[26:27], 7
	global_load_dwordx4 v[16:19], v[40:41], off
	global_load_dwordx4 v[20:23], v[6:7], off
	v_mov_b32_e32 v9, s9
	v_add_co_u32_e32 v6, vcc, s8, v6
	v_addc_co_u32_e32 v7, vcc, v7, v9, vcc
	v_add_co_u32_e32 v12, vcc, s8, v6
	v_addc_co_u32_e32 v13, vcc, v7, v9, vcc
	global_load_dwordx4 v[24:27], v[6:7], off
	global_load_dwordx4 v[28:31], v[12:13], off
	v_mad_u32_u24 v9, v5, 33, v4
	v_add_u32_e32 v11, 8, v5
	v_add_u32_e32 v12, 16, v5
	;; [unrolled: 1-line block ×3, first 2 shown]
	v_lshlrev_b32_e32 v15, 4, v9
	v_add_u32_e32 v7, 0x108, v9
	v_add_u32_e32 v6, 0x210, v9
	;; [unrolled: 1-line block ×6, first 2 shown]
	s_waitcnt vmcnt(3)
	ds_write2_b64 v15, v[16:17], v[18:19] offset1:1
	s_waitcnt vmcnt(2)
	ds_write2_b64 v32, v[20:21], v[22:23] offset1:1
	;; [unrolled: 2-line block ×4, first 2 shown]
	s_cbranch_execz .LBB127_73
	s_branch .LBB127_90
.LBB127_69:
	ds_read_b128 v[14:17], v13
	s_waitcnt lgkmcnt(0)
	ds_write_b128 v10, v[14:17]
	s_or_b64 exec, exec, s[16:17]
	s_and_saveexec_b64 s[16:17], s[8:9]
	s_cbranch_execz .LBB127_62
.LBB127_70:
	ds_read_b128 v[14:17], v12
	s_waitcnt lgkmcnt(0)
	ds_write_b128 v10, v[14:17] offset:16
	s_or_b64 exec, exec, s[16:17]
	s_and_saveexec_b64 s[8:9], s[10:11]
	s_cbranch_execz .LBB127_63
.LBB127_71:
	ds_read_b128 v[14:17], v9
	s_waitcnt lgkmcnt(0)
	ds_write_b128 v10, v[14:17] offset:32
	s_or_b64 exec, exec, s[8:9]
	s_and_saveexec_b64 s[8:9], s[12:13]
	s_cbranch_execnz .LBB127_64
	s_branch .LBB127_65
.LBB127_72:
                                        ; implicit-def: $vgpr9
                                        ; implicit-def: $vgpr11
                                        ; implicit-def: $vgpr7
                                        ; implicit-def: $vgpr12
                                        ; implicit-def: $vgpr6
                                        ; implicit-def: $vgpr13
                                        ; implicit-def: $vgpr14
.LBB127_73:
	v_lshlrev_b32_e32 v15, 4, v4
	v_sub_co_u32_e32 v7, vcc, v40, v15
	s_ashr_i32 s21, s20, 31
	v_subbrev_co_u32_e32 v9, vcc, 0, v41, vcc
	s_lshl_b64 s[12:13], s[20:21], 4
	v_mov_b32_e32 v11, s13
	v_add_co_u32_e32 v7, vcc, s12, v7
	v_addc_co_u32_e32 v9, vcc, v9, v11, vcc
	v_or_b32_e32 v6, 32, v4
	v_add_co_u32_e32 v11, vcc, 0xfffffdf0, v7
	v_addc_co_u32_e32 v7, vcc, -1, v9, vcc
	v_cmp_gt_i32_e64 s[8:9], s20, v6
	v_mad_u32_u24 v9, v5, 33, v4
	v_cndmask_b32_e64 v7, v7, v41, s[8:9]
	v_cndmask_b32_e64 v6, v11, v40, s[8:9]
	v_cmp_le_i32_e32 vcc, s20, v5
	v_lshlrev_b32_e32 v16, 4, v9
	s_and_saveexec_b64 s[14:15], vcc
	s_xor_b64 s[14:15], exec, s[14:15]
	s_cbranch_execz .LBB127_75
; %bb.74:
	v_mov_b32_e32 v18, 0
	v_mov_b32_e32 v19, v18
	;; [unrolled: 1-line block ×4, first 2 shown]
	ds_write_b128 v16, v[18:21]
.LBB127_75:
	s_andn2_saveexec_b64 s[14:15], s[14:15]
	s_cbranch_execz .LBB127_77
; %bb.76:
	global_load_dwordx4 v[18:21], v[6:7], off
	s_waitcnt vmcnt(0)
	ds_write2_b64 v16, v[18:19], v[20:21] offset1:1
.LBB127_77:
	s_or_b64 exec, exec, s[14:15]
	v_add_u32_e32 v11, 8, v5
	v_cmp_le_i32_e32 vcc, s20, v11
	s_and_saveexec_b64 s[14:15], vcc
	s_xor_b64 s[14:15], exec, s[14:15]
	s_cbranch_execz .LBB127_79
; %bb.78:
	v_mul_u32_u24_e32 v12, 33, v11
	v_mov_b32_e32 v18, 0
	v_add_lshl_u32 v12, v12, v4, 4
	v_mov_b32_e32 v19, v18
	v_mov_b32_e32 v20, v18
	;; [unrolled: 1-line block ×3, first 2 shown]
	ds_write_b128 v12, v[18:21]
.LBB127_79:
	s_andn2_saveexec_b64 s[14:15], s[14:15]
	s_cbranch_execz .LBB127_81
; %bb.80:
	s_lshl_b32 s16, s26, 3
	s_ashr_i32 s17, s16, 31
	s_lshl_b64 s[16:17], s[16:17], 4
	v_mov_b32_e32 v13, s17
	v_add_co_u32_e32 v12, vcc, s16, v6
	v_addc_co_u32_e32 v13, vcc, v7, v13, vcc
	global_load_dwordx4 v[18:21], v[12:13], off
	v_add_u32_e32 v12, 0x1080, v16
	s_waitcnt vmcnt(0)
	ds_write2_b64 v12, v[18:19], v[20:21] offset1:1
.LBB127_81:
	s_or_b64 exec, exec, s[14:15]
	v_add_u32_e32 v12, 16, v5
	v_cmp_le_i32_e32 vcc, s20, v12
	s_and_saveexec_b64 s[14:15], vcc
	s_xor_b64 s[14:15], exec, s[14:15]
	s_cbranch_execz .LBB127_83
; %bb.82:
	v_mul_u32_u24_e32 v13, 33, v12
	v_mov_b32_e32 v18, 0
	v_add_lshl_u32 v13, v13, v4, 4
	v_mov_b32_e32 v19, v18
	v_mov_b32_e32 v20, v18
	;; [unrolled: 1-line block ×3, first 2 shown]
	ds_write_b128 v13, v[18:21]
.LBB127_83:
	s_andn2_saveexec_b64 s[14:15], s[14:15]
	s_cbranch_execz .LBB127_85
; %bb.84:
	s_lshl_b32 s16, s26, 4
	s_ashr_i32 s17, s16, 31
	s_lshl_b64 s[16:17], s[16:17], 4
	v_mov_b32_e32 v13, s17
	v_add_co_u32_e32 v18, vcc, s16, v6
	v_addc_co_u32_e32 v19, vcc, v7, v13, vcc
	global_load_dwordx4 v[18:21], v[18:19], off
	v_add_u32_e32 v13, 0x2100, v16
	s_waitcnt vmcnt(0)
	ds_write2_b64 v13, v[18:19], v[20:21] offset1:1
.LBB127_85:
	s_or_b64 exec, exec, s[14:15]
	v_add_u32_e32 v13, 24, v5
	v_cmp_le_i32_e32 vcc, s20, v13
                                        ; implicit-def: $vgpr14
	s_and_saveexec_b64 s[14:15], vcc
	s_xor_b64 s[14:15], exec, s[14:15]
	s_cbranch_execz .LBB127_87
; %bb.86:
	v_mad_u32_u24 v14, v13, 33, v4
	v_mov_b32_e32 v16, 0
	v_lshlrev_b32_e32 v4, 4, v14
	v_mov_b32_e32 v17, v16
	v_mov_b32_e32 v18, v16
	;; [unrolled: 1-line block ×3, first 2 shown]
	ds_write_b128 v4, v[16:19]
                                        ; implicit-def: $vgpr16
.LBB127_87:
	s_andn2_saveexec_b64 s[14:15], s[14:15]
	s_cbranch_execz .LBB127_89
; %bb.88:
	s_mul_i32 s16, s26, 24
	s_ashr_i32 s17, s16, 31
	s_lshl_b64 s[16:17], s[16:17], 4
	v_mov_b32_e32 v4, s17
	v_add_co_u32_e32 v18, vcc, s16, v6
	v_addc_co_u32_e32 v19, vcc, v7, v4, vcc
	global_load_dwordx4 v[18:21], v[18:19], off
	v_add_u32_e32 v14, 0x318, v9
	v_add_u32_e32 v4, 0x3180, v16
	s_waitcnt vmcnt(0)
	ds_write2_b64 v4, v[18:19], v[20:21] offset1:1
.LBB127_89:
	s_or_b64 exec, exec, s[14:15]
	v_add_co_u32_e32 v4, vcc, v6, v15
	v_addc_co_u32_e32 v6, vcc, 0, v7, vcc
	v_mov_b32_e32 v7, s13
	v_subrev_co_u32_e32 v4, vcc, s12, v4
	v_subb_co_u32_e32 v6, vcc, v6, v7, vcc
	v_add_co_u32_e32 v4, vcc, 0x210, v4
	v_addc_co_u32_e32 v6, vcc, 0, v6, vcc
	v_cndmask_b32_e64 v41, v6, v41, s[8:9]
	v_cndmask_b32_e64 v40, v4, v40, s[8:9]
	v_add_u32_e32 v7, 0x108, v9
	v_add_u32_e32 v6, 0x210, v9
.LBB127_90:
	v_lshlrev_b32_e32 v5, 4, v5
	s_waitcnt lgkmcnt(0)
	s_barrier
	v_lshlrev_b32_e32 v4, 4, v9
	ds_read_b128 v[46:49], v5 offset:18176
	ds_read_b128 v[50:53], v4
	v_lshlrev_b32_e32 v5, 4, v11
	v_lshlrev_b32_e32 v4, 4, v7
	ds_read_b128 v[54:57], v5 offset:18176
	ds_read_b128 v[58:61], v4
	v_lshlrev_b32_e32 v7, 4, v12
	;; [unrolled: 4-line block ×3, first 2 shown]
	v_lshlrev_b32_e32 v6, 4, v14
	ds_read_b128 v[70:73], v7 offset:18176
	ds_read_b128 v[74:77], v6
	s_waitcnt lgkmcnt(6)
	v_mul_f64 v[4:5], v[48:49], v[52:53]
	v_fma_f64 v[4:5], v[46:47], v[50:51], -v[4:5]
	s_waitcnt lgkmcnt(4)
	v_mul_f64 v[16:17], v[56:57], v[60:61]
	v_add_f64 v[4:5], v[4:5], 0
	v_fma_f64 v[16:17], v[54:55], v[58:59], -v[16:17]
	s_waitcnt lgkmcnt(2)
	v_mul_f64 v[6:7], v[64:65], v[68:69]
	v_add_f64 v[4:5], v[4:5], v[16:17]
	v_fma_f64 v[6:7], v[62:63], v[66:67], -v[6:7]
	v_add_f64 v[4:5], v[4:5], v[6:7]
	s_waitcnt lgkmcnt(0)
	v_mul_f64 v[6:7], v[72:73], v[76:77]
	v_fma_f64 v[6:7], v[70:71], v[74:75], -v[6:7]
	v_add_f64 v[78:79], v[4:5], v[6:7]
	ds_read_b128 v[28:31], v10
	ds_read_b128 v[20:23], v10 offset:16
	ds_read_b128 v[12:15], v10 offset:32
	;; [unrolled: 1-line block ×7, first 2 shown]
	v_mul_f64 v[46:47], v[46:47], v[52:53]
	v_fmac_f64_e32 v[46:47], v[48:49], v[50:51]
	v_mul_f64 v[48:49], v[54:55], v[60:61]
	v_add_f64 v[46:47], v[46:47], 0
	v_fmac_f64_e32 v[48:49], v[56:57], v[58:59]
	v_add_f64 v[46:47], v[46:47], v[48:49]
	v_mul_f64 v[48:49], v[62:63], v[68:69]
	v_fmac_f64_e32 v[48:49], v[64:65], v[66:67]
	v_add_f64 v[46:47], v[46:47], v[48:49]
	v_mul_f64 v[48:49], v[70:71], v[76:77]
	v_fmac_f64_e32 v[48:49], v[72:73], v[74:75]
	v_add_f64 v[80:81], v[46:47], v[48:49]
	s_waitcnt lgkmcnt(0)
	s_barrier
	ds_write_b128 v45, v[78:81]
	s_waitcnt lgkmcnt(0)
	s_barrier
	s_and_saveexec_b64 s[8:9], s[10:11]
	s_cbranch_execz .LBB127_92
; %bb.91:
	v_lshlrev_b32_e32 v62, 4, v44
	ds_read_b128 v[46:49], v62
	ds_read_b128 v[50:53], v62 offset:16
	ds_read_b128 v[54:57], v62 offset:32
	;; [unrolled: 1-line block ×3, first 2 shown]
	s_waitcnt lgkmcnt(3)
	v_add_f64 v[0:1], v[0:1], v[46:47]
	v_add_f64 v[2:3], v[2:3], v[48:49]
	s_waitcnt lgkmcnt(2)
	v_add_f64 v[0:1], v[0:1], v[50:51]
	v_add_f64 v[46:47], v[2:3], v[52:53]
	s_waitcnt lgkmcnt(1)
	v_add_f64 v[48:49], v[0:1], v[54:55]
	ds_read_b128 v[0:3], v62 offset:64
	v_add_f64 v[46:47], v[46:47], v[56:57]
	s_waitcnt lgkmcnt(1)
	v_add_f64 v[50:51], v[48:49], v[58:59]
	v_add_f64 v[54:55], v[46:47], v[60:61]
	ds_read_b128 v[46:49], v62 offset:80
	s_waitcnt lgkmcnt(1)
	v_add_f64 v[56:57], v[50:51], v[0:1]
	ds_read_b128 v[50:53], v62 offset:96
	v_add_f64 v[54:55], v[54:55], v[2:3]
	ds_read_b128 v[0:3], v62 offset:112
	s_waitcnt lgkmcnt(2)
	v_add_f64 v[46:47], v[56:57], v[46:47]
	v_add_f64 v[48:49], v[54:55], v[48:49]
	s_waitcnt lgkmcnt(1)
	v_add_f64 v[46:47], v[46:47], v[50:51]
	v_add_f64 v[48:49], v[48:49], v[52:53]
	;; [unrolled: 3-line block ×3, first 2 shown]
.LBB127_92:
	s_or_b64 exec, exec, s[8:9]
	v_mul_f64 v[46:47], v[30:31], v[34:35]
	v_fma_f64 v[46:47], v[28:29], v[32:33], -v[46:47]
	v_mul_f64 v[28:29], v[28:29], v[34:35]
	v_fmac_f64_e32 v[28:29], v[30:31], v[32:33]
	v_mul_f64 v[32:33], v[22:23], v[26:27]
	v_fma_f64 v[32:33], v[20:21], v[24:25], -v[32:33]
	v_mul_f64 v[20:21], v[20:21], v[26:27]
	v_fmac_f64_e32 v[20:21], v[22:23], v[24:25]
	v_mul_f64 v[24:25], v[14:15], v[18:19]
	v_add_f64 v[30:31], v[46:47], 0
	v_add_f64 v[28:29], v[28:29], 0
	v_fma_f64 v[24:25], v[12:13], v[16:17], -v[24:25]
	v_mul_f64 v[12:13], v[12:13], v[18:19]
	v_add_f64 v[22:23], v[30:31], v[32:33]
	v_add_f64 v[20:21], v[28:29], v[20:21]
	v_fmac_f64_e32 v[12:13], v[14:15], v[16:17]
	v_mul_f64 v[16:17], v[6:7], v[10:11]
	v_mul_f64 v[10:11], v[4:5], v[10:11]
	v_add_f64 v[14:15], v[22:23], v[24:25]
	v_add_f64 v[12:13], v[20:21], v[12:13]
	v_fma_f64 v[16:17], v[4:5], v[8:9], -v[16:17]
	v_fmac_f64_e32 v[10:11], v[6:7], v[8:9]
	v_add_f64 v[4:5], v[14:15], v[16:17]
	v_add_f64 v[6:7], v[12:13], v[10:11]
	s_barrier
	ds_write_b128 v45, v[4:7]
	s_waitcnt lgkmcnt(0)
	s_barrier
	s_and_saveexec_b64 s[8:9], s[4:5]
	s_cbranch_execz .LBB127_94
; %bb.93:
	v_lshlrev_b32_e32 v20, 4, v44
	ds_read_b128 v[4:7], v20
	ds_read_b128 v[8:11], v20 offset:16
	ds_read_b128 v[12:15], v20 offset:32
	;; [unrolled: 1-line block ×3, first 2 shown]
	s_waitcnt lgkmcnt(3)
	v_add_f64 v[0:1], v[0:1], v[4:5]
	v_add_f64 v[2:3], v[2:3], v[6:7]
	s_waitcnt lgkmcnt(2)
	v_add_f64 v[0:1], v[0:1], v[8:9]
	v_add_f64 v[4:5], v[2:3], v[10:11]
	s_waitcnt lgkmcnt(1)
	v_add_f64 v[6:7], v[0:1], v[12:13]
	ds_read_b128 v[0:3], v20 offset:64
	v_add_f64 v[4:5], v[4:5], v[14:15]
	s_waitcnt lgkmcnt(1)
	v_add_f64 v[8:9], v[6:7], v[16:17]
	v_add_f64 v[12:13], v[4:5], v[18:19]
	ds_read_b128 v[4:7], v20 offset:80
	s_waitcnt lgkmcnt(1)
	v_add_f64 v[14:15], v[8:9], v[0:1]
	ds_read_b128 v[8:11], v20 offset:96
	v_add_f64 v[12:13], v[12:13], v[2:3]
	ds_read_b128 v[0:3], v20 offset:112
	s_waitcnt lgkmcnt(2)
	v_add_f64 v[4:5], v[14:15], v[4:5]
	v_add_f64 v[6:7], v[12:13], v[6:7]
	s_waitcnt lgkmcnt(1)
	v_add_f64 v[4:5], v[4:5], v[8:9]
	v_add_f64 v[6:7], v[6:7], v[10:11]
	;; [unrolled: 3-line block ×3, first 2 shown]
.LBB127_94:
	s_or_b64 exec, exec, s[8:9]
	s_mul_hi_u32 s4, s40, s7
	s_mul_i32 s42, s42, s7
	s_add_i32 s4, s4, s42
	s_mul_i32 s7, s40, s7
	s_mul_i32 s4, s4, s41
	s_mul_hi_u32 s5, s7, s41
	s_add_i32 s5, s5, s4
	s_mul_i32 s4, s7, s41
	s_lshl_b64 s[4:5], s[4:5], 4
	s_add_u32 s7, s22, s4
	s_mul_i32 s4, s6, s40
	s_addc_u32 s8, s23, s5
	s_ashr_i32 s5, s4, 31
	s_lshl_b64 s[4:5], s[4:5], 4
	s_add_u32 s7, s7, s4
	v_cmp_le_i32_e32 vcc, s20, v42
	s_addc_u32 s16, s8, s5
	s_and_b64 vcc, s[30:31], vcc
	s_cmp_lt_i32 s6, 1
	v_lshlrev_b32_e32 v154, 4, v42
	s_barrier
	s_cbranch_scc1 .LBB127_101
; %bb.95:
	s_mul_i32 s4, s24, s33
	s_ashr_i32 s5, s4, 31
	s_lshl_b64 s[4:5], s[4:5], 4
	v_mov_b32_e32 v4, s5
	v_subrev_co_u32_e64 v155, s[4:5], s4, v36
	v_subb_co_u32_e64 v156, s[4:5], v37, v4, s[4:5]
	v_mov_b32_e32 v4, s29
	v_subrev_co_u32_e64 v5, s[4:5], s28, v40
	v_subb_co_u32_e64 v4, s[4:5], v41, v4, s[4:5]
	v_sub_co_u32_e64 v7, s[4:5], v5, v38
	v_subb_co_u32_e64 v8, s[4:5], v4, v39, s[4:5]
	v_mul_lo_u32 v4, v149, s26
	v_lshl_add_u32 v4, v4, 2, v42
	v_ashrrev_i32_e32 v5, 31, v4
	v_lshlrev_b64 v[4:5], 4, v[4:5]
	v_add_co_u32_e64 v4, s[4:5], v7, v4
	v_addc_co_u32_e64 v5, s[4:5], v8, v5, s[4:5]
	s_movk_i32 s4, 0xfe00
	v_add_co_u32_e64 v7, s[4:5], s4, v4
	v_addc_co_u32_e64 v8, s[4:5], -1, v5, s[4:5]
	v_sub_co_u32_e64 v4, s[4:5], v4, v154
	v_subbrev_co_u32_e64 v5, s[4:5], 0, v5, s[4:5]
	s_ashr_i32 s21, s20, 31
	s_lshl_b64 s[4:5], s[20:21], 4
	v_mov_b32_e32 v9, s5
	v_add_co_u32_e64 v4, s[4:5], s4, v4
	v_addc_co_u32_e64 v5, s[4:5], v5, v9, s[4:5]
	s_movk_i32 s4, 0xfdf0
	v_add_co_u32_e64 v4, s[4:5], s4, v4
	v_addc_co_u32_e64 v5, s[4:5], -1, v5, s[4:5]
	v_cndmask_b32_e32 v9, v8, v5, vcc
	v_cndmask_b32_e32 v8, v7, v4, vcc
	v_and_b32_e32 v4, 48, v42
	v_and_b32_e32 v6, 15, v42
	v_lshlrev_b32_e32 v5, 4, v4
	s_movk_i32 s8, 0x430
	v_mad_u32_u24 v159, v6, s8, v5
	v_or_b32_e32 v5, 0xf0, v154
	v_mad_u32_u24 v160, v6, s8, v5
	v_lshlrev_b32_e32 v5, 2, v43
	v_and_b32_e32 v5, 0x7ffc0, v5
	v_mad_u32_u24 v161, v6, s8, v5
	s_ashr_i32 s27, s26, 31
	v_mov_b32_e32 v5, 0x4300
	v_lshl_add_u32 v162, v149, 6, v5
	s_movk_i32 s9, 0x10c0
	v_and_b32_e32 v5, 0x1fff0, v43
	s_lshl_b64 s[10:11], s[26:27], 4
	s_mul_hi_i32 s18, s26, 0xd0
	v_mov_b32_e32 v151, 0
	s_lshl_b32 s17, s33, 6
	v_add_u32_e32 v157, 0x4300, v154
	v_add_u32_e32 v158, 0x4700, v154
	v_cmp_gt_u32_e64 s[4:5], 64, v43
	v_mad_u32_u24 v163, v149, s9, v154
	v_mad_u32_u24 v164, v6, s8, v5
	s_mul_i32 s19, s26, 0xd0
	v_or_b32_e32 v150, v4, v6
	s_mov_b32 s12, 0
	v_mov_b32_e32 v165, s11
	v_mov_b32_e32 v166, s18
	s_branch .LBB127_97
.LBB127_96:                             ;   in Loop: Header=BB127_97 Depth=1
	s_or_b64 exec, exec, s[14:15]
	v_mul_f64 v[132:133], v[6:7], v[22:23]
	v_fma_f64 v[132:133], v[4:5], v[20:21], -v[132:133]
	v_mul_f64 v[4:5], v[4:5], v[22:23]
	v_mul_f64 v[22:23], v[10:11], v[42:43]
	v_add_f64 v[0:1], v[0:1], v[132:133]
	v_fma_f64 v[22:23], v[8:9], v[40:41], -v[22:23]
	v_add_f64 v[0:1], v[0:1], v[22:23]
	v_mul_f64 v[22:23], v[14:15], v[46:47]
	v_fma_f64 v[22:23], v[12:13], v[44:45], -v[22:23]
	v_add_f64 v[0:1], v[0:1], v[22:23]
	v_mul_f64 v[22:23], v[18:19], v[50:51]
	v_fmac_f64_e32 v[4:5], v[6:7], v[20:21]
	v_fma_f64 v[22:23], v[16:17], v[48:49], -v[22:23]
	v_add_f64 v[2:3], v[2:3], v[4:5]
	v_mul_f64 v[4:5], v[26:27], v[70:71]
	v_add_f64 v[0:1], v[0:1], v[22:23]
	v_fma_f64 v[4:5], v[24:25], v[68:69], -v[4:5]
	v_add_f64 v[0:1], v[0:1], v[4:5]
	v_mul_f64 v[4:5], v[34:35], v[82:83]
	v_fma_f64 v[4:5], v[32:33], v[80:81], -v[4:5]
	v_add_f64 v[0:1], v[0:1], v[4:5]
	v_mul_f64 v[4:5], v[30:31], v[78:79]
	;; [unrolled: 3-line block ×4, first 2 shown]
	v_mul_f64 v[8:9], v[8:9], v[42:43]
	v_fma_f64 v[4:5], v[52:53], v[100:101], -v[4:5]
	v_mul_f64 v[12:13], v[12:13], v[46:47]
	v_fmac_f64_e32 v[8:9], v[10:11], v[40:41]
	v_add_f64 v[0:1], v[0:1], v[4:5]
	v_mul_f64 v[4:5], v[62:63], v[118:119]
	v_mul_f64 v[16:17], v[16:17], v[50:51]
	v_add_f64 v[2:3], v[2:3], v[8:9]
	v_fmac_f64_e32 v[12:13], v[14:15], v[44:45]
	v_fma_f64 v[4:5], v[60:61], v[116:117], -v[4:5]
	v_add_f64 v[2:3], v[2:3], v[12:13]
	v_fmac_f64_e32 v[16:17], v[18:19], v[48:49]
	v_mul_f64 v[6:7], v[24:25], v[70:71]
	v_add_f64 v[0:1], v[0:1], v[4:5]
	v_mul_f64 v[4:5], v[58:59], v[114:115]
	v_add_f64 v[2:3], v[2:3], v[16:17]
	v_mul_f64 v[8:9], v[32:33], v[82:83]
	v_fmac_f64_e32 v[6:7], v[26:27], v[68:69]
	v_fma_f64 v[4:5], v[56:57], v[112:113], -v[4:5]
	v_mul_f64 v[10:11], v[28:29], v[78:79]
	v_add_f64 v[2:3], v[2:3], v[6:7]
	v_fmac_f64_e32 v[8:9], v[34:35], v[80:81]
	v_add_f64 v[0:1], v[0:1], v[4:5]
	v_mul_f64 v[4:5], v[66:67], v[110:111]
	v_mul_f64 v[12:13], v[36:37], v[74:75]
	v_add_f64 v[2:3], v[2:3], v[8:9]
	v_fmac_f64_e32 v[10:11], v[30:31], v[76:77]
	v_fma_f64 v[4:5], v[64:65], v[108:109], -v[4:5]
	v_add_f64 v[2:3], v[2:3], v[10:11]
	v_fmac_f64_e32 v[12:13], v[38:39], v[72:73]
	v_mul_f64 v[6:7], v[52:53], v[102:103]
	v_add_f64 v[0:1], v[0:1], v[4:5]
	v_mul_f64 v[4:5], v[90:91], v[106:107]
	v_add_f64 v[2:3], v[2:3], v[12:13]
	v_mul_f64 v[8:9], v[60:61], v[118:119]
	v_fmac_f64_e32 v[6:7], v[54:55], v[100:101]
	v_fma_f64 v[4:5], v[88:89], v[104:105], -v[4:5]
	v_mul_f64 v[10:11], v[56:57], v[114:115]
	v_add_f64 v[2:3], v[2:3], v[6:7]
	v_fmac_f64_e32 v[8:9], v[62:63], v[116:117]
	v_add_f64 v[0:1], v[0:1], v[4:5]
	v_mul_f64 v[4:5], v[94:95], v[122:123]
	v_mul_f64 v[12:13], v[64:65], v[110:111]
	v_add_f64 v[2:3], v[2:3], v[8:9]
	v_fmac_f64_e32 v[10:11], v[58:59], v[112:113]
	v_fma_f64 v[4:5], v[92:93], v[120:121], -v[4:5]
	v_add_f64 v[2:3], v[2:3], v[10:11]
	v_fmac_f64_e32 v[12:13], v[66:67], v[108:109]
	v_mul_f64 v[6:7], v[88:89], v[106:107]
	v_add_f64 v[0:1], v[0:1], v[4:5]
	v_mul_f64 v[4:5], v[86:87], v[126:127]
	v_add_f64 v[2:3], v[2:3], v[12:13]
	v_mul_f64 v[8:9], v[92:93], v[122:123]
	v_fma_f64 v[4:5], v[84:85], v[124:125], -v[4:5]
	v_fmac_f64_e32 v[6:7], v[90:91], v[104:105]
	v_mul_f64 v[10:11], v[84:85], v[126:127]
	v_add_f64 v[0:1], v[0:1], v[4:5]
	v_mul_f64 v[4:5], v[98:99], v[130:131]
	v_fmac_f64_e32 v[8:9], v[94:95], v[120:121]
	v_add_f64 v[2:3], v[2:3], v[6:7]
	v_fma_f64 v[4:5], v[96:97], v[128:129], -v[4:5]
	v_mul_f64 v[12:13], v[96:97], v[130:131]
	v_fmac_f64_e32 v[10:11], v[86:87], v[124:125]
	v_add_f64 v[2:3], v[2:3], v[8:9]
	v_add_f64 v[0:1], v[0:1], v[4:5]
	v_fmac_f64_e32 v[12:13], v[98:99], v[128:129]
	v_add_f64 v[2:3], v[2:3], v[10:11]
	s_add_i32 s6, s6, -1
	s_add_i32 s12, s12, s17
	v_mov_b32_e32 v4, s18
	v_add_co_u32_e64 v8, s[8:9], s19, v152
	v_add_f64 v[2:3], v[2:3], v[12:13]
	v_add_u32_e32 v150, 64, v150
	s_cmp_eq_u32 s6, 0
	v_addc_co_u32_e64 v9, s[8:9], v153, v4, s[8:9]
	s_barrier
	s_cbranch_scc1 .LBB127_101
.LBB127_97:                             ; =>This Inner Loop Header: Depth=1
	s_and_saveexec_b64 s[14:15], s[2:3]
	s_cbranch_execz .LBB127_99
; %bb.98:                               ;   in Loop: Header=BB127_97 Depth=1
	s_ashr_i32 s13, s12, 31
	s_lshl_b64 s[8:9], s[12:13], 4
	v_mov_b32_e32 v5, s9
	v_add_co_u32_e64 v4, s[8:9], s8, v155
	v_addc_co_u32_e64 v5, s[8:9], v156, v5, s[8:9]
	global_load_dwordx4 v[4:7], v[4:5], off
	s_waitcnt vmcnt(0)
	ds_write2_b64 v157, v[4:5], v[6:7] offset1:1
.LBB127_99:                             ;   in Loop: Header=BB127_97 Depth=1
	s_or_b64 exec, exec, s[14:15]
	v_add_co_u32_e64 v12, s[8:9], s10, v8
	v_addc_co_u32_e64 v13, s[8:9], v9, v165, s[8:9]
	v_add_co_u32_e64 v16, s[8:9], s10, v12
	s_waitcnt lgkmcnt(0)
	s_barrier
	global_load_dwordx4 v[4:7], v[8:9], off
	v_addc_co_u32_e64 v17, s[8:9], v13, v165, s[8:9]
	global_load_dwordx4 v[8:11], v[12:13], off
	v_add_co_u32_e64 v28, s[8:9], s10, v16
	global_load_dwordx4 v[12:15], v[16:17], off
	v_addc_co_u32_e64 v29, s[8:9], v17, v165, s[8:9]
	global_load_dwordx4 v[16:19], v[28:29], off
	ds_read_b128 v[24:27], v158
	ds_read_b128 v[20:23], v162
	v_add_co_u32_e64 v36, s[8:9], s19, v28
	v_addc_co_u32_e64 v37, s[8:9], v29, v166, s[8:9]
	v_add_co_u32_e64 v38, s[8:9], s10, v36
	v_addc_co_u32_e64 v39, s[8:9], v37, v165, s[8:9]
	;; [unrolled: 2-line block ×3, first 2 shown]
	s_waitcnt vmcnt(3) lgkmcnt(1)
	v_mul_f64 v[28:29], v[6:7], v[26:27]
	v_mul_f64 v[30:31], v[4:5], v[26:27]
	v_fma_f64 v[28:29], v[4:5], v[24:25], -v[28:29]
	v_fmac_f64_e32 v[30:31], v[6:7], v[24:25]
	s_waitcnt vmcnt(2)
	v_mul_f64 v[34:35], v[10:11], v[26:27]
	v_mul_f64 v[32:33], v[8:9], v[26:27]
	ds_write_b128 v163, v[28:31]
	v_fma_f64 v[30:31], v[8:9], v[24:25], -v[34:35]
	v_fmac_f64_e32 v[32:33], v[10:11], v[24:25]
	s_waitcnt vmcnt(1)
	v_mul_f64 v[28:29], v[14:15], v[26:27]
	v_mul_f64 v[34:35], v[12:13], v[26:27]
	ds_read_b128 v[40:43], v162 offset:16
	ds_write_b128 v163, v[30:33] offset:1072
	v_fma_f64 v[32:33], v[12:13], v[24:25], -v[28:29]
	v_fmac_f64_e32 v[34:35], v[14:15], v[24:25]
	s_waitcnt vmcnt(0)
	v_mul_f64 v[30:31], v[18:19], v[26:27]
	v_mul_f64 v[28:29], v[16:17], v[26:27]
	ds_read_b128 v[44:47], v162 offset:32
	ds_write_b128 v163, v[32:35] offset:2144
	v_fma_f64 v[26:27], v[16:17], v[24:25], -v[30:31]
	v_fmac_f64_e32 v[28:29], v[18:19], v[24:25]
	ds_read_b128 v[48:51], v162 offset:48
	ds_write_b128 v163, v[26:29] offset:3216
	s_waitcnt lgkmcnt(0)
	s_barrier
	ds_read_b128 v[128:131], v161
	ds_read_b128 v[124:127], v161 offset:16
	ds_read_b128 v[120:123], v161 offset:32
	;; [unrolled: 1-line block ×3, first 2 shown]
	s_waitcnt lgkmcnt(0)
	s_barrier
	global_load_dwordx4 v[24:27], v[36:37], off
	global_load_dwordx4 v[32:35], v[38:39], off
	;; [unrolled: 1-line block ×3, first 2 shown]
	v_add_co_u32_e64 v52, s[8:9], s10, v52
	v_addc_co_u32_e64 v53, s[8:9], v53, v165, s[8:9]
	global_load_dwordx4 v[36:39], v[52:53], off
	v_add_co_u32_e64 v66, s[8:9], s19, v52
	v_addc_co_u32_e64 v67, s[8:9], v53, v166, s[8:9]
	ds_read_b128 v[52:55], v158
	ds_read_b128 v[68:71], v162 offset:256
	v_add_co_u32_e64 v88, s[8:9], s10, v66
	v_addc_co_u32_e64 v89, s[8:9], v67, v165, s[8:9]
	v_add_co_u32_e64 v90, s[8:9], s10, v88
	v_addc_co_u32_e64 v91, s[8:9], v89, v165, s[8:9]
	v_add_f64 v[128:129], v[128:129], 0
	v_add_f64 v[130:131], v[130:131], 0
	;; [unrolled: 1-line block ×7, first 2 shown]
	s_waitcnt vmcnt(3) lgkmcnt(1)
	v_mul_f64 v[58:59], v[26:27], v[54:55]
	v_mul_f64 v[56:57], v[24:25], v[54:55]
	s_waitcnt vmcnt(2)
	v_mul_f64 v[62:63], v[34:35], v[54:55]
	v_mul_f64 v[60:61], v[32:33], v[54:55]
	s_waitcnt vmcnt(1)
	v_mul_f64 v[72:73], v[30:31], v[54:55]
	v_mul_f64 v[64:65], v[28:29], v[54:55]
	v_fmac_f64_e32 v[56:57], v[26:27], v[52:53]
	s_waitcnt vmcnt(0)
	v_mul_f64 v[74:75], v[38:39], v[54:55]
	v_mul_f64 v[86:87], v[36:37], v[54:55]
	v_fma_f64 v[54:55], v[24:25], v[52:53], -v[58:59]
	v_fma_f64 v[58:59], v[32:33], v[52:53], -v[62:63]
	v_fmac_f64_e32 v[60:61], v[34:35], v[52:53]
	ds_write_b128 v163, v[54:57]
	v_fma_f64 v[62:63], v[28:29], v[52:53], -v[72:73]
	v_fmac_f64_e32 v[64:65], v[30:31], v[52:53]
	ds_read_b128 v[80:83], v162 offset:272
	ds_write_b128 v163, v[58:61] offset:1072
	v_fma_f64 v[84:85], v[36:37], v[52:53], -v[74:75]
	v_fmac_f64_e32 v[86:87], v[38:39], v[52:53]
	ds_read_b128 v[76:79], v162 offset:288
	ds_write_b128 v163, v[62:65] offset:2144
	ds_read_b128 v[72:75], v162 offset:304
	ds_write_b128 v163, v[84:87] offset:3216
	v_add_co_u32_e64 v84, s[8:9], s10, v90
	v_addc_co_u32_e64 v85, s[8:9], v91, v165, s[8:9]
	s_waitcnt lgkmcnt(0)
	s_barrier
	ds_read_b128 v[144:147], v161
	ds_read_b128 v[140:143], v161 offset:16
	ds_read_b128 v[136:139], v161 offset:32
	;; [unrolled: 1-line block ×3, first 2 shown]
	s_waitcnt lgkmcnt(0)
	s_barrier
	global_load_dwordx4 v[52:55], v[66:67], off
	global_load_dwordx4 v[60:63], v[88:89], off
	;; [unrolled: 1-line block ×3, first 2 shown]
	v_add_co_u32_e64 v98, s[8:9], s19, v84
	global_load_dwordx4 v[64:67], v[84:85], off
	v_addc_co_u32_e64 v99, s[8:9], v85, v166, s[8:9]
	ds_read_b128 v[84:87], v158
	ds_read_b128 v[100:103], v162 offset:512
	v_add_co_u32_e64 v152, s[8:9], s10, v98
	v_addc_co_u32_e64 v153, s[8:9], v99, v165, s[8:9]
	v_add_co_u32_e64 v184, s[8:9], s10, v152
	v_addc_co_u32_e64 v185, s[8:9], v153, v165, s[8:9]
	v_add_f64 v[106:107], v[146:147], 0
	v_add_f64 v[106:107], v[106:107], v[142:143]
	;; [unrolled: 1-line block ×4, first 2 shown]
	s_waitcnt vmcnt(3) lgkmcnt(1)
	v_mul_f64 v[90:91], v[54:55], v[86:87]
	v_mul_f64 v[88:89], v[52:53], v[86:87]
	s_waitcnt vmcnt(2)
	v_mul_f64 v[94:95], v[62:63], v[86:87]
	v_mul_f64 v[92:93], v[60:61], v[86:87]
	s_waitcnt vmcnt(1)
	;; [unrolled: 3-line block ×3, first 2 shown]
	v_mul_f64 v[110:111], v[66:67], v[86:87]
	v_mul_f64 v[170:171], v[64:65], v[86:87]
	v_fma_f64 v[86:87], v[52:53], v[84:85], -v[90:91]
	v_fmac_f64_e32 v[88:89], v[54:55], v[84:85]
	v_fma_f64 v[90:91], v[60:61], v[84:85], -v[94:95]
	v_fmac_f64_e32 v[92:93], v[62:63], v[84:85]
	ds_write_b128 v163, v[86:89]
	v_fma_f64 v[94:95], v[56:57], v[84:85], -v[108:109]
	v_fmac_f64_e32 v[96:97], v[58:59], v[84:85]
	ds_read_b128 v[116:119], v162 offset:528
	ds_write_b128 v163, v[90:93] offset:1072
	v_fma_f64 v[168:169], v[64:65], v[84:85], -v[110:111]
	v_fmac_f64_e32 v[170:171], v[66:67], v[84:85]
	ds_read_b128 v[112:115], v162 offset:544
	ds_write_b128 v163, v[94:97] offset:2144
	ds_read_b128 v[108:111], v162 offset:560
	ds_write_b128 v163, v[168:171] offset:3216
	s_waitcnt lgkmcnt(0)
	s_barrier
	ds_read_b128 v[168:171], v161
	ds_read_b128 v[172:175], v161 offset:16
	ds_read_b128 v[176:179], v161 offset:32
	;; [unrolled: 1-line block ×3, first 2 shown]
	s_waitcnt lgkmcnt(0)
	s_barrier
	global_load_dwordx4 v[88:91], v[98:99], off
	global_load_dwordx4 v[92:95], v[152:153], off
	;; [unrolled: 1-line block ×3, first 2 shown]
	v_add_co_u32_e64 v152, s[8:9], s10, v184
	v_addc_co_u32_e64 v153, s[8:9], v185, v165, s[8:9]
	global_load_dwordx4 v[96:99], v[152:153], off
	v_add_f64 v[184:185], v[120:121], v[104:105]
	v_add_f64 v[104:105], v[144:145], 0
	;; [unrolled: 1-line block ×5, first 2 shown]
	ds_read_b128 v[120:123], v158
	ds_read_b128 v[104:107], v162 offset:768
	v_add_f64 v[124:125], v[168:169], 0
	v_add_f64 v[126:127], v[170:171], 0
	;; [unrolled: 1-line block ×8, first 2 shown]
	s_waitcnt vmcnt(3) lgkmcnt(1)
	v_mul_f64 v[126:127], v[90:91], v[122:123]
	v_mul_f64 v[124:125], v[88:89], v[122:123]
	s_waitcnt vmcnt(2)
	v_mul_f64 v[130:131], v[94:95], v[122:123]
	v_mul_f64 v[128:129], v[92:93], v[122:123]
	s_waitcnt vmcnt(1)
	v_mul_f64 v[140:141], v[86:87], v[122:123]
	v_mul_f64 v[142:143], v[84:85], v[122:123]
	v_fmac_f64_e32 v[124:125], v[90:91], v[120:121]
	s_waitcnt vmcnt(0)
	v_mul_f64 v[144:145], v[98:99], v[122:123]
	v_mul_f64 v[146:147], v[96:97], v[122:123]
	v_fma_f64 v[122:123], v[88:89], v[120:121], -v[126:127]
	v_fma_f64 v[126:127], v[92:93], v[120:121], -v[130:131]
	v_fmac_f64_e32 v[128:129], v[94:95], v[120:121]
	ds_write_b128 v163, v[122:125]
	v_fma_f64 v[140:141], v[84:85], v[120:121], -v[140:141]
	v_fma_f64 v[144:145], v[96:97], v[120:121], -v[144:145]
	v_fmac_f64_e32 v[142:143], v[86:87], v[120:121]
	v_fmac_f64_e32 v[146:147], v[98:99], v[120:121]
	ds_read_b128 v[120:123], v162 offset:784
	ds_write_b128 v163, v[126:129] offset:1072
	ds_read_b128 v[124:127], v162 offset:800
	ds_write_b128 v163, v[140:143] offset:2144
	;; [unrolled: 2-line block ×3, first 2 shown]
	s_waitcnt lgkmcnt(0)
	s_barrier
	ds_read_b128 v[140:143], v161
	ds_read_b128 v[144:147], v161 offset:16
	ds_read_b128 v[168:171], v161 offset:32
	;; [unrolled: 1-line block ×3, first 2 shown]
	s_waitcnt lgkmcnt(0)
	s_barrier
	ds_write_b128 v164, v[184:187]
	ds_write_b128 v164, v[132:135] offset:256
	ds_write_b128 v164, v[136:139] offset:512
	v_add_f64 v[132:133], v[140:141], 0
	v_add_f64 v[134:135], v[142:143], 0
	;; [unrolled: 1-line block ×8, first 2 shown]
	ds_write_b128 v164, v[132:135] offset:768
	s_waitcnt lgkmcnt(0)
	s_barrier
	s_and_saveexec_b64 s[14:15], s[4:5]
	s_cbranch_execz .LBB127_96
; %bb.100:                              ;   in Loop: Header=BB127_97 Depth=1
	ds_read_b128 v[132:135], v159
	ds_read_b128 v[136:139], v159 offset:16
	ds_read_b128 v[140:143], v159 offset:32
	;; [unrolled: 1-line block ×3, first 2 shown]
	s_waitcnt lgkmcnt(2)
	v_add_f64 v[132:133], v[136:137], v[132:133]
	v_add_f64 v[136:137], v[138:139], v[134:135]
	s_waitcnt lgkmcnt(1)
	v_add_f64 v[138:139], v[132:133], v[140:141]
	ds_read_b128 v[132:135], v159 offset:64
	v_add_f64 v[140:141], v[136:137], v[142:143]
	s_waitcnt lgkmcnt(1)
	v_add_f64 v[142:143], v[138:139], v[144:145]
	ds_read_b128 v[136:139], v159 offset:80
	;; [unrolled: 4-line block ×9, first 2 shown]
	v_add_f64 v[134:135], v[144:145], v[134:135]
	s_waitcnt lgkmcnt(1)
	v_add_f64 v[136:137], v[132:133], v[136:137]
	v_add_f64 v[144:145], v[134:135], v[138:139]
	ds_read_b128 v[132:135], v159 offset:208
	s_waitcnt lgkmcnt(1)
	v_add_f64 v[146:147], v[136:137], v[140:141]
	ds_read_b128 v[136:139], v159 offset:224
	v_add_f64 v[144:145], v[144:145], v[142:143]
	ds_read_b128 v[140:143], v160
	s_waitcnt lgkmcnt(2)
	v_add_f64 v[132:133], v[146:147], v[132:133]
	v_add_f64 v[134:135], v[144:145], v[134:135]
	s_waitcnt lgkmcnt(1)
	v_add_f64 v[132:133], v[132:133], v[136:137]
	v_lshlrev_b64 v[136:137], 4, v[150:151]
	v_add_f64 v[134:135], v[134:135], v[138:139]
	v_mov_b32_e32 v138, s16
	v_add_co_u32_e64 v136, s[8:9], s7, v136
	s_waitcnt lgkmcnt(0)
	v_add_f64 v[132:133], v[132:133], v[140:141]
	v_add_f64 v[134:135], v[134:135], v[142:143]
	v_addc_co_u32_e64 v137, s[8:9], v138, v137, s[8:9]
	global_store_dwordx4 v[136:137], v[132:135], off
	s_branch .LBB127_96
.LBB127_101:
	s_movk_i32 s2, 0x430
	s_or_b64 s[0:1], s[0:1], vcc
	v_mad_u32_u24 v4, v149, s2, v154
	s_xor_b64 s[0:1], s[0:1], -1
	ds_write_b128 v4, v[0:3]
	s_waitcnt lgkmcnt(0)
	s_barrier
	s_and_saveexec_b64 s[2:3], s[0:1]
	s_cbranch_execz .LBB127_103
; %bb.102:
	ds_read_b128 v[0:3], v154 offset:1072
	ds_read_b128 v[4:7], v154
	ds_read_b128 v[8:11], v154 offset:2144
	ds_read_b128 v[12:15], v154 offset:3216
	v_ashrrev_i32_e32 v149, 31, v148
	s_waitcnt lgkmcnt(2)
	v_add_f64 v[0:1], v[0:1], v[4:5]
	v_add_f64 v[2:3], v[2:3], v[6:7]
	v_lshlrev_b64 v[4:5], 4, v[148:149]
	s_waitcnt lgkmcnt(1)
	v_add_f64 v[0:1], v[0:1], v[8:9]
	v_add_f64 v[2:3], v[2:3], v[10:11]
	v_mov_b32_e32 v6, s16
	v_add_co_u32_e32 v4, vcc, s7, v4
	s_waitcnt lgkmcnt(0)
	v_add_f64 v[0:1], v[0:1], v[12:13]
	v_add_f64 v[2:3], v[2:3], v[14:15]
	v_addc_co_u32_e32 v5, vcc, v6, v5, vcc
	global_store_dwordx4 v[4:5], v[0:3], off
.LBB127_103:
	s_endpgm
	.section	.rodata,"a",@progbits
	.p2align	6, 0x0
	.amdhsa_kernel _ZL26rocblas_hemvn_kernel_lowerILb0ELi64ELi4ELi33ELi32ELi16EiPK19rocblas_complex_numIdES3_PS1_EviT6_lT7_lT5_lS6_lS7_lS5_lT8_i
		.amdhsa_group_segment_fixed_size 19200
		.amdhsa_private_segment_fixed_size 0
		.amdhsa_kernarg_size 376
		.amdhsa_user_sgpr_count 6
		.amdhsa_user_sgpr_private_segment_buffer 1
		.amdhsa_user_sgpr_dispatch_ptr 0
		.amdhsa_user_sgpr_queue_ptr 0
		.amdhsa_user_sgpr_kernarg_segment_ptr 1
		.amdhsa_user_sgpr_dispatch_id 0
		.amdhsa_user_sgpr_flat_scratch_init 0
		.amdhsa_user_sgpr_kernarg_preload_length 0
		.amdhsa_user_sgpr_kernarg_preload_offset 0
		.amdhsa_user_sgpr_private_segment_size 0
		.amdhsa_uses_dynamic_stack 0
		.amdhsa_system_sgpr_private_segment_wavefront_offset 0
		.amdhsa_system_sgpr_workgroup_id_x 1
		.amdhsa_system_sgpr_workgroup_id_y 0
		.amdhsa_system_sgpr_workgroup_id_z 1
		.amdhsa_system_sgpr_workgroup_info 0
		.amdhsa_system_vgpr_workitem_id 1
		.amdhsa_next_free_vgpr 188
		.amdhsa_next_free_sgpr 46
		.amdhsa_accum_offset 188
		.amdhsa_reserve_vcc 1
		.amdhsa_reserve_flat_scratch 0
		.amdhsa_float_round_mode_32 0
		.amdhsa_float_round_mode_16_64 0
		.amdhsa_float_denorm_mode_32 3
		.amdhsa_float_denorm_mode_16_64 3
		.amdhsa_dx10_clamp 1
		.amdhsa_ieee_mode 1
		.amdhsa_fp16_overflow 0
		.amdhsa_tg_split 0
		.amdhsa_exception_fp_ieee_invalid_op 0
		.amdhsa_exception_fp_denorm_src 0
		.amdhsa_exception_fp_ieee_div_zero 0
		.amdhsa_exception_fp_ieee_overflow 0
		.amdhsa_exception_fp_ieee_underflow 0
		.amdhsa_exception_fp_ieee_inexact 0
		.amdhsa_exception_int_div_zero 0
	.end_amdhsa_kernel
	.section	.text._ZL26rocblas_hemvn_kernel_lowerILb0ELi64ELi4ELi33ELi32ELi16EiPK19rocblas_complex_numIdES3_PS1_EviT6_lT7_lT5_lS6_lS7_lS5_lT8_i,"axG",@progbits,_ZL26rocblas_hemvn_kernel_lowerILb0ELi64ELi4ELi33ELi32ELi16EiPK19rocblas_complex_numIdES3_PS1_EviT6_lT7_lT5_lS6_lS7_lS5_lT8_i,comdat
.Lfunc_end127:
	.size	_ZL26rocblas_hemvn_kernel_lowerILb0ELi64ELi4ELi33ELi32ELi16EiPK19rocblas_complex_numIdES3_PS1_EviT6_lT7_lT5_lS6_lS7_lS5_lT8_i, .Lfunc_end127-_ZL26rocblas_hemvn_kernel_lowerILb0ELi64ELi4ELi33ELi32ELi16EiPK19rocblas_complex_numIdES3_PS1_EviT6_lT7_lT5_lS6_lS7_lS5_lT8_i
                                        ; -- End function
	.section	.AMDGPU.csdata,"",@progbits
; Kernel info:
; codeLenInByte = 9252
; NumSgprs: 50
; NumVgprs: 188
; NumAgprs: 0
; TotalNumVgprs: 188
; ScratchSize: 0
; MemoryBound: 0
; FloatMode: 240
; IeeeMode: 1
; LDSByteSize: 19200 bytes/workgroup (compile time only)
; SGPRBlocks: 6
; VGPRBlocks: 23
; NumSGPRsForWavesPerEU: 50
; NumVGPRsForWavesPerEU: 188
; AccumOffset: 188
; Occupancy: 2
; WaveLimiterHint : 1
; COMPUTE_PGM_RSRC2:SCRATCH_EN: 0
; COMPUTE_PGM_RSRC2:USER_SGPR: 6
; COMPUTE_PGM_RSRC2:TRAP_HANDLER: 0
; COMPUTE_PGM_RSRC2:TGID_X_EN: 1
; COMPUTE_PGM_RSRC2:TGID_Y_EN: 0
; COMPUTE_PGM_RSRC2:TGID_Z_EN: 1
; COMPUTE_PGM_RSRC2:TIDIG_COMP_CNT: 1
; COMPUTE_PGM_RSRC3_GFX90A:ACCUM_OFFSET: 46
; COMPUTE_PGM_RSRC3_GFX90A:TG_SPLIT: 0
	.section	.text._ZL26rocblas_hemvn_kernel_lowerILb0ELi64ELi4ELi33ELi32ELi16El19rocblas_complex_numIdEPKS1_PS1_EviT6_lT7_lT5_lS6_lS7_lS5_lT8_i,"axG",@progbits,_ZL26rocblas_hemvn_kernel_lowerILb0ELi64ELi4ELi33ELi32ELi16El19rocblas_complex_numIdEPKS1_PS1_EviT6_lT7_lT5_lS6_lS7_lS5_lT8_i,comdat
	.globl	_ZL26rocblas_hemvn_kernel_lowerILb0ELi64ELi4ELi33ELi32ELi16El19rocblas_complex_numIdEPKS1_PS1_EviT6_lT7_lT5_lS6_lS7_lS5_lT8_i ; -- Begin function _ZL26rocblas_hemvn_kernel_lowerILb0ELi64ELi4ELi33ELi32ELi16El19rocblas_complex_numIdEPKS1_PS1_EviT6_lT7_lT5_lS6_lS7_lS5_lT8_i
	.p2align	8
	.type	_ZL26rocblas_hemvn_kernel_lowerILb0ELi64ELi4ELi33ELi32ELi16El19rocblas_complex_numIdEPKS1_PS1_EviT6_lT7_lT5_lS6_lS7_lS5_lT8_i,@function
_ZL26rocblas_hemvn_kernel_lowerILb0ELi64ELi4ELi33ELi32ELi16El19rocblas_complex_numIdEPKS1_PS1_EviT6_lT7_lT5_lS6_lS7_lS5_lT8_i: ; @_ZL26rocblas_hemvn_kernel_lowerILb0ELi64ELi4ELi33ELi32ELi16El19rocblas_complex_numIdEPKS1_PS1_EviT6_lT7_lT5_lS6_lS7_lS5_lT8_i
; %bb.0:
	s_load_dwordx2 s[2:3], s[4:5], 0x94
	s_add_u32 s0, s4, 0x88
	s_addc_u32 s1, s5, 0
	s_waitcnt lgkmcnt(0)
	s_lshr_b32 s8, s2, 16
	s_and_b32 s2, s2, 0xffff
	s_and_b32 s3, s3, 0xffff
	s_mul_i32 s2, s8, s2
	s_mul_i32 s2, s2, s3
	s_cmpk_lg_i32 s2, 0x100
	s_cbranch_scc1 .LBB128_103
; %bb.1:
	s_load_dwordx4 s[8:11], s[4:5], 0x8
	s_waitcnt lgkmcnt(0)
	v_cmp_neq_f64_e64 s[2:3], s[8:9], 0
	v_cmp_neq_f64_e64 s[8:9], s[10:11], 0
	s_or_b64 s[2:3], s[2:3], s[8:9]
	s_mov_b64 s[8:9], -1
	s_and_b64 vcc, exec, s[2:3]
	s_cbranch_vccnz .LBB128_3
; %bb.2:
	s_load_dwordx4 s[8:11], s[4:5], 0x60
	s_waitcnt lgkmcnt(0)
	v_cmp_neq_f64_e64 s[8:9], s[8:9], 1.0
	v_cmp_neq_f64_e64 s[10:11], s[10:11], 0
	s_or_b64 s[8:9], s[8:9], s[10:11]
.LBB128_3:
	s_andn2_b64 vcc, exec, s[8:9]
	s_cbranch_vccnz .LBB128_103
; %bb.4:
	s_andn2_b64 vcc, exec, s[2:3]
	s_cbranch_vccnz .LBB128_103
; %bb.5:
	s_load_dwordx16 s[36:51], s[4:5], 0x20
	s_load_dword s52, s[0:1], 0x0
	s_load_dword s33, s[4:5], 0x0
	v_and_b32_e32 v42, 0x3ff, v0
	v_bfe_u32 v154, v0, 10, 10
	s_waitcnt lgkmcnt(0)
	s_mul_i32 s1, s7, s51
	s_mul_hi_u32 s2, s7, s50
	s_mul_i32 s0, s7, s50
	s_add_i32 s1, s2, s1
	s_lshl_b64 s[0:1], s[0:1], 4
	s_add_u32 s2, s44, s0
	s_addc_u32 s3, s45, s1
	s_lshl_b64 s[0:1], s[46:47], 4
	s_add_u32 s2, s2, s0
	s_addc_u32 s3, s3, s1
	s_ashr_i32 s44, s33, 31
	s_lshr_b32 s1, s44, 26
	s_add_i32 s1, s33, s1
	s_lshl_b32 s24, s6, 6
	s_andn2_b32 s1, s1, 63
	s_add_i32 s0, s52, -1
	s_sub_i32 s1, s33, s1
	v_add_u32_e32 v148, s24, v42
	s_cmp_eq_u32 s6, s0
	v_ashrrev_i32_e32 v149, 31, v148
	s_cselect_b32 s22, s1, 0
	v_mul_lo_u32 v2, v149, s48
	v_mul_lo_u32 v3, v148, s49
	v_mad_u64_u32 v[0:1], s[0:1], v148, s48, 0
	v_add3_u32 v1, v1, v3, v2
	v_lshlrev_b64 v[0:1], 4, v[0:1]
	v_mov_b32_e32 v2, s3
	v_add_co_u32_e32 v36, vcc, s2, v0
	v_addc_co_u32_e32 v37, vcc, v2, v1, vcc
	v_cmp_ne_u32_e64 s[0:1], 0, v154
	v_cmp_eq_u32_e64 s[2:3], 0, v154
	s_and_saveexec_b64 s[8:9], s[2:3]
	s_cbranch_execz .LBB128_10
; %bb.6:
	s_cmp_lg_u32 s22, 0
	s_cselect_b64 s[10:11], -1, 0
	v_cmp_le_i32_e32 vcc, s22, v42
	v_mov_b32_e32 v0, 0x4700
	s_and_b64 s[10:11], s[10:11], vcc
	v_lshl_add_u32 v0, v42, 4, v0
	s_and_saveexec_b64 s[12:13], s[10:11]
	s_xor_b64 s[10:11], exec, s[12:13]
	s_cbranch_execz .LBB128_8
; %bb.7:
	v_mov_b32_e32 v2, 0
	v_mov_b32_e32 v3, v2
	;; [unrolled: 1-line block ×4, first 2 shown]
	ds_write_b128 v0, v[2:5]
                                        ; implicit-def: $vgpr0
.LBB128_8:
	s_andn2_saveexec_b64 s[10:11], s[10:11]
	s_cbranch_execz .LBB128_10
; %bb.9:
	global_load_dwordx4 v[2:5], v[36:37], off
	s_waitcnt vmcnt(0)
	ds_write2_b64 v0, v[2:3], v[4:5] offset1:1
.LBB128_10:
	s_or_b64 exec, exec, s[8:9]
	s_mul_i32 s8, s7, s43
	s_mul_hi_u32 s9, s7, s42
	s_add_i32 s9, s9, s8
	s_mul_i32 s8, s7, s42
	s_lshl_b64 s[8:9], s[8:9], 4
	s_add_u32 s10, s36, s8
	s_addc_u32 s11, s37, s9
	s_lshl_b64 s[8:9], s[38:39], 4
	s_add_u32 s10, s10, s8
	s_addc_u32 s11, s11, s9
	s_ashr_i32 s25, s24, 31
	v_lshl_add_u32 v43, v154, 6, v42
	s_lshl_b64 s[8:9], s[24:25], 4
	v_and_b32_e32 v4, 31, v42
	v_lshrrev_b32_e32 v10, 5, v43
	s_add_u32 s10, s10, s8
	v_mov_b32_e32 v5, 0
	s_addc_u32 s11, s11, s9
	v_mad_u64_u32 v[0:1], s[8:9], v10, s40, v[4:5]
	v_mov_b32_e32 v2, v1
	v_mad_u64_u32 v[2:3], s[8:9], v10, s41, v[2:3]
	s_mul_i32 s8, s24, s41
	s_mul_hi_u32 s9, s24, s40
	s_add_i32 s8, s9, s8
	s_mul_i32 s9, s25, s40
	s_add_i32 s9, s8, s9
	s_mul_i32 s8, s24, s40
	s_lshl_b64 s[26:27], s[8:9], 4
	v_mov_b32_e32 v1, v2
	s_add_u32 s8, s26, s10
	v_lshlrev_b64 v[38:39], 4, v[0:1]
	s_addc_u32 s9, s27, s11
	v_mov_b32_e32 v0, s9
	v_add_co_u32_e32 v6, vcc, s8, v38
	s_cmp_lg_u32 s22, 0
	v_addc_co_u32_e32 v7, vcc, v0, v39, vcc
	s_cselect_b64 s[28:29], -1, 0
	s_cmp_eq_u32 s22, 0
	s_cselect_b64 s[30:31], -1, 0
	s_and_b64 vcc, exec, s[28:29]
	s_cbranch_vccnz .LBB128_12
; %bb.11:
	s_lshl_b64 s[8:9], s[40:41], 7
	v_mov_b32_e32 v5, s9
	v_add_co_u32_e32 v8, vcc, s8, v6
	v_addc_co_u32_e32 v9, vcc, v7, v5, vcc
	global_load_dwordx4 v[0:3], v[8:9], off
	global_load_dwordx4 v[12:15], v[6:7], off
	v_add_co_u32_e32 v8, vcc, s8, v8
	v_addc_co_u32_e32 v9, vcc, v9, v5, vcc
	v_mov_b32_e32 v5, 0x180
	v_mad_u64_u32 v[24:25], s[8:9], s40, v5, v[6:7]
	s_mul_i32 s8, s41, 0x180
	v_add_u32_e32 v25, s8, v25
	global_load_dwordx4 v[16:19], v[24:25], off
	global_load_dwordx4 v[20:23], v[8:9], off
	v_mul_u32_u24_e32 v5, 33, v10
	v_add_lshl_u32 v5, v5, v4, 4
	v_add_u32_e32 v8, 0x1080, v5
	v_add_u32_e32 v9, 0x2100, v5
	;; [unrolled: 1-line block ×3, first 2 shown]
	s_waitcnt vmcnt(2)
	ds_write2_b64 v5, v[12:13], v[14:15] offset1:1
	ds_write2_b64 v8, v[0:1], v[2:3] offset1:1
	s_waitcnt vmcnt(1)
	ds_write2_b64 v11, v[16:17], v[18:19] offset1:1
	s_waitcnt vmcnt(0)
	ds_write2_b64 v9, v[20:21], v[22:23] offset1:1
	s_cbranch_execz .LBB128_13
	s_branch .LBB128_30
.LBB128_12:
.LBB128_13:
	v_lshlrev_b32_e32 v2, 4, v4
	v_sub_co_u32_e32 v0, vcc, v6, v2
	s_ashr_i32 s23, s22, 31
	v_subbrev_co_u32_e32 v1, vcc, 0, v7, vcc
	s_lshl_b64 s[10:11], s[22:23], 4
	v_mov_b32_e32 v3, s11
	v_add_co_u32_e32 v0, vcc, s10, v0
	v_addc_co_u32_e32 v1, vcc, v1, v3, vcc
	v_add_co_u32_e32 v0, vcc, -16, v0
	v_addc_co_u32_e32 v1, vcc, -1, v1, vcc
	v_cmp_gt_i32_e32 vcc, s22, v4
	v_mul_u32_u24_e32 v3, 33, v10
	v_cndmask_b32_e32 v1, v1, v7, vcc
	v_cndmask_b32_e32 v0, v0, v6, vcc
	v_cmp_le_i32_e64 s[8:9], s22, v10
	v_add_lshl_u32 v3, v3, v4, 4
	s_and_saveexec_b64 s[12:13], s[8:9]
	s_xor_b64 s[8:9], exec, s[12:13]
	s_cbranch_execz .LBB128_15
; %bb.14:
	v_mov_b32_e32 v12, 0
	v_mov_b32_e32 v13, v12
	v_mov_b32_e32 v14, v12
	v_mov_b32_e32 v15, v12
	ds_write_b128 v3, v[12:15]
.LBB128_15:
	s_andn2_saveexec_b64 s[8:9], s[8:9]
	s_cbranch_execz .LBB128_17
; %bb.16:
	global_load_dwordx4 v[12:15], v[0:1], off
	s_waitcnt vmcnt(0)
	ds_write2_b64 v3, v[12:13], v[14:15] offset1:1
.LBB128_17:
	s_or_b64 exec, exec, s[8:9]
	v_add_u32_e32 v5, 8, v10
	v_cmp_le_i32_e64 s[8:9], s22, v5
	s_and_saveexec_b64 s[12:13], s[8:9]
	s_xor_b64 s[8:9], exec, s[12:13]
	s_cbranch_execz .LBB128_19
; %bb.18:
	v_mul_u32_u24_e32 v5, 33, v5
	v_mov_b32_e32 v12, 0
	v_add_lshl_u32 v5, v5, v4, 4
	v_mov_b32_e32 v13, v12
	v_mov_b32_e32 v14, v12
	;; [unrolled: 1-line block ×3, first 2 shown]
	ds_write_b128 v5, v[12:15]
.LBB128_19:
	s_andn2_saveexec_b64 s[12:13], s[8:9]
	s_cbranch_execz .LBB128_21
; %bb.20:
	s_lshl_b64 s[8:9], s[40:41], 7
	v_mov_b32_e32 v5, s9
	v_add_co_u32_e64 v8, s[8:9], s8, v0
	v_addc_co_u32_e64 v9, s[8:9], v1, v5, s[8:9]
	global_load_dwordx4 v[12:15], v[8:9], off
	v_add_u32_e32 v5, 0x1080, v3
	s_waitcnt vmcnt(0)
	ds_write2_b64 v5, v[12:13], v[14:15] offset1:1
.LBB128_21:
	s_or_b64 exec, exec, s[12:13]
	v_add_u32_e32 v5, 16, v10
	v_cmp_le_i32_e64 s[8:9], s22, v5
	s_and_saveexec_b64 s[12:13], s[8:9]
	s_xor_b64 s[8:9], exec, s[12:13]
	s_cbranch_execz .LBB128_23
; %bb.22:
	v_mov_b32_e32 v12, 0
	v_mov_b32_e32 v13, v12
	;; [unrolled: 1-line block ×4, first 2 shown]
	ds_write_b128 v3, v[12:15] offset:8448
.LBB128_23:
	s_andn2_saveexec_b64 s[12:13], s[8:9]
	s_cbranch_execz .LBB128_25
; %bb.24:
	s_lshl_b64 s[8:9], s[40:41], 8
	v_mov_b32_e32 v5, s9
	v_add_co_u32_e64 v8, s[8:9], s8, v0
	v_addc_co_u32_e64 v9, s[8:9], v1, v5, s[8:9]
	global_load_dwordx4 v[12:15], v[8:9], off
	v_add_u32_e32 v5, 0x2100, v3
	s_waitcnt vmcnt(0)
	ds_write2_b64 v5, v[12:13], v[14:15] offset1:1
.LBB128_25:
	s_or_b64 exec, exec, s[12:13]
	v_add_u32_e32 v5, 24, v10
	v_cmp_le_i32_e64 s[8:9], s22, v5
	s_and_saveexec_b64 s[12:13], s[8:9]
	s_xor_b64 s[8:9], exec, s[12:13]
	s_cbranch_execz .LBB128_27
; %bb.26:
	v_mov_b32_e32 v12, 0
	v_mov_b32_e32 v13, v12
	;; [unrolled: 1-line block ×4, first 2 shown]
	ds_write_b128 v3, v[12:15] offset:12672
                                        ; implicit-def: $vgpr3
.LBB128_27:
	s_andn2_saveexec_b64 s[8:9], s[8:9]
	s_cbranch_execz .LBB128_29
; %bb.28:
	v_mov_b32_e32 v5, 0x180
	v_mad_u64_u32 v[8:9], s[12:13], s40, v5, v[0:1]
	s_mul_i32 s12, s41, 0x180
	v_add_u32_e32 v9, s12, v9
	global_load_dwordx4 v[12:15], v[8:9], off
	v_add_u32_e32 v3, 0x3180, v3
	s_waitcnt vmcnt(0)
	ds_write2_b64 v3, v[12:13], v[14:15] offset1:1
.LBB128_29:
	s_or_b64 exec, exec, s[8:9]
	v_add_co_u32_e64 v0, s[8:9], v0, v2
	v_addc_co_u32_e64 v1, s[8:9], 0, v1, s[8:9]
	v_mov_b32_e32 v2, s11
	v_subrev_co_u32_e64 v0, s[8:9], s10, v0
	v_subb_co_u32_e64 v1, s[8:9], v1, v2, s[8:9]
	v_add_co_u32_e64 v0, s[8:9], 16, v0
	v_addc_co_u32_e64 v1, s[8:9], 0, v1, s[8:9]
	v_cndmask_b32_e32 v7, v1, v7, vcc
	v_cndmask_b32_e32 v6, v0, v6, vcc
.LBB128_30:
	v_lshlrev_b32_e32 v0, 2, v10
	v_mul_u32_u24_e32 v44, 33, v4
	v_cmp_lt_u32_e64 s[8:9], v0, v4
	v_add_lshl_u32 v5, v0, v44, 4
	s_waitcnt lgkmcnt(0)
	s_barrier
	s_and_saveexec_b64 s[10:11], s[8:9]
	s_cbranch_execz .LBB128_32
; %bb.31:
	v_mul_u32_u24_e32 v1, 0x84, v10
	v_add_lshl_u32 v1, v1, v4, 4
	ds_read_b128 v[12:15], v1
	s_waitcnt lgkmcnt(0)
	ds_write_b128 v5, v[12:15]
.LBB128_32:
	s_or_b64 exec, exec, s[10:11]
	v_or_b32_e32 v1, 1, v0
	v_cmp_lt_u32_e64 s[10:11], v1, v4
	s_and_saveexec_b64 s[12:13], s[10:11]
	s_cbranch_execz .LBB128_34
; %bb.33:
	v_mul_u32_u24_e32 v1, 33, v1
	v_add_lshl_u32 v1, v1, v4, 4
	ds_read_b128 v[12:15], v1
	s_waitcnt lgkmcnt(0)
	ds_write_b128 v5, v[12:15] offset:16
.LBB128_34:
	s_or_b64 exec, exec, s[12:13]
	v_or_b32_e32 v1, 2, v0
	v_cmp_lt_u32_e64 s[12:13], v1, v4
	s_and_saveexec_b64 s[14:15], s[12:13]
	s_cbranch_execz .LBB128_36
; %bb.35:
	v_mul_u32_u24_e32 v1, 33, v1
	v_add_lshl_u32 v1, v1, v4, 4
	ds_read_b128 v[12:15], v1
	s_waitcnt lgkmcnt(0)
	ds_write_b128 v5, v[12:15] offset:32
.LBB128_36:
	s_or_b64 exec, exec, s[14:15]
	v_or_b32_e32 v1, 3, v0
	v_cmp_lt_u32_e64 s[14:15], v1, v4
	v_mad_u32_u24 v1, v1, 33, v4
	v_lshlrev_b32_e32 v11, 4, v1
	s_and_saveexec_b64 s[16:17], s[14:15]
	s_cbranch_execz .LBB128_38
; %bb.37:
	ds_read_b128 v[12:15], v11
	s_waitcnt lgkmcnt(0)
	ds_write_b128 v5, v[12:15] offset:48
.LBB128_38:
	s_or_b64 exec, exec, s[16:17]
	v_mul_u32_u24_e32 v1, 0x84, v10
	v_lshlrev_b32_e32 v14, 4, v0
	s_waitcnt lgkmcnt(0)
	s_barrier
	v_add_lshl_u32 v13, v1, v4, 4
	ds_read_b128 v[0:3], v14 offset:18176
	ds_read_b128 v[16:19], v13
	ds_read_b128 v[20:23], v14 offset:18192
	ds_read_b128 v[24:27], v14 offset:18208
	v_add_u32_e32 v12, 0xfffffbe0, v11
	ds_read_b128 v[28:31], v12
	ds_read_b128 v[32:35], v12 offset:528
	s_waitcnt lgkmcnt(4)
	v_mul_f64 v[8:9], v[2:3], v[18:19]
	v_fma_f64 v[8:9], v[0:1], v[16:17], -v[8:9]
	v_mul_f64 v[0:1], v[0:1], v[18:19]
	v_fmac_f64_e32 v[0:1], v[2:3], v[16:17]
	s_waitcnt lgkmcnt(1)
	v_mul_f64 v[16:17], v[20:21], v[30:31]
	v_add_f64 v[2:3], v[8:9], 0
	v_add_f64 v[0:1], v[0:1], 0
	v_mul_f64 v[8:9], v[22:23], v[30:31]
	v_fmac_f64_e32 v[16:17], v[22:23], v[28:29]
	v_fma_f64 v[8:9], v[20:21], v[28:29], -v[8:9]
	v_add_f64 v[20:21], v[0:1], v[16:17]
	s_waitcnt lgkmcnt(0)
	v_mul_f64 v[0:1], v[26:27], v[34:35]
	v_add_f64 v[8:9], v[2:3], v[8:9]
	v_fma_f64 v[22:23], v[24:25], v[32:33], -v[0:1]
	ds_read_b128 v[0:3], v14 offset:18224
	ds_read_b128 v[16:19], v11
	v_mul_f64 v[24:25], v[24:25], v[34:35]
	v_fmac_f64_e32 v[24:25], v[26:27], v[32:33]
	v_add_f64 v[8:9], v[8:9], v[22:23]
	v_add_f64 v[20:21], v[20:21], v[24:25]
	s_waitcnt lgkmcnt(0)
	v_mul_f64 v[22:23], v[2:3], v[18:19]
	v_mul_f64 v[18:19], v[0:1], v[18:19]
	v_fma_f64 v[22:23], v[0:1], v[16:17], -v[22:23]
	v_fmac_f64_e32 v[18:19], v[2:3], v[16:17]
	v_add_f64 v[0:1], v[8:9], v[22:23]
	v_add_f64 v[2:3], v[20:21], v[18:19]
	v_add_lshl_u32 v45, v10, v44, 4
	s_barrier
	ds_write_b128 v45, v[0:3]
	v_pk_mov_b32 v[0:1], 0, 0
	v_cmp_gt_u32_e64 s[20:21], 32, v43
	v_pk_mov_b32 v[2:3], v[0:1], v[0:1] op_sel:[0,1]
	s_waitcnt lgkmcnt(0)
	s_barrier
	s_and_saveexec_b64 s[16:17], s[20:21]
	s_cbranch_execz .LBB128_40
; %bb.39:
	v_lshlrev_b32_e32 v15, 4, v44
	ds_read_b128 v[0:3], v15
	ds_read_b128 v[16:19], v15 offset:16
	ds_read_b128 v[20:23], v15 offset:32
	;; [unrolled: 1-line block ×3, first 2 shown]
	s_waitcnt lgkmcnt(2)
	v_add_f64 v[0:1], v[16:17], v[0:1]
	v_add_f64 v[8:9], v[18:19], v[2:3]
	s_waitcnt lgkmcnt(1)
	v_add_f64 v[16:17], v[0:1], v[20:21]
	ds_read_b128 v[0:3], v15 offset:64
	v_add_f64 v[8:9], v[8:9], v[22:23]
	s_waitcnt lgkmcnt(1)
	v_add_f64 v[20:21], v[16:17], v[24:25]
	ds_read_b128 v[16:19], v15 offset:80
	;; [unrolled: 4-line block ×3, first 2 shown]
	v_add_f64 v[8:9], v[8:9], v[2:3]
	ds_read_b128 v[0:3], v15 offset:112
	s_waitcnt lgkmcnt(2)
	v_add_f64 v[16:17], v[24:25], v[16:17]
	v_add_f64 v[8:9], v[8:9], v[18:19]
	s_waitcnt lgkmcnt(1)
	v_add_f64 v[16:17], v[16:17], v[20:21]
	v_add_f64 v[8:9], v[8:9], v[22:23]
	;; [unrolled: 3-line block ×3, first 2 shown]
.LBB128_40:
	s_or_b64 exec, exec, s[16:17]
	s_lshl_b64 s[16:17], s[40:41], 9
	v_mov_b32_e32 v9, s17
	v_add_co_u32_e32 v8, vcc, s16, v6
	v_addc_co_u32_e32 v9, vcc, v7, v9, vcc
	v_add_co_u32_e32 v6, vcc, 0x200, v8
	v_cndmask_b32_e64 v7, 0, 1, s[30:31]
	s_mov_b64 s[18:19], vcc
	v_cmp_ne_u32_e64 s[16:17], 1, v7
	s_andn2_b64 vcc, exec, s[30:31]
	v_addc_co_u32_e64 v7, s[18:19], 0, v9, s[18:19]
	s_barrier
	s_cbranch_vccnz .LBB128_42
; %bb.41:
	s_lshl_b64 s[18:19], s[40:41], 7
	v_mov_b32_e32 v15, s19
	v_add_co_u32_e32 v20, vcc, s18, v8
	v_addc_co_u32_e32 v21, vcc, v9, v15, vcc
	v_add_co_u32_e32 v32, vcc, s18, v20
	v_addc_co_u32_e32 v33, vcc, v21, v15, vcc
	v_mov_b32_e32 v15, 0x180
	v_mad_u64_u32 v[8:9], s[18:19], s40, v15, v[8:9]
	s_mul_i32 s18, s41, 0x180
	v_add_u32_e32 v9, s18, v9
	global_load_dwordx4 v[16:19], v[20:21], off offset:512
	s_nop 0
	global_load_dwordx4 v[20:23], v[6:7], off
	global_load_dwordx4 v[24:27], v[8:9], off offset:512
	global_load_dwordx4 v[28:31], v[32:33], off offset:512
	v_mul_u32_u24_e32 v8, 33, v10
	v_add_lshl_u32 v8, v8, v4, 4
	v_add_u32_e32 v9, 0x1080, v8
	v_add_u32_e32 v15, 0x2100, v8
	;; [unrolled: 1-line block ×3, first 2 shown]
	s_waitcnt vmcnt(2)
	ds_write2_b64 v8, v[20:21], v[22:23] offset1:1
	ds_write2_b64 v9, v[16:17], v[18:19] offset1:1
	s_waitcnt vmcnt(1)
	ds_write2_b64 v32, v[24:25], v[26:27] offset1:1
	s_waitcnt vmcnt(0)
	ds_write2_b64 v15, v[28:29], v[30:31] offset1:1
	s_cbranch_execz .LBB128_43
	s_branch .LBB128_60
.LBB128_42:
.LBB128_43:
	v_lshlrev_b32_e32 v15, 4, v4
	v_sub_co_u32_e32 v9, vcc, v6, v15
	s_ashr_i32 s23, s22, 31
	v_subbrev_co_u32_e32 v16, vcc, 0, v7, vcc
	s_lshl_b64 s[30:31], s[22:23], 4
	v_mov_b32_e32 v17, s31
	v_add_co_u32_e32 v9, vcc, s30, v9
	v_addc_co_u32_e32 v16, vcc, v16, v17, vcc
	v_or_b32_e32 v8, 32, v4
	v_add_co_u32_e32 v17, vcc, 0xfffffdf0, v9
	v_addc_co_u32_e32 v9, vcc, -1, v16, vcc
	v_cmp_gt_i32_e64 s[18:19], s22, v8
	s_sub_i32 s23, s22, 32
	v_mul_u32_u24_e32 v16, 33, v10
	v_cndmask_b32_e64 v9, v9, v7, s[18:19]
	v_cndmask_b32_e64 v8, v17, v6, s[18:19]
	v_cmp_le_i32_e32 vcc, s23, v10
	v_add_lshl_u32 v16, v16, v4, 4
	s_and_saveexec_b64 s[34:35], vcc
	s_xor_b64 s[34:35], exec, s[34:35]
	s_cbranch_execz .LBB128_45
; %bb.44:
	v_mov_b32_e32 v18, 0
	v_mov_b32_e32 v19, v18
	;; [unrolled: 1-line block ×4, first 2 shown]
	ds_write_b128 v16, v[18:21]
.LBB128_45:
	s_andn2_saveexec_b64 s[34:35], s[34:35]
	s_cbranch_execz .LBB128_47
; %bb.46:
	global_load_dwordx4 v[18:21], v[8:9], off
	s_waitcnt vmcnt(0)
	ds_write2_b64 v16, v[18:19], v[20:21] offset1:1
.LBB128_47:
	s_or_b64 exec, exec, s[34:35]
	v_add_u32_e32 v17, 8, v10
	v_cmp_le_i32_e32 vcc, s23, v17
	s_and_saveexec_b64 s[34:35], vcc
	s_xor_b64 s[34:35], exec, s[34:35]
	s_cbranch_execz .LBB128_49
; %bb.48:
	v_mul_u32_u24_e32 v17, 33, v17
	v_mov_b32_e32 v18, 0
	v_add_lshl_u32 v17, v17, v4, 4
	v_mov_b32_e32 v19, v18
	v_mov_b32_e32 v20, v18
	;; [unrolled: 1-line block ×3, first 2 shown]
	ds_write_b128 v17, v[18:21]
.LBB128_49:
	s_andn2_saveexec_b64 s[34:35], s[34:35]
	s_cbranch_execz .LBB128_51
; %bb.50:
	s_lshl_b64 s[36:37], s[40:41], 7
	v_mov_b32_e32 v17, s37
	v_add_co_u32_e32 v18, vcc, s36, v8
	v_addc_co_u32_e32 v19, vcc, v9, v17, vcc
	global_load_dwordx4 v[18:21], v[18:19], off
	v_add_u32_e32 v17, 0x1080, v16
	s_waitcnt vmcnt(0)
	ds_write2_b64 v17, v[18:19], v[20:21] offset1:1
.LBB128_51:
	s_or_b64 exec, exec, s[34:35]
	v_add_u32_e32 v17, 16, v10
	v_cmp_le_i32_e32 vcc, s23, v17
	s_and_saveexec_b64 s[34:35], vcc
	s_xor_b64 s[34:35], exec, s[34:35]
	s_cbranch_execz .LBB128_53
; %bb.52:
	v_mov_b32_e32 v18, 0
	v_mov_b32_e32 v19, v18
	;; [unrolled: 1-line block ×4, first 2 shown]
	ds_write_b128 v16, v[18:21] offset:8448
.LBB128_53:
	s_andn2_saveexec_b64 s[34:35], s[34:35]
	s_cbranch_execz .LBB128_55
; %bb.54:
	s_lshl_b64 s[36:37], s[40:41], 8
	v_mov_b32_e32 v17, s37
	v_add_co_u32_e32 v18, vcc, s36, v8
	v_addc_co_u32_e32 v19, vcc, v9, v17, vcc
	global_load_dwordx4 v[18:21], v[18:19], off
	v_add_u32_e32 v17, 0x2100, v16
	s_waitcnt vmcnt(0)
	ds_write2_b64 v17, v[18:19], v[20:21] offset1:1
.LBB128_55:
	s_or_b64 exec, exec, s[34:35]
	v_add_u32_e32 v17, 24, v10
	v_cmp_le_i32_e32 vcc, s23, v17
	s_and_saveexec_b64 s[34:35], vcc
	s_xor_b64 s[34:35], exec, s[34:35]
	s_cbranch_execz .LBB128_57
; %bb.56:
	v_mov_b32_e32 v18, 0
	v_mov_b32_e32 v19, v18
	;; [unrolled: 1-line block ×4, first 2 shown]
	ds_write_b128 v16, v[18:21] offset:12672
                                        ; implicit-def: $vgpr16
.LBB128_57:
	s_andn2_saveexec_b64 s[34:35], s[34:35]
	s_cbranch_execz .LBB128_59
; %bb.58:
	v_mov_b32_e32 v17, 0x180
	v_mad_u64_u32 v[18:19], s[36:37], s40, v17, v[8:9]
	s_mul_i32 s23, s41, 0x180
	v_add_u32_e32 v19, s23, v19
	global_load_dwordx4 v[18:21], v[18:19], off
	v_add_u32_e32 v16, 0x3180, v16
	s_waitcnt vmcnt(0)
	ds_write2_b64 v16, v[18:19], v[20:21] offset1:1
.LBB128_59:
	s_or_b64 exec, exec, s[34:35]
	v_add_co_u32_e32 v8, vcc, v8, v15
	v_addc_co_u32_e32 v9, vcc, 0, v9, vcc
	v_mov_b32_e32 v15, s31
	v_subrev_co_u32_e32 v8, vcc, s30, v8
	v_subb_co_u32_e32 v9, vcc, v9, v15, vcc
	v_add_co_u32_e32 v8, vcc, 0x210, v8
	v_addc_co_u32_e32 v9, vcc, 0, v9, vcc
	v_cndmask_b32_e64 v7, v9, v7, s[18:19]
	v_cndmask_b32_e64 v6, v8, v6, s[18:19]
.LBB128_60:
	v_add_u32_e32 v8, 0x4700, v14
	v_add_u32_e32 v9, 0x210, v12
	s_lshl_b64 s[18:19], s[40:41], 5
	s_waitcnt lgkmcnt(0)
	s_barrier
	s_and_saveexec_b64 s[30:31], s[8:9]
	s_cbranch_execnz .LBB128_69
; %bb.61:
	s_or_b64 exec, exec, s[30:31]
	s_and_saveexec_b64 s[8:9], s[10:11]
	s_cbranch_execnz .LBB128_70
.LBB128_62:
	s_or_b64 exec, exec, s[8:9]
	s_and_saveexec_b64 s[8:9], s[12:13]
	s_cbranch_execnz .LBB128_71
.LBB128_63:
	s_or_b64 exec, exec, s[8:9]
	s_and_saveexec_b64 s[8:9], s[14:15]
	s_cbranch_execz .LBB128_65
.LBB128_64:
	ds_read_b128 v[14:17], v11
	s_waitcnt lgkmcnt(0)
	ds_write_b128 v5, v[14:17] offset:48
.LBB128_65:
	s_or_b64 exec, exec, s[8:9]
	s_waitcnt lgkmcnt(0)
	s_barrier
	ds_read_b128 v[14:17], v8 offset:512
	ds_read_b128 v[18:21], v13
	ds_read_b128 v[22:25], v8 offset:528
	ds_read_b128 v[26:29], v8 offset:544
	v_cmp_eq_u32_e64 s[8:9], 1, v10
	s_waitcnt lgkmcnt(2)
	v_mul_f64 v[30:31], v[16:17], v[20:21]
	v_fma_f64 v[34:35], v[14:15], v[18:19], -v[30:31]
	ds_read_b128 v[30:33], v8 offset:560
	ds_read_b128 v[46:49], v12
	v_mul_f64 v[14:15], v[14:15], v[20:21]
	v_fmac_f64_e32 v[14:15], v[16:17], v[18:19]
	v_add_f64 v[18:19], v[14:15], 0
	v_add_f64 v[16:17], v[34:35], 0
	s_waitcnt lgkmcnt(0)
	v_mul_f64 v[14:15], v[24:25], v[48:49]
	v_fma_f64 v[20:21], v[22:23], v[46:47], -v[14:15]
	v_mul_f64 v[22:23], v[22:23], v[48:49]
	ds_read_b128 v[12:15], v12 offset:528
	v_fmac_f64_e32 v[22:23], v[24:25], v[46:47]
	v_add_f64 v[20:21], v[16:17], v[20:21]
	v_add_f64 v[22:23], v[18:19], v[22:23]
	ds_read_b128 v[16:19], v11
	s_waitcnt lgkmcnt(1)
	v_mul_f64 v[24:25], v[28:29], v[14:15]
	v_fma_f64 v[24:25], v[26:27], v[12:13], -v[24:25]
	v_mul_f64 v[14:15], v[26:27], v[14:15]
	v_fmac_f64_e32 v[14:15], v[28:29], v[12:13]
	v_add_f64 v[12:13], v[20:21], v[24:25]
	s_waitcnt lgkmcnt(0)
	v_mul_f64 v[20:21], v[32:33], v[18:19]
	v_mul_f64 v[18:19], v[30:31], v[18:19]
	v_add_f64 v[14:15], v[22:23], v[14:15]
	v_fma_f64 v[20:21], v[30:31], v[16:17], -v[20:21]
	v_fmac_f64_e32 v[18:19], v[32:33], v[16:17]
	v_add_f64 v[12:13], v[12:13], v[20:21]
	v_add_f64 v[14:15], v[14:15], v[18:19]
	s_barrier
	ds_write_b128 v45, v[12:15]
	s_waitcnt lgkmcnt(0)
	s_barrier
	s_and_saveexec_b64 s[10:11], s[8:9]
	s_cbranch_execz .LBB128_67
; %bb.66:
	v_lshlrev_b32_e32 v9, 4, v44
	ds_read_b128 v[0:3], v9
	ds_read_b128 v[12:15], v9 offset:16
	ds_read_b128 v[16:19], v9 offset:32
	ds_read_b128 v[20:23], v9 offset:48
	s_waitcnt lgkmcnt(2)
	v_add_f64 v[0:1], v[12:13], v[0:1]
	v_add_f64 v[12:13], v[14:15], v[2:3]
	s_waitcnt lgkmcnt(1)
	v_add_f64 v[14:15], v[0:1], v[16:17]
	ds_read_b128 v[0:3], v9 offset:64
	v_add_f64 v[12:13], v[12:13], v[18:19]
	s_waitcnt lgkmcnt(1)
	v_add_f64 v[16:17], v[14:15], v[20:21]
	v_add_f64 v[20:21], v[12:13], v[22:23]
	ds_read_b128 v[12:15], v9 offset:80
	s_waitcnt lgkmcnt(1)
	v_add_f64 v[22:23], v[16:17], v[0:1]
	ds_read_b128 v[16:19], v9 offset:96
	v_add_f64 v[20:21], v[20:21], v[2:3]
	ds_read_b128 v[0:3], v9 offset:112
	s_waitcnt lgkmcnt(2)
	v_add_f64 v[12:13], v[22:23], v[12:13]
	v_add_f64 v[14:15], v[20:21], v[14:15]
	s_waitcnt lgkmcnt(1)
	v_add_f64 v[12:13], v[12:13], v[16:17]
	v_add_f64 v[14:15], v[14:15], v[18:19]
	;; [unrolled: 3-line block ×3, first 2 shown]
.LBB128_67:
	s_or_b64 exec, exec, s[10:11]
	s_lshl_b64 s[10:11], s[18:19], 4
	v_mov_b32_e32 v9, s11
	v_subrev_co_u32_e64 v40, s[10:11], s10, v6
	s_and_b64 vcc, exec, s[16:17]
	v_subb_co_u32_e64 v41, s[10:11], v7, v9, s[10:11]
	s_barrier
	s_cbranch_vccnz .LBB128_72
; %bb.68:
	s_lshl_b64 s[10:11], s[40:41], 7
	v_mov_b32_e32 v9, s11
	v_add_co_u32_e32 v6, vcc, s10, v40
	v_addc_co_u32_e32 v7, vcc, v41, v9, vcc
	global_load_dwordx4 v[16:19], v[40:41], off
	global_load_dwordx4 v[20:23], v[6:7], off
	v_add_co_u32_e32 v6, vcc, s10, v6
	v_addc_co_u32_e32 v7, vcc, v7, v9, vcc
	v_mov_b32_e32 v9, 0x180
	v_mad_u64_u32 v[12:13], s[10:11], s40, v9, v[40:41]
	s_mul_i32 s10, s41, 0x180
	v_add_u32_e32 v13, s10, v13
	global_load_dwordx4 v[24:27], v[6:7], off
	global_load_dwordx4 v[28:31], v[12:13], off
	v_mad_u32_u24 v9, v10, 33, v4
	v_add_u32_e32 v11, 8, v10
	v_add_u32_e32 v12, 16, v10
	;; [unrolled: 1-line block ×3, first 2 shown]
	v_lshlrev_b32_e32 v15, 4, v9
	v_add_u32_e32 v7, 0x108, v9
	v_add_u32_e32 v6, 0x210, v9
	;; [unrolled: 1-line block ×6, first 2 shown]
	s_waitcnt vmcnt(3)
	ds_write2_b64 v15, v[16:17], v[18:19] offset1:1
	s_waitcnt vmcnt(2)
	ds_write2_b64 v32, v[20:21], v[22:23] offset1:1
	;; [unrolled: 2-line block ×4, first 2 shown]
	s_cbranch_execz .LBB128_73
	s_branch .LBB128_90
.LBB128_69:
	ds_read_b128 v[14:17], v13
	s_waitcnt lgkmcnt(0)
	ds_write_b128 v5, v[14:17]
	s_or_b64 exec, exec, s[30:31]
	s_and_saveexec_b64 s[8:9], s[10:11]
	s_cbranch_execz .LBB128_62
.LBB128_70:
	ds_read_b128 v[14:17], v12
	s_waitcnt lgkmcnt(0)
	ds_write_b128 v5, v[14:17] offset:16
	s_or_b64 exec, exec, s[8:9]
	s_and_saveexec_b64 s[8:9], s[12:13]
	s_cbranch_execz .LBB128_63
.LBB128_71:
	ds_read_b128 v[14:17], v9
	s_waitcnt lgkmcnt(0)
	ds_write_b128 v5, v[14:17] offset:32
	s_or_b64 exec, exec, s[8:9]
	s_and_saveexec_b64 s[8:9], s[14:15]
	s_cbranch_execnz .LBB128_64
	s_branch .LBB128_65
.LBB128_72:
                                        ; implicit-def: $vgpr9
                                        ; implicit-def: $vgpr11
                                        ; implicit-def: $vgpr7
                                        ; implicit-def: $vgpr12
                                        ; implicit-def: $vgpr6
                                        ; implicit-def: $vgpr13
                                        ; implicit-def: $vgpr14
.LBB128_73:
	v_lshlrev_b32_e32 v15, 4, v4
	v_sub_co_u32_e32 v7, vcc, v40, v15
	s_ashr_i32 s23, s22, 31
	v_subbrev_co_u32_e32 v9, vcc, 0, v41, vcc
	s_lshl_b64 s[12:13], s[22:23], 4
	v_mov_b32_e32 v11, s13
	v_add_co_u32_e32 v7, vcc, s12, v7
	v_addc_co_u32_e32 v9, vcc, v9, v11, vcc
	v_or_b32_e32 v6, 32, v4
	v_add_co_u32_e32 v11, vcc, 0xfffffdf0, v7
	v_addc_co_u32_e32 v7, vcc, -1, v9, vcc
	v_cmp_gt_i32_e64 s[10:11], s22, v6
	v_mad_u32_u24 v9, v10, 33, v4
	v_cndmask_b32_e64 v7, v7, v41, s[10:11]
	v_cndmask_b32_e64 v6, v11, v40, s[10:11]
	v_cmp_le_i32_e32 vcc, s22, v10
	v_lshlrev_b32_e32 v16, 4, v9
	s_and_saveexec_b64 s[14:15], vcc
	s_xor_b64 s[14:15], exec, s[14:15]
	s_cbranch_execz .LBB128_75
; %bb.74:
	v_mov_b32_e32 v18, 0
	v_mov_b32_e32 v19, v18
	;; [unrolled: 1-line block ×4, first 2 shown]
	ds_write_b128 v16, v[18:21]
.LBB128_75:
	s_andn2_saveexec_b64 s[14:15], s[14:15]
	s_cbranch_execz .LBB128_77
; %bb.76:
	global_load_dwordx4 v[18:21], v[6:7], off
	s_waitcnt vmcnt(0)
	ds_write2_b64 v16, v[18:19], v[20:21] offset1:1
.LBB128_77:
	s_or_b64 exec, exec, s[14:15]
	v_add_u32_e32 v11, 8, v10
	v_cmp_le_i32_e32 vcc, s22, v11
	s_and_saveexec_b64 s[14:15], vcc
	s_xor_b64 s[14:15], exec, s[14:15]
	s_cbranch_execz .LBB128_79
; %bb.78:
	v_mul_u32_u24_e32 v12, 33, v11
	v_mov_b32_e32 v18, 0
	v_add_lshl_u32 v12, v12, v4, 4
	v_mov_b32_e32 v19, v18
	v_mov_b32_e32 v20, v18
	;; [unrolled: 1-line block ×3, first 2 shown]
	ds_write_b128 v12, v[18:21]
.LBB128_79:
	s_andn2_saveexec_b64 s[14:15], s[14:15]
	s_cbranch_execz .LBB128_81
; %bb.80:
	s_lshl_b64 s[16:17], s[40:41], 7
	v_mov_b32_e32 v13, s17
	v_add_co_u32_e32 v12, vcc, s16, v6
	v_addc_co_u32_e32 v13, vcc, v7, v13, vcc
	global_load_dwordx4 v[18:21], v[12:13], off
	v_add_u32_e32 v12, 0x1080, v16
	s_waitcnt vmcnt(0)
	ds_write2_b64 v12, v[18:19], v[20:21] offset1:1
.LBB128_81:
	s_or_b64 exec, exec, s[14:15]
	v_add_u32_e32 v12, 16, v10
	v_cmp_le_i32_e32 vcc, s22, v12
	s_and_saveexec_b64 s[14:15], vcc
	s_xor_b64 s[14:15], exec, s[14:15]
	s_cbranch_execz .LBB128_83
; %bb.82:
	v_mul_u32_u24_e32 v13, 33, v12
	v_mov_b32_e32 v18, 0
	v_add_lshl_u32 v4, v13, v4, 4
	v_mov_b32_e32 v19, v18
	v_mov_b32_e32 v20, v18
	;; [unrolled: 1-line block ×3, first 2 shown]
	ds_write_b128 v4, v[18:21]
.LBB128_83:
	s_andn2_saveexec_b64 s[14:15], s[14:15]
	s_cbranch_execz .LBB128_85
; %bb.84:
	s_lshl_b64 s[16:17], s[40:41], 8
	v_mov_b32_e32 v4, s17
	v_add_co_u32_e32 v18, vcc, s16, v6
	v_addc_co_u32_e32 v19, vcc, v7, v4, vcc
	global_load_dwordx4 v[18:21], v[18:19], off
	v_add_u32_e32 v4, 0x2100, v16
	s_waitcnt vmcnt(0)
	ds_write2_b64 v4, v[18:19], v[20:21] offset1:1
.LBB128_85:
	s_or_b64 exec, exec, s[14:15]
	v_add_u32_e32 v13, 24, v10
	v_cmp_le_i32_e32 vcc, s22, v13
                                        ; implicit-def: $vgpr14
	s_and_saveexec_b64 s[14:15], vcc
	s_xor_b64 s[14:15], exec, s[14:15]
	s_cbranch_execz .LBB128_87
; %bb.86:
	v_mov_b32_e32 v18, 0
	v_add_u32_e32 v14, 0x318, v9
	v_mov_b32_e32 v19, v18
	v_mov_b32_e32 v20, v18
	;; [unrolled: 1-line block ×3, first 2 shown]
	ds_write_b128 v16, v[18:21] offset:12672
                                        ; implicit-def: $vgpr16
.LBB128_87:
	s_andn2_saveexec_b64 s[14:15], s[14:15]
	s_cbranch_execz .LBB128_89
; %bb.88:
	v_mov_b32_e32 v4, 0x180
	v_mad_u64_u32 v[18:19], s[16:17], s40, v4, v[6:7]
	s_mul_i32 s16, s41, 0x180
	v_add_u32_e32 v19, s16, v19
	global_load_dwordx4 v[18:21], v[18:19], off
	v_add_u32_e32 v14, 0x318, v9
	v_add_u32_e32 v4, 0x3180, v16
	s_waitcnt vmcnt(0)
	ds_write2_b64 v4, v[18:19], v[20:21] offset1:1
.LBB128_89:
	s_or_b64 exec, exec, s[14:15]
	v_add_co_u32_e32 v4, vcc, v6, v15
	v_addc_co_u32_e32 v6, vcc, 0, v7, vcc
	v_mov_b32_e32 v7, s13
	v_subrev_co_u32_e32 v4, vcc, s12, v4
	v_subb_co_u32_e32 v6, vcc, v6, v7, vcc
	v_add_co_u32_e32 v4, vcc, 0x210, v4
	v_addc_co_u32_e32 v6, vcc, 0, v6, vcc
	v_cndmask_b32_e64 v41, v6, v41, s[10:11]
	v_cndmask_b32_e64 v40, v4, v40, s[10:11]
	v_add_u32_e32 v7, 0x108, v9
	v_add_u32_e32 v6, 0x210, v9
.LBB128_90:
	v_lshlrev_b32_e32 v4, 4, v9
	v_lshlrev_b32_e32 v9, 4, v10
	s_waitcnt lgkmcnt(0)
	s_barrier
	ds_read_b128 v[46:49], v9 offset:18176
	ds_read_b128 v[50:53], v4
	v_lshlrev_b32_e32 v4, 4, v7
	v_lshlrev_b32_e32 v7, 4, v11
	ds_read_b128 v[54:57], v7 offset:18176
	ds_read_b128 v[58:61], v4
	v_lshlrev_b32_e32 v4, 4, v6
	v_lshlrev_b32_e32 v6, 4, v12
	ds_read_b128 v[62:65], v6 offset:18176
	ds_read_b128 v[66:69], v4
	v_lshlrev_b32_e32 v6, 4, v13
	s_waitcnt lgkmcnt(4)
	v_mul_f64 v[10:11], v[48:49], v[52:53]
	v_lshlrev_b32_e32 v4, 4, v14
	ds_read_b128 v[70:73], v6 offset:18176
	ds_read_b128 v[74:77], v4
	v_fma_f64 v[10:11], v[46:47], v[50:51], -v[10:11]
	s_waitcnt lgkmcnt(4)
	v_mul_f64 v[16:17], v[56:57], v[60:61]
	v_add_f64 v[10:11], v[10:11], 0
	v_fma_f64 v[16:17], v[54:55], v[58:59], -v[16:17]
	v_add_f64 v[6:7], v[10:11], v[16:17]
	s_waitcnt lgkmcnt(2)
	v_mul_f64 v[10:11], v[64:65], v[68:69]
	v_fma_f64 v[10:11], v[62:63], v[66:67], -v[10:11]
	v_add_f64 v[6:7], v[6:7], v[10:11]
	s_waitcnt lgkmcnt(0)
	v_mul_f64 v[10:11], v[72:73], v[76:77]
	v_fma_f64 v[10:11], v[70:71], v[74:75], -v[10:11]
	v_add_f64 v[78:79], v[6:7], v[10:11]
	ds_read_b128 v[28:31], v5
	ds_read_b128 v[20:23], v5 offset:16
	ds_read_b128 v[12:15], v5 offset:32
	ds_read_b128 v[4:7], v5 offset:48
	ds_read_b128 v[32:35], v8 offset:512
	ds_read_b128 v[24:27], v8 offset:528
	ds_read_b128 v[16:19], v8 offset:544
	ds_read_b128 v[8:11], v8 offset:560
	v_mul_f64 v[46:47], v[46:47], v[52:53]
	v_fmac_f64_e32 v[46:47], v[48:49], v[50:51]
	v_mul_f64 v[48:49], v[54:55], v[60:61]
	v_add_f64 v[46:47], v[46:47], 0
	v_fmac_f64_e32 v[48:49], v[56:57], v[58:59]
	v_add_f64 v[46:47], v[46:47], v[48:49]
	v_mul_f64 v[48:49], v[62:63], v[68:69]
	v_fmac_f64_e32 v[48:49], v[64:65], v[66:67]
	v_add_f64 v[46:47], v[46:47], v[48:49]
	v_mul_f64 v[48:49], v[70:71], v[76:77]
	v_fmac_f64_e32 v[48:49], v[72:73], v[74:75]
	v_add_f64 v[80:81], v[46:47], v[48:49]
	s_waitcnt lgkmcnt(0)
	s_barrier
	ds_write_b128 v45, v[78:81]
	s_waitcnt lgkmcnt(0)
	s_barrier
	s_and_saveexec_b64 s[10:11], s[8:9]
	s_cbranch_execz .LBB128_92
; %bb.91:
	v_lshlrev_b32_e32 v62, 4, v44
	ds_read_b128 v[46:49], v62
	ds_read_b128 v[50:53], v62 offset:16
	ds_read_b128 v[54:57], v62 offset:32
	ds_read_b128 v[58:61], v62 offset:48
	s_waitcnt lgkmcnt(3)
	v_add_f64 v[0:1], v[0:1], v[46:47]
	v_add_f64 v[2:3], v[2:3], v[48:49]
	s_waitcnt lgkmcnt(2)
	v_add_f64 v[0:1], v[0:1], v[50:51]
	v_add_f64 v[46:47], v[2:3], v[52:53]
	s_waitcnt lgkmcnt(1)
	v_add_f64 v[48:49], v[0:1], v[54:55]
	ds_read_b128 v[0:3], v62 offset:64
	v_add_f64 v[46:47], v[46:47], v[56:57]
	s_waitcnt lgkmcnt(1)
	v_add_f64 v[50:51], v[48:49], v[58:59]
	v_add_f64 v[54:55], v[46:47], v[60:61]
	ds_read_b128 v[46:49], v62 offset:80
	s_waitcnt lgkmcnt(1)
	v_add_f64 v[56:57], v[50:51], v[0:1]
	ds_read_b128 v[50:53], v62 offset:96
	v_add_f64 v[54:55], v[54:55], v[2:3]
	ds_read_b128 v[0:3], v62 offset:112
	s_waitcnt lgkmcnt(2)
	v_add_f64 v[46:47], v[56:57], v[46:47]
	v_add_f64 v[48:49], v[54:55], v[48:49]
	s_waitcnt lgkmcnt(1)
	v_add_f64 v[46:47], v[46:47], v[50:51]
	v_add_f64 v[48:49], v[48:49], v[52:53]
	;; [unrolled: 3-line block ×3, first 2 shown]
.LBB128_92:
	s_or_b64 exec, exec, s[10:11]
	v_mul_f64 v[46:47], v[30:31], v[34:35]
	v_fma_f64 v[46:47], v[28:29], v[32:33], -v[46:47]
	v_mul_f64 v[28:29], v[28:29], v[34:35]
	v_fmac_f64_e32 v[28:29], v[30:31], v[32:33]
	v_mul_f64 v[32:33], v[22:23], v[26:27]
	v_fma_f64 v[32:33], v[20:21], v[24:25], -v[32:33]
	v_mul_f64 v[20:21], v[20:21], v[26:27]
	v_fmac_f64_e32 v[20:21], v[22:23], v[24:25]
	v_mul_f64 v[24:25], v[14:15], v[18:19]
	v_add_f64 v[30:31], v[46:47], 0
	v_add_f64 v[28:29], v[28:29], 0
	v_fma_f64 v[24:25], v[12:13], v[16:17], -v[24:25]
	v_mul_f64 v[12:13], v[12:13], v[18:19]
	v_add_f64 v[22:23], v[30:31], v[32:33]
	v_add_f64 v[20:21], v[28:29], v[20:21]
	v_fmac_f64_e32 v[12:13], v[14:15], v[16:17]
	v_mul_f64 v[16:17], v[6:7], v[10:11]
	v_mul_f64 v[10:11], v[4:5], v[10:11]
	v_add_f64 v[14:15], v[22:23], v[24:25]
	v_add_f64 v[12:13], v[20:21], v[12:13]
	v_fma_f64 v[16:17], v[4:5], v[8:9], -v[16:17]
	v_fmac_f64_e32 v[10:11], v[6:7], v[8:9]
	v_add_f64 v[4:5], v[14:15], v[16:17]
	v_add_f64 v[6:7], v[12:13], v[10:11]
	s_barrier
	ds_write_b128 v45, v[4:7]
	s_waitcnt lgkmcnt(0)
	s_barrier
	s_and_saveexec_b64 s[8:9], s[20:21]
	s_cbranch_execz .LBB128_94
; %bb.93:
	v_lshlrev_b32_e32 v20, 4, v44
	ds_read_b128 v[4:7], v20
	ds_read_b128 v[8:11], v20 offset:16
	ds_read_b128 v[12:15], v20 offset:32
	;; [unrolled: 1-line block ×3, first 2 shown]
	s_waitcnt lgkmcnt(3)
	v_add_f64 v[0:1], v[0:1], v[4:5]
	v_add_f64 v[2:3], v[2:3], v[6:7]
	s_waitcnt lgkmcnt(2)
	v_add_f64 v[0:1], v[0:1], v[8:9]
	v_add_f64 v[4:5], v[2:3], v[10:11]
	s_waitcnt lgkmcnt(1)
	v_add_f64 v[6:7], v[0:1], v[12:13]
	ds_read_b128 v[0:3], v20 offset:64
	v_add_f64 v[4:5], v[4:5], v[14:15]
	s_waitcnt lgkmcnt(1)
	v_add_f64 v[8:9], v[6:7], v[16:17]
	v_add_f64 v[12:13], v[4:5], v[18:19]
	ds_read_b128 v[4:7], v20 offset:80
	s_waitcnt lgkmcnt(1)
	v_add_f64 v[14:15], v[8:9], v[0:1]
	ds_read_b128 v[8:11], v20 offset:96
	v_add_f64 v[12:13], v[12:13], v[2:3]
	ds_read_b128 v[0:3], v20 offset:112
	s_waitcnt lgkmcnt(2)
	v_add_f64 v[4:5], v[14:15], v[4:5]
	v_add_f64 v[6:7], v[12:13], v[6:7]
	s_waitcnt lgkmcnt(1)
	v_add_f64 v[4:5], v[4:5], v[8:9]
	v_add_f64 v[6:7], v[6:7], v[10:11]
	s_waitcnt lgkmcnt(0)
	v_add_f64 v[0:1], v[4:5], v[0:1]
	v_add_f64 v[2:3], v[6:7], v[2:3]
.LBB128_94:
	s_or_b64 exec, exec, s[8:9]
	s_load_dwordx2 s[4:5], s[4:5], 0x78
	s_mul_hi_u32 s8, s33, s7
	s_mul_i32 s44, s44, s7
	s_add_i32 s8, s8, s44
	s_mul_i32 s7, s33, s7
	s_mul_i32 s8, s8, s52
	s_mul_hi_u32 s9, s7, s52
	s_add_i32 s9, s9, s8
	s_mul_i32 s8, s7, s52
	s_lshl_b64 s[8:9], s[8:9], 4
	s_waitcnt lgkmcnt(0)
	s_add_u32 s7, s4, s8
	s_mul_i32 s4, s6, s33
	s_addc_u32 s8, s5, s9
	s_ashr_i32 s5, s4, 31
	s_lshl_b64 s[4:5], s[4:5], 4
	s_add_u32 s7, s7, s4
	v_cmp_le_i32_e32 vcc, s22, v42
	s_addc_u32 s14, s8, s5
	s_and_b64 vcc, s[28:29], vcc
	s_cmp_lt_i32 s6, 1
	v_lshlrev_b32_e32 v155, 4, v42
	s_barrier
	s_cbranch_scc1 .LBB128_101
; %bb.95:
	s_mul_i32 s4, s24, s49
	s_mul_hi_u32 s5, s24, s48
	s_add_i32 s4, s5, s4
	s_mul_i32 s5, s25, s48
	s_add_i32 s5, s4, s5
	s_mul_i32 s4, s24, s48
	s_lshl_b64 s[4:5], s[4:5], 4
	v_mov_b32_e32 v4, s5
	v_subrev_co_u32_e64 v156, s[4:5], s4, v36
	v_subb_co_u32_e64 v157, s[4:5], v37, v4, s[4:5]
	v_mov_b32_e32 v4, s27
	v_subrev_co_u32_e64 v5, s[4:5], s26, v40
	v_subb_co_u32_e64 v4, s[4:5], v41, v4, s[4:5]
	v_lshlrev_b32_e32 v7, 2, v154
	v_sub_co_u32_e64 v8, s[4:5], v5, v38
	v_subb_co_u32_e64 v9, s[4:5], v4, v39, s[4:5]
	v_mad_u64_u32 v[4:5], s[4:5], v7, s40, 0
	v_mov_b32_e32 v6, v5
	v_mad_u64_u32 v[6:7], s[4:5], v7, s41, v[6:7]
	v_mov_b32_e32 v5, v6
	v_lshlrev_b64 v[4:5], 4, v[4:5]
	v_add_co_u32_e64 v4, s[4:5], v8, v4
	v_addc_co_u32_e64 v5, s[4:5], v9, v5, s[4:5]
	s_ashr_i32 s23, s22, 31
	s_lshl_b64 s[4:5], s[22:23], 4
	v_mov_b32_e32 v6, s5
	v_add_co_u32_e64 v7, s[4:5], s4, v4
	v_addc_co_u32_e64 v6, s[4:5], v5, v6, s[4:5]
	s_movk_i32 s4, 0xfdf0
	v_add_co_u32_e64 v7, s[4:5], s4, v7
	v_addc_co_u32_e64 v6, s[4:5], -1, v6, s[4:5]
	v_add_co_u32_e64 v4, s[4:5], v4, v155
	v_addc_co_u32_e64 v5, s[4:5], 0, v5, s[4:5]
	s_movk_i32 s4, 0xfe00
	v_add_co_u32_e64 v4, s[4:5], s4, v4
	v_addc_co_u32_e64 v5, s[4:5], -1, v5, s[4:5]
	v_cndmask_b32_e32 v8, v4, v7, vcc
	v_and_b32_e32 v4, 48, v42
	v_and_b32_e32 v10, 15, v42
	v_cndmask_b32_e32 v9, v5, v6, vcc
	v_lshlrev_b32_e32 v5, 4, v4
	s_movk_i32 s8, 0x430
	v_mad_u32_u24 v160, v10, s8, v5
	v_or_b32_e32 v5, 0xf0, v155
	v_mad_u32_u24 v161, v10, s8, v5
	v_lshlrev_b32_e32 v5, 2, v43
	v_and_b32_e32 v5, 0x7ffc0, v5
	v_mad_u32_u24 v162, v10, s8, v5
	v_mov_b32_e32 v5, 0x4300
	v_lshl_add_u32 v163, v154, 6, v5
	s_movk_i32 s9, 0x10c0
	v_and_b32_e32 v5, 0x1fff0, v43
	v_mad_u32_u24 v164, v154, s9, v155
	v_mad_u32_u24 v165, v10, s8, v5
	s_mul_i32 s8, s41, 0xd0
	s_mul_hi_u32 s9, s40, 0xd0
	s_lshl_b64 s[10:11], s[40:41], 4
	s_add_i32 s15, s9, s8
	v_mov_b32_e32 v151, 0
	v_add_u32_e32 v158, 0x4300, v155
	v_add_u32_e32 v159, 0x4700, v155
	v_cmp_gt_u32_e64 s[4:5], 64, v43
	s_mul_i32 s16, s40, 0xd0
	v_or_b32_e32 v166, v4, v10
	s_mov_b32 s17, 0
	v_mov_b32_e32 v167, s11
	v_mov_b32_e32 v168, s15
	s_branch .LBB128_97
.LBB128_96:                             ;   in Loop: Header=BB128_97 Depth=1
	s_or_b64 exec, exec, s[12:13]
	v_mul_f64 v[132:133], v[6:7], v[22:23]
	v_fma_f64 v[132:133], v[4:5], v[20:21], -v[132:133]
	v_mul_f64 v[4:5], v[4:5], v[22:23]
	v_mul_f64 v[22:23], v[10:11], v[42:43]
	v_add_f64 v[0:1], v[0:1], v[132:133]
	v_fma_f64 v[22:23], v[8:9], v[40:41], -v[22:23]
	v_add_f64 v[0:1], v[0:1], v[22:23]
	v_mul_f64 v[22:23], v[14:15], v[46:47]
	v_fma_f64 v[22:23], v[12:13], v[44:45], -v[22:23]
	v_add_f64 v[0:1], v[0:1], v[22:23]
	v_mul_f64 v[22:23], v[18:19], v[50:51]
	v_fmac_f64_e32 v[4:5], v[6:7], v[20:21]
	v_fma_f64 v[22:23], v[16:17], v[48:49], -v[22:23]
	v_add_f64 v[2:3], v[2:3], v[4:5]
	v_mul_f64 v[4:5], v[26:27], v[70:71]
	v_add_f64 v[0:1], v[0:1], v[22:23]
	v_fma_f64 v[4:5], v[24:25], v[68:69], -v[4:5]
	v_add_f64 v[0:1], v[0:1], v[4:5]
	v_mul_f64 v[4:5], v[34:35], v[82:83]
	v_fma_f64 v[4:5], v[32:33], v[80:81], -v[4:5]
	v_add_f64 v[0:1], v[0:1], v[4:5]
	v_mul_f64 v[4:5], v[30:31], v[78:79]
	;; [unrolled: 3-line block ×4, first 2 shown]
	v_mul_f64 v[8:9], v[8:9], v[42:43]
	v_fma_f64 v[4:5], v[52:53], v[100:101], -v[4:5]
	v_mul_f64 v[12:13], v[12:13], v[46:47]
	v_fmac_f64_e32 v[8:9], v[10:11], v[40:41]
	v_add_f64 v[0:1], v[0:1], v[4:5]
	v_mul_f64 v[4:5], v[62:63], v[118:119]
	v_mul_f64 v[16:17], v[16:17], v[50:51]
	v_add_f64 v[2:3], v[2:3], v[8:9]
	v_fmac_f64_e32 v[12:13], v[14:15], v[44:45]
	v_fma_f64 v[4:5], v[60:61], v[116:117], -v[4:5]
	v_add_f64 v[2:3], v[2:3], v[12:13]
	v_fmac_f64_e32 v[16:17], v[18:19], v[48:49]
	v_mul_f64 v[6:7], v[24:25], v[70:71]
	v_add_f64 v[0:1], v[0:1], v[4:5]
	v_mul_f64 v[4:5], v[58:59], v[114:115]
	v_add_f64 v[2:3], v[2:3], v[16:17]
	v_mul_f64 v[8:9], v[32:33], v[82:83]
	v_fmac_f64_e32 v[6:7], v[26:27], v[68:69]
	v_fma_f64 v[4:5], v[56:57], v[112:113], -v[4:5]
	v_mul_f64 v[10:11], v[28:29], v[78:79]
	v_add_f64 v[2:3], v[2:3], v[6:7]
	v_fmac_f64_e32 v[8:9], v[34:35], v[80:81]
	v_add_f64 v[0:1], v[0:1], v[4:5]
	v_mul_f64 v[4:5], v[66:67], v[110:111]
	v_mul_f64 v[12:13], v[36:37], v[74:75]
	v_add_f64 v[2:3], v[2:3], v[8:9]
	v_fmac_f64_e32 v[10:11], v[30:31], v[76:77]
	v_fma_f64 v[4:5], v[64:65], v[108:109], -v[4:5]
	v_add_f64 v[2:3], v[2:3], v[10:11]
	v_fmac_f64_e32 v[12:13], v[38:39], v[72:73]
	v_mul_f64 v[6:7], v[52:53], v[102:103]
	v_add_f64 v[0:1], v[0:1], v[4:5]
	v_mul_f64 v[4:5], v[90:91], v[106:107]
	v_add_f64 v[2:3], v[2:3], v[12:13]
	v_mul_f64 v[8:9], v[60:61], v[118:119]
	v_fmac_f64_e32 v[6:7], v[54:55], v[100:101]
	v_fma_f64 v[4:5], v[88:89], v[104:105], -v[4:5]
	v_mul_f64 v[10:11], v[56:57], v[114:115]
	v_add_f64 v[2:3], v[2:3], v[6:7]
	v_fmac_f64_e32 v[8:9], v[62:63], v[116:117]
	v_add_f64 v[0:1], v[0:1], v[4:5]
	v_mul_f64 v[4:5], v[94:95], v[122:123]
	v_mul_f64 v[12:13], v[64:65], v[110:111]
	v_add_f64 v[2:3], v[2:3], v[8:9]
	v_fmac_f64_e32 v[10:11], v[58:59], v[112:113]
	v_fma_f64 v[4:5], v[92:93], v[120:121], -v[4:5]
	v_add_f64 v[2:3], v[2:3], v[10:11]
	v_fmac_f64_e32 v[12:13], v[66:67], v[108:109]
	v_mul_f64 v[6:7], v[88:89], v[106:107]
	v_add_f64 v[0:1], v[0:1], v[4:5]
	v_mul_f64 v[4:5], v[86:87], v[126:127]
	v_add_f64 v[2:3], v[2:3], v[12:13]
	v_mul_f64 v[8:9], v[92:93], v[122:123]
	v_fma_f64 v[4:5], v[84:85], v[124:125], -v[4:5]
	v_fmac_f64_e32 v[6:7], v[90:91], v[104:105]
	v_mul_f64 v[10:11], v[84:85], v[126:127]
	v_add_f64 v[0:1], v[0:1], v[4:5]
	v_mul_f64 v[4:5], v[98:99], v[130:131]
	v_fmac_f64_e32 v[8:9], v[94:95], v[120:121]
	v_add_f64 v[2:3], v[2:3], v[6:7]
	v_fma_f64 v[4:5], v[96:97], v[128:129], -v[4:5]
	v_mul_f64 v[12:13], v[96:97], v[130:131]
	v_fmac_f64_e32 v[10:11], v[86:87], v[124:125]
	v_add_f64 v[2:3], v[2:3], v[8:9]
	v_add_f64 v[0:1], v[0:1], v[4:5]
	v_fmac_f64_e32 v[12:13], v[98:99], v[128:129]
	v_add_f64 v[2:3], v[2:3], v[10:11]
	s_add_i32 s17, s17, 64
	s_add_i32 s6, s6, -1
	v_mov_b32_e32 v4, s15
	v_add_co_u32_e64 v8, s[8:9], s16, v152
	v_add_f64 v[2:3], v[2:3], v[12:13]
	s_cmp_eq_u32 s6, 0
	v_addc_co_u32_e64 v9, s[8:9], v153, v4, s[8:9]
	s_barrier
	s_cbranch_scc1 .LBB128_101
.LBB128_97:                             ; =>This Inner Loop Header: Depth=1
	s_and_saveexec_b64 s[12:13], s[2:3]
	s_cbranch_execz .LBB128_99
; %bb.98:                               ;   in Loop: Header=BB128_97 Depth=1
	s_mul_i32 s8, s17, s49
	s_mul_hi_u32 s9, s17, s48
	s_add_i32 s9, s9, s8
	s_mul_i32 s8, s17, s48
	s_lshl_b64 s[8:9], s[8:9], 4
	v_mov_b32_e32 v5, s9
	v_add_co_u32_e64 v4, s[8:9], s8, v156
	v_addc_co_u32_e64 v5, s[8:9], v157, v5, s[8:9]
	global_load_dwordx4 v[4:7], v[4:5], off
	s_waitcnt vmcnt(0)
	ds_write2_b64 v158, v[4:5], v[6:7] offset1:1
.LBB128_99:                             ;   in Loop: Header=BB128_97 Depth=1
	s_or_b64 exec, exec, s[12:13]
	v_add_co_u32_e64 v12, s[8:9], s10, v8
	v_addc_co_u32_e64 v13, s[8:9], v9, v167, s[8:9]
	v_add_co_u32_e64 v16, s[8:9], s10, v12
	s_waitcnt lgkmcnt(0)
	s_barrier
	global_load_dwordx4 v[4:7], v[8:9], off
	v_addc_co_u32_e64 v17, s[8:9], v13, v167, s[8:9]
	global_load_dwordx4 v[8:11], v[12:13], off
	v_add_co_u32_e64 v28, s[8:9], s10, v16
	global_load_dwordx4 v[12:15], v[16:17], off
	v_addc_co_u32_e64 v29, s[8:9], v17, v167, s[8:9]
	global_load_dwordx4 v[16:19], v[28:29], off
	ds_read_b128 v[24:27], v159
	ds_read_b128 v[20:23], v163
	v_add_co_u32_e64 v36, s[8:9], s16, v28
	v_addc_co_u32_e64 v37, s[8:9], v29, v168, s[8:9]
	v_add_co_u32_e64 v38, s[8:9], s10, v36
	v_addc_co_u32_e64 v39, s[8:9], v37, v167, s[8:9]
	;; [unrolled: 2-line block ×3, first 2 shown]
	s_waitcnt vmcnt(3) lgkmcnt(1)
	v_mul_f64 v[28:29], v[6:7], v[26:27]
	v_mul_f64 v[30:31], v[4:5], v[26:27]
	v_fma_f64 v[28:29], v[4:5], v[24:25], -v[28:29]
	v_fmac_f64_e32 v[30:31], v[6:7], v[24:25]
	s_waitcnt vmcnt(2)
	v_mul_f64 v[34:35], v[10:11], v[26:27]
	v_mul_f64 v[32:33], v[8:9], v[26:27]
	ds_write_b128 v164, v[28:31]
	v_fma_f64 v[30:31], v[8:9], v[24:25], -v[34:35]
	v_fmac_f64_e32 v[32:33], v[10:11], v[24:25]
	s_waitcnt vmcnt(1)
	v_mul_f64 v[28:29], v[14:15], v[26:27]
	v_mul_f64 v[34:35], v[12:13], v[26:27]
	ds_read_b128 v[40:43], v163 offset:16
	ds_write_b128 v164, v[30:33] offset:1072
	v_fma_f64 v[32:33], v[12:13], v[24:25], -v[28:29]
	v_fmac_f64_e32 v[34:35], v[14:15], v[24:25]
	s_waitcnt vmcnt(0)
	v_mul_f64 v[30:31], v[18:19], v[26:27]
	v_mul_f64 v[28:29], v[16:17], v[26:27]
	ds_read_b128 v[44:47], v163 offset:32
	ds_write_b128 v164, v[32:35] offset:2144
	v_fma_f64 v[26:27], v[16:17], v[24:25], -v[30:31]
	v_fmac_f64_e32 v[28:29], v[18:19], v[24:25]
	ds_read_b128 v[48:51], v163 offset:48
	ds_write_b128 v164, v[26:29] offset:3216
	s_waitcnt lgkmcnt(0)
	s_barrier
	ds_read_b128 v[128:131], v162
	ds_read_b128 v[124:127], v162 offset:16
	ds_read_b128 v[120:123], v162 offset:32
	;; [unrolled: 1-line block ×3, first 2 shown]
	s_waitcnt lgkmcnt(0)
	s_barrier
	global_load_dwordx4 v[24:27], v[36:37], off
	global_load_dwordx4 v[32:35], v[38:39], off
	;; [unrolled: 1-line block ×3, first 2 shown]
	v_add_co_u32_e64 v52, s[8:9], s10, v52
	v_addc_co_u32_e64 v53, s[8:9], v53, v167, s[8:9]
	global_load_dwordx4 v[36:39], v[52:53], off
	v_add_co_u32_e64 v66, s[8:9], s16, v52
	v_addc_co_u32_e64 v67, s[8:9], v53, v168, s[8:9]
	ds_read_b128 v[52:55], v159
	ds_read_b128 v[68:71], v163 offset:256
	v_add_co_u32_e64 v88, s[8:9], s10, v66
	v_addc_co_u32_e64 v89, s[8:9], v67, v167, s[8:9]
	v_add_co_u32_e64 v90, s[8:9], s10, v88
	v_addc_co_u32_e64 v91, s[8:9], v89, v167, s[8:9]
	v_add_f64 v[128:129], v[128:129], 0
	v_add_f64 v[130:131], v[130:131], 0
	;; [unrolled: 1-line block ×7, first 2 shown]
	s_waitcnt vmcnt(3) lgkmcnt(1)
	v_mul_f64 v[58:59], v[26:27], v[54:55]
	v_mul_f64 v[56:57], v[24:25], v[54:55]
	s_waitcnt vmcnt(2)
	v_mul_f64 v[62:63], v[34:35], v[54:55]
	v_mul_f64 v[60:61], v[32:33], v[54:55]
	s_waitcnt vmcnt(1)
	v_mul_f64 v[72:73], v[30:31], v[54:55]
	v_mul_f64 v[64:65], v[28:29], v[54:55]
	v_fmac_f64_e32 v[56:57], v[26:27], v[52:53]
	s_waitcnt vmcnt(0)
	v_mul_f64 v[74:75], v[38:39], v[54:55]
	v_mul_f64 v[86:87], v[36:37], v[54:55]
	v_fma_f64 v[54:55], v[24:25], v[52:53], -v[58:59]
	v_fma_f64 v[58:59], v[32:33], v[52:53], -v[62:63]
	v_fmac_f64_e32 v[60:61], v[34:35], v[52:53]
	ds_write_b128 v164, v[54:57]
	v_fma_f64 v[62:63], v[28:29], v[52:53], -v[72:73]
	v_fmac_f64_e32 v[64:65], v[30:31], v[52:53]
	ds_read_b128 v[80:83], v163 offset:272
	ds_write_b128 v164, v[58:61] offset:1072
	v_fma_f64 v[84:85], v[36:37], v[52:53], -v[74:75]
	v_fmac_f64_e32 v[86:87], v[38:39], v[52:53]
	ds_read_b128 v[76:79], v163 offset:288
	ds_write_b128 v164, v[62:65] offset:2144
	ds_read_b128 v[72:75], v163 offset:304
	ds_write_b128 v164, v[84:87] offset:3216
	v_add_co_u32_e64 v84, s[8:9], s10, v90
	v_addc_co_u32_e64 v85, s[8:9], v91, v167, s[8:9]
	s_waitcnt lgkmcnt(0)
	s_barrier
	ds_read_b128 v[144:147], v162
	ds_read_b128 v[140:143], v162 offset:16
	ds_read_b128 v[136:139], v162 offset:32
	;; [unrolled: 1-line block ×3, first 2 shown]
	s_waitcnt lgkmcnt(0)
	s_barrier
	global_load_dwordx4 v[52:55], v[66:67], off
	global_load_dwordx4 v[60:63], v[88:89], off
	;; [unrolled: 1-line block ×3, first 2 shown]
	v_add_co_u32_e64 v98, s[8:9], s16, v84
	global_load_dwordx4 v[64:67], v[84:85], off
	v_addc_co_u32_e64 v99, s[8:9], v85, v168, s[8:9]
	ds_read_b128 v[84:87], v159
	ds_read_b128 v[100:103], v163 offset:512
	v_add_co_u32_e64 v152, s[8:9], s10, v98
	v_addc_co_u32_e64 v153, s[8:9], v99, v167, s[8:9]
	v_add_co_u32_e64 v186, s[8:9], s10, v152
	v_addc_co_u32_e64 v187, s[8:9], v153, v167, s[8:9]
	v_add_f64 v[106:107], v[146:147], 0
	v_add_f64 v[106:107], v[106:107], v[142:143]
	;; [unrolled: 1-line block ×4, first 2 shown]
	s_waitcnt vmcnt(3) lgkmcnt(1)
	v_mul_f64 v[90:91], v[54:55], v[86:87]
	v_mul_f64 v[88:89], v[52:53], v[86:87]
	s_waitcnt vmcnt(2)
	v_mul_f64 v[94:95], v[62:63], v[86:87]
	v_mul_f64 v[92:93], v[60:61], v[86:87]
	s_waitcnt vmcnt(1)
	;; [unrolled: 3-line block ×3, first 2 shown]
	v_mul_f64 v[110:111], v[66:67], v[86:87]
	v_mul_f64 v[172:173], v[64:65], v[86:87]
	v_fma_f64 v[86:87], v[52:53], v[84:85], -v[90:91]
	v_fmac_f64_e32 v[88:89], v[54:55], v[84:85]
	v_fma_f64 v[90:91], v[60:61], v[84:85], -v[94:95]
	v_fmac_f64_e32 v[92:93], v[62:63], v[84:85]
	ds_write_b128 v164, v[86:89]
	v_fma_f64 v[94:95], v[56:57], v[84:85], -v[108:109]
	v_fmac_f64_e32 v[96:97], v[58:59], v[84:85]
	ds_read_b128 v[116:119], v163 offset:528
	ds_write_b128 v164, v[90:93] offset:1072
	v_fma_f64 v[170:171], v[64:65], v[84:85], -v[110:111]
	v_fmac_f64_e32 v[172:173], v[66:67], v[84:85]
	ds_read_b128 v[112:115], v163 offset:544
	ds_write_b128 v164, v[94:97] offset:2144
	ds_read_b128 v[108:111], v163 offset:560
	ds_write_b128 v164, v[170:173] offset:3216
	s_waitcnt lgkmcnt(0)
	s_barrier
	ds_read_b128 v[170:173], v162
	ds_read_b128 v[174:177], v162 offset:16
	ds_read_b128 v[178:181], v162 offset:32
	;; [unrolled: 1-line block ×3, first 2 shown]
	s_waitcnt lgkmcnt(0)
	s_barrier
	global_load_dwordx4 v[88:91], v[98:99], off
	global_load_dwordx4 v[92:95], v[152:153], off
	;; [unrolled: 1-line block ×3, first 2 shown]
	v_add_co_u32_e64 v152, s[8:9], s10, v186
	v_addc_co_u32_e64 v153, s[8:9], v187, v167, s[8:9]
	global_load_dwordx4 v[96:99], v[152:153], off
	v_add_f64 v[186:187], v[120:121], v[104:105]
	v_add_f64 v[104:105], v[144:145], 0
	;; [unrolled: 1-line block ×5, first 2 shown]
	ds_read_b128 v[120:123], v159
	ds_read_b128 v[104:107], v163 offset:768
	v_add_f64 v[124:125], v[170:171], 0
	v_add_f64 v[126:127], v[172:173], 0
	v_add_f64 v[124:125], v[124:125], v[174:175]
	v_add_f64 v[126:127], v[126:127], v[176:177]
	v_add_f64 v[124:125], v[124:125], v[178:179]
	v_add_f64 v[126:127], v[126:127], v[180:181]
	v_add_f64 v[136:137], v[124:125], v[182:183]
	v_add_f64 v[138:139], v[126:127], v[184:185]
	s_waitcnt vmcnt(3) lgkmcnt(1)
	v_mul_f64 v[126:127], v[90:91], v[122:123]
	v_mul_f64 v[124:125], v[88:89], v[122:123]
	s_waitcnt vmcnt(2)
	v_mul_f64 v[130:131], v[94:95], v[122:123]
	v_mul_f64 v[128:129], v[92:93], v[122:123]
	s_waitcnt vmcnt(1)
	v_mul_f64 v[140:141], v[86:87], v[122:123]
	v_mul_f64 v[142:143], v[84:85], v[122:123]
	v_fmac_f64_e32 v[124:125], v[90:91], v[120:121]
	s_waitcnt vmcnt(0)
	v_mul_f64 v[144:145], v[98:99], v[122:123]
	v_mul_f64 v[146:147], v[96:97], v[122:123]
	v_fma_f64 v[122:123], v[88:89], v[120:121], -v[126:127]
	v_fma_f64 v[126:127], v[92:93], v[120:121], -v[130:131]
	v_fmac_f64_e32 v[128:129], v[94:95], v[120:121]
	ds_write_b128 v164, v[122:125]
	v_fma_f64 v[140:141], v[84:85], v[120:121], -v[140:141]
	v_fma_f64 v[144:145], v[96:97], v[120:121], -v[144:145]
	v_fmac_f64_e32 v[142:143], v[86:87], v[120:121]
	v_fmac_f64_e32 v[146:147], v[98:99], v[120:121]
	ds_read_b128 v[120:123], v163 offset:784
	ds_write_b128 v164, v[126:129] offset:1072
	ds_read_b128 v[124:127], v163 offset:800
	ds_write_b128 v164, v[140:143] offset:2144
	;; [unrolled: 2-line block ×3, first 2 shown]
	s_waitcnt lgkmcnt(0)
	s_barrier
	ds_read_b128 v[140:143], v162
	ds_read_b128 v[144:147], v162 offset:16
	ds_read_b128 v[170:173], v162 offset:32
	;; [unrolled: 1-line block ×3, first 2 shown]
	s_waitcnt lgkmcnt(0)
	s_barrier
	ds_write_b128 v165, v[186:189]
	ds_write_b128 v165, v[132:135] offset:256
	ds_write_b128 v165, v[136:139] offset:512
	v_add_f64 v[132:133], v[140:141], 0
	v_add_f64 v[134:135], v[142:143], 0
	;; [unrolled: 1-line block ×8, first 2 shown]
	ds_write_b128 v165, v[132:135] offset:768
	s_waitcnt lgkmcnt(0)
	s_barrier
	s_and_saveexec_b64 s[12:13], s[4:5]
	s_cbranch_execz .LBB128_96
; %bb.100:                              ;   in Loop: Header=BB128_97 Depth=1
	ds_read_b128 v[132:135], v160
	ds_read_b128 v[136:139], v160 offset:16
	ds_read_b128 v[140:143], v160 offset:32
	;; [unrolled: 1-line block ×3, first 2 shown]
	v_add_u32_e32 v150, s17, v166
	s_waitcnt lgkmcnt(2)
	v_add_f64 v[132:133], v[136:137], v[132:133]
	v_add_f64 v[136:137], v[138:139], v[134:135]
	s_waitcnt lgkmcnt(1)
	v_add_f64 v[138:139], v[132:133], v[140:141]
	ds_read_b128 v[132:135], v160 offset:64
	v_add_f64 v[140:141], v[136:137], v[142:143]
	s_waitcnt lgkmcnt(1)
	v_add_f64 v[142:143], v[138:139], v[144:145]
	ds_read_b128 v[136:139], v160 offset:80
	;; [unrolled: 4-line block ×9, first 2 shown]
	v_add_f64 v[134:135], v[144:145], v[134:135]
	s_waitcnt lgkmcnt(1)
	v_add_f64 v[136:137], v[132:133], v[136:137]
	v_add_f64 v[144:145], v[134:135], v[138:139]
	ds_read_b128 v[132:135], v160 offset:208
	s_waitcnt lgkmcnt(1)
	v_add_f64 v[146:147], v[136:137], v[140:141]
	ds_read_b128 v[136:139], v160 offset:224
	v_add_f64 v[144:145], v[144:145], v[142:143]
	ds_read_b128 v[140:143], v161
	s_waitcnt lgkmcnt(2)
	v_add_f64 v[132:133], v[146:147], v[132:133]
	v_add_f64 v[134:135], v[144:145], v[134:135]
	s_waitcnt lgkmcnt(1)
	v_add_f64 v[132:133], v[132:133], v[136:137]
	v_lshlrev_b64 v[136:137], 4, v[150:151]
	v_add_f64 v[134:135], v[134:135], v[138:139]
	v_mov_b32_e32 v138, s14
	v_add_co_u32_e64 v136, s[8:9], s7, v136
	s_waitcnt lgkmcnt(0)
	v_add_f64 v[132:133], v[132:133], v[140:141]
	v_add_f64 v[134:135], v[134:135], v[142:143]
	v_addc_co_u32_e64 v137, s[8:9], v138, v137, s[8:9]
	global_store_dwordx4 v[136:137], v[132:135], off
	s_branch .LBB128_96
.LBB128_101:
	s_movk_i32 s2, 0x430
	s_or_b64 s[0:1], s[0:1], vcc
	v_mad_u32_u24 v4, v154, s2, v155
	s_xor_b64 s[0:1], s[0:1], -1
	ds_write_b128 v4, v[0:3]
	s_waitcnt lgkmcnt(0)
	s_barrier
	s_and_saveexec_b64 s[2:3], s[0:1]
	s_cbranch_execz .LBB128_103
; %bb.102:
	ds_read_b128 v[0:3], v155 offset:1072
	ds_read_b128 v[4:7], v155
	ds_read_b128 v[8:11], v155 offset:2144
	ds_read_b128 v[12:15], v155 offset:3216
	s_waitcnt lgkmcnt(2)
	v_add_f64 v[0:1], v[0:1], v[4:5]
	v_add_f64 v[2:3], v[2:3], v[6:7]
	v_lshlrev_b64 v[4:5], 4, v[148:149]
	s_waitcnt lgkmcnt(1)
	v_add_f64 v[0:1], v[0:1], v[8:9]
	v_add_f64 v[2:3], v[2:3], v[10:11]
	v_mov_b32_e32 v6, s14
	v_add_co_u32_e32 v4, vcc, s7, v4
	s_waitcnt lgkmcnt(0)
	v_add_f64 v[0:1], v[0:1], v[12:13]
	v_add_f64 v[2:3], v[2:3], v[14:15]
	v_addc_co_u32_e32 v5, vcc, v6, v5, vcc
	global_store_dwordx4 v[4:5], v[0:3], off
.LBB128_103:
	s_endpgm
	.section	.rodata,"a",@progbits
	.p2align	6, 0x0
	.amdhsa_kernel _ZL26rocblas_hemvn_kernel_lowerILb0ELi64ELi4ELi33ELi32ELi16El19rocblas_complex_numIdEPKS1_PS1_EviT6_lT7_lT5_lS6_lS7_lS5_lT8_i
		.amdhsa_group_segment_fixed_size 19200
		.amdhsa_private_segment_fixed_size 0
		.amdhsa_kernarg_size 392
		.amdhsa_user_sgpr_count 6
		.amdhsa_user_sgpr_private_segment_buffer 1
		.amdhsa_user_sgpr_dispatch_ptr 0
		.amdhsa_user_sgpr_queue_ptr 0
		.amdhsa_user_sgpr_kernarg_segment_ptr 1
		.amdhsa_user_sgpr_dispatch_id 0
		.amdhsa_user_sgpr_flat_scratch_init 0
		.amdhsa_user_sgpr_kernarg_preload_length 0
		.amdhsa_user_sgpr_kernarg_preload_offset 0
		.amdhsa_user_sgpr_private_segment_size 0
		.amdhsa_uses_dynamic_stack 0
		.amdhsa_system_sgpr_private_segment_wavefront_offset 0
		.amdhsa_system_sgpr_workgroup_id_x 1
		.amdhsa_system_sgpr_workgroup_id_y 0
		.amdhsa_system_sgpr_workgroup_id_z 1
		.amdhsa_system_sgpr_workgroup_info 0
		.amdhsa_system_vgpr_workitem_id 1
		.amdhsa_next_free_vgpr 190
		.amdhsa_next_free_sgpr 53
		.amdhsa_accum_offset 192
		.amdhsa_reserve_vcc 1
		.amdhsa_reserve_flat_scratch 0
		.amdhsa_float_round_mode_32 0
		.amdhsa_float_round_mode_16_64 0
		.amdhsa_float_denorm_mode_32 3
		.amdhsa_float_denorm_mode_16_64 3
		.amdhsa_dx10_clamp 1
		.amdhsa_ieee_mode 1
		.amdhsa_fp16_overflow 0
		.amdhsa_tg_split 0
		.amdhsa_exception_fp_ieee_invalid_op 0
		.amdhsa_exception_fp_denorm_src 0
		.amdhsa_exception_fp_ieee_div_zero 0
		.amdhsa_exception_fp_ieee_overflow 0
		.amdhsa_exception_fp_ieee_underflow 0
		.amdhsa_exception_fp_ieee_inexact 0
		.amdhsa_exception_int_div_zero 0
	.end_amdhsa_kernel
	.section	.text._ZL26rocblas_hemvn_kernel_lowerILb0ELi64ELi4ELi33ELi32ELi16El19rocblas_complex_numIdEPKS1_PS1_EviT6_lT7_lT5_lS6_lS7_lS5_lT8_i,"axG",@progbits,_ZL26rocblas_hemvn_kernel_lowerILb0ELi64ELi4ELi33ELi32ELi16El19rocblas_complex_numIdEPKS1_PS1_EviT6_lT7_lT5_lS6_lS7_lS5_lT8_i,comdat
.Lfunc_end128:
	.size	_ZL26rocblas_hemvn_kernel_lowerILb0ELi64ELi4ELi33ELi32ELi16El19rocblas_complex_numIdEPKS1_PS1_EviT6_lT7_lT5_lS6_lS7_lS5_lT8_i, .Lfunc_end128-_ZL26rocblas_hemvn_kernel_lowerILb0ELi64ELi4ELi33ELi32ELi16El19rocblas_complex_numIdEPKS1_PS1_EviT6_lT7_lT5_lS6_lS7_lS5_lT8_i
                                        ; -- End function
	.section	.AMDGPU.csdata,"",@progbits
; Kernel info:
; codeLenInByte = 9176
; NumSgprs: 57
; NumVgprs: 190
; NumAgprs: 0
; TotalNumVgprs: 190
; ScratchSize: 0
; MemoryBound: 0
; FloatMode: 240
; IeeeMode: 1
; LDSByteSize: 19200 bytes/workgroup (compile time only)
; SGPRBlocks: 7
; VGPRBlocks: 23
; NumSGPRsForWavesPerEU: 57
; NumVGPRsForWavesPerEU: 190
; AccumOffset: 192
; Occupancy: 2
; WaveLimiterHint : 0
; COMPUTE_PGM_RSRC2:SCRATCH_EN: 0
; COMPUTE_PGM_RSRC2:USER_SGPR: 6
; COMPUTE_PGM_RSRC2:TRAP_HANDLER: 0
; COMPUTE_PGM_RSRC2:TGID_X_EN: 1
; COMPUTE_PGM_RSRC2:TGID_Y_EN: 0
; COMPUTE_PGM_RSRC2:TGID_Z_EN: 1
; COMPUTE_PGM_RSRC2:TIDIG_COMP_CNT: 1
; COMPUTE_PGM_RSRC3_GFX90A:ACCUM_OFFSET: 47
; COMPUTE_PGM_RSRC3_GFX90A:TG_SPLIT: 0
	.section	.text._ZL26rocblas_hemvn_kernel_lowerILb0ELi64ELi4ELi33ELi32ELi16Ei19rocblas_complex_numIdEPKS1_PS1_EviT6_lT7_lT5_lS6_lS7_lS5_lT8_i,"axG",@progbits,_ZL26rocblas_hemvn_kernel_lowerILb0ELi64ELi4ELi33ELi32ELi16Ei19rocblas_complex_numIdEPKS1_PS1_EviT6_lT7_lT5_lS6_lS7_lS5_lT8_i,comdat
	.globl	_ZL26rocblas_hemvn_kernel_lowerILb0ELi64ELi4ELi33ELi32ELi16Ei19rocblas_complex_numIdEPKS1_PS1_EviT6_lT7_lT5_lS6_lS7_lS5_lT8_i ; -- Begin function _ZL26rocblas_hemvn_kernel_lowerILb0ELi64ELi4ELi33ELi32ELi16Ei19rocblas_complex_numIdEPKS1_PS1_EviT6_lT7_lT5_lS6_lS7_lS5_lT8_i
	.p2align	8
	.type	_ZL26rocblas_hemvn_kernel_lowerILb0ELi64ELi4ELi33ELi32ELi16Ei19rocblas_complex_numIdEPKS1_PS1_EviT6_lT7_lT5_lS6_lS7_lS5_lT8_i,@function
_ZL26rocblas_hemvn_kernel_lowerILb0ELi64ELi4ELi33ELi32ELi16Ei19rocblas_complex_numIdEPKS1_PS1_EviT6_lT7_lT5_lS6_lS7_lS5_lT8_i: ; @_ZL26rocblas_hemvn_kernel_lowerILb0ELi64ELi4ELi33ELi32ELi16Ei19rocblas_complex_numIdEPKS1_PS1_EviT6_lT7_lT5_lS6_lS7_lS5_lT8_i
; %bb.0:
	s_load_dwordx2 s[0:1], s[4:5], 0x94
	s_add_u32 s12, s4, 0x88
	s_addc_u32 s13, s5, 0
	s_waitcnt lgkmcnt(0)
	s_lshr_b32 s2, s0, 16
	s_and_b32 s0, s0, 0xffff
	s_and_b32 s1, s1, 0xffff
	s_mul_i32 s0, s2, s0
	s_mul_i32 s0, s0, s1
	s_cmpk_lg_i32 s0, 0x100
	s_cbranch_scc1 .LBB129_103
; %bb.1:
	s_load_dwordx4 s[16:19], s[4:5], 0x8
	s_load_dwordx4 s[0:3], s[4:5], 0x58
	s_load_dwordx2 s[10:11], s[4:5], 0x68
	s_waitcnt lgkmcnt(0)
	v_cmp_neq_f64_e64 s[8:9], s[16:17], 0
	v_cmp_neq_f64_e64 s[14:15], s[18:19], 0
	s_or_b64 s[8:9], s[8:9], s[14:15]
	s_mov_b64 s[14:15], -1
	s_and_b64 vcc, exec, s[8:9]
	s_cbranch_vccnz .LBB129_3
; %bb.2:
	v_cmp_neq_f64_e64 s[2:3], s[2:3], 1.0
	v_cmp_neq_f64_e64 s[10:11], s[10:11], 0
	s_or_b64 s[14:15], s[2:3], s[10:11]
.LBB129_3:
	s_andn2_b64 vcc, exec, s[14:15]
	s_cbranch_vccnz .LBB129_103
; %bb.4:
	s_andn2_b64 vcc, exec, s[8:9]
	s_cbranch_vccnz .LBB129_103
; %bb.5:
	s_load_dword s41, s[12:13], 0x0
	s_load_dword s40, s[4:5], 0x0
	s_load_dwordx4 s[8:11], s[4:5], 0x38
	s_load_dwordx2 s[2:3], s[4:5], 0x48
	s_load_dword s33, s[4:5], 0x50
	s_mul_i32 s1, s7, s1
	s_mul_hi_u32 s12, s7, s0
	s_add_i32 s1, s12, s1
	s_mul_i32 s0, s7, s0
	s_lshl_b64 s[0:1], s[0:1], 4
	s_waitcnt lgkmcnt(0)
	s_add_u32 s10, s10, s0
	s_addc_u32 s11, s11, s1
	s_lshl_b64 s[0:1], s[2:3], 4
	s_add_u32 s0, s10, s0
	s_addc_u32 s1, s11, s1
	v_and_b32_e32 v42, 0x3ff, v0
	s_lshl_b32 s24, s6, 6
	s_ashr_i32 s42, s40, 31
	s_lshr_b32 s3, s42, 26
	v_add_u32_e32 v148, s24, v42
	v_bfe_u32 v149, v0, 10, 10
	s_add_i32 s3, s40, s3
	v_mul_lo_u32 v0, v148, s33
	s_andn2_b32 s3, s3, 63
	v_ashrrev_i32_e32 v1, 31, v0
	s_add_i32 s2, s41, -1
	s_sub_i32 s3, s40, s3
	v_lshlrev_b64 v[0:1], 4, v[0:1]
	s_cmp_eq_u32 s6, s2
	v_mov_b32_e32 v2, s1
	v_add_co_u32_e32 v36, vcc, s0, v0
	s_cselect_b32 s22, s3, 0
	v_addc_co_u32_e32 v37, vcc, v2, v1, vcc
	v_cmp_ne_u32_e64 s[0:1], 0, v149
	v_cmp_eq_u32_e64 s[2:3], 0, v149
	s_and_saveexec_b64 s[10:11], s[2:3]
	s_cbranch_execz .LBB129_10
; %bb.6:
	s_cmp_lg_u32 s22, 0
	s_cselect_b64 s[12:13], -1, 0
	v_cmp_le_i32_e32 vcc, s22, v42
	v_mov_b32_e32 v0, 0x4700
	s_and_b64 s[12:13], s[12:13], vcc
	v_lshl_add_u32 v0, v42, 4, v0
	s_and_saveexec_b64 s[14:15], s[12:13]
	s_xor_b64 s[12:13], exec, s[14:15]
	s_cbranch_execz .LBB129_8
; %bb.7:
	v_mov_b32_e32 v2, 0
	v_mov_b32_e32 v3, v2
	;; [unrolled: 1-line block ×4, first 2 shown]
	ds_write_b128 v0, v[2:5]
                                        ; implicit-def: $vgpr0
.LBB129_8:
	s_andn2_saveexec_b64 s[12:13], s[12:13]
	s_cbranch_execz .LBB129_10
; %bb.9:
	global_load_dwordx4 v[2:5], v[36:37], off
	s_waitcnt vmcnt(0)
	ds_write2_b64 v0, v[2:3], v[4:5] offset1:1
.LBB129_10:
	s_or_b64 exec, exec, s[10:11]
	s_load_dwordx4 s[12:15], s[4:5], 0x20
	s_load_dword s26, s[4:5], 0x30
	s_mul_i32 s9, s7, s9
	s_mul_hi_u32 s10, s7, s8
	s_add_i32 s9, s10, s9
	s_mul_i32 s8, s7, s8
	s_lshl_b64 s[8:9], s[8:9], 4
	s_waitcnt lgkmcnt(0)
	s_add_u32 s10, s12, s8
	s_addc_u32 s11, s13, s9
	s_lshl_b64 s[8:9], s[14:15], 4
	s_add_u32 s10, s10, s8
	s_addc_u32 s11, s11, s9
	s_ashr_i32 s25, s24, 31
	v_lshl_add_u32 v43, v149, 6, v42
	s_lshl_b64 s[8:9], s[24:25], 4
	v_and_b32_e32 v4, 31, v42
	v_lshrrev_b32_e32 v5, 5, v43
	s_add_u32 s10, s10, s8
	s_addc_u32 s11, s11, s9
	v_mad_u64_u32 v[0:1], s[8:9], v5, s26, v[4:5]
	s_mul_i32 s8, s24, s26
	s_ashr_i32 s9, s8, 31
	s_lshl_b64 s[28:29], s[8:9], 4
	v_ashrrev_i32_e32 v1, 31, v0
	s_add_u32 s8, s28, s10
	v_lshlrev_b64 v[38:39], 4, v[0:1]
	s_addc_u32 s9, s29, s11
	v_mov_b32_e32 v0, s9
	v_add_co_u32_e32 v6, vcc, s8, v38
	s_cmp_lg_u32 s22, 0
	v_addc_co_u32_e32 v7, vcc, v0, v39, vcc
	s_cselect_b64 s[30:31], -1, 0
	s_cmp_eq_u32 s22, 0
	s_cselect_b64 s[34:35], -1, 0
	s_and_b64 vcc, exec, s[30:31]
	s_cbranch_vccnz .LBB129_12
; %bb.11:
	s_lshl_b32 s8, s26, 3
	s_ashr_i32 s9, s8, 31
	s_lshl_b64 s[8:9], s[8:9], 4
	v_mov_b32_e32 v8, s9
	v_add_co_u32_e32 v12, vcc, s8, v6
	s_ashr_i32 s27, s26, 31
	v_addc_co_u32_e32 v13, vcc, v7, v8, vcc
	s_lshl_b64 s[8:9], s[26:27], 7
	v_mov_b32_e32 v18, s9
	v_add_co_u32_e32 v16, vcc, s8, v12
	global_load_dwordx4 v[0:3], v[6:7], off
	global_load_dwordx4 v[8:11], v[12:13], off
	v_addc_co_u32_e32 v17, vcc, v13, v18, vcc
	global_load_dwordx4 v[12:15], v[16:17], off
	v_add_co_u32_e32 v16, vcc, s8, v16
	v_addc_co_u32_e32 v17, vcc, v17, v18, vcc
	global_load_dwordx4 v[16:19], v[16:17], off
	v_mul_u32_u24_e32 v20, 33, v5
	v_add_lshl_u32 v20, v20, v4, 4
	v_add_u32_e32 v21, 0x1080, v20
	v_add_u32_e32 v22, 0x2100, v20
	;; [unrolled: 1-line block ×3, first 2 shown]
	s_waitcnt vmcnt(3)
	ds_write2_b64 v20, v[0:1], v[2:3] offset1:1
	s_waitcnt vmcnt(2)
	ds_write2_b64 v21, v[8:9], v[10:11] offset1:1
	s_waitcnt vmcnt(1)
	ds_write2_b64 v22, v[12:13], v[14:15] offset1:1
	s_waitcnt vmcnt(0)
	ds_write2_b64 v23, v[16:17], v[18:19] offset1:1
	s_cbranch_execz .LBB129_13
	s_branch .LBB129_30
.LBB129_12:
.LBB129_13:
	v_lshlrev_b32_e32 v2, 4, v4
	v_sub_co_u32_e32 v0, vcc, v6, v2
	s_ashr_i32 s23, s22, 31
	v_subbrev_co_u32_e32 v1, vcc, 0, v7, vcc
	s_lshl_b64 s[10:11], s[22:23], 4
	v_mov_b32_e32 v3, s11
	v_add_co_u32_e32 v0, vcc, s10, v0
	v_addc_co_u32_e32 v1, vcc, v1, v3, vcc
	v_add_co_u32_e32 v0, vcc, -16, v0
	v_addc_co_u32_e32 v1, vcc, -1, v1, vcc
	v_cmp_gt_i32_e32 vcc, s22, v4
	v_mul_u32_u24_e32 v3, 33, v5
	v_cndmask_b32_e32 v1, v1, v7, vcc
	v_cndmask_b32_e32 v0, v0, v6, vcc
	v_cmp_le_i32_e64 s[8:9], s22, v5
	v_add_lshl_u32 v3, v3, v4, 4
	s_and_saveexec_b64 s[12:13], s[8:9]
	s_xor_b64 s[8:9], exec, s[12:13]
	s_cbranch_execz .LBB129_15
; %bb.14:
	v_mov_b32_e32 v8, 0
	v_mov_b32_e32 v9, v8
	;; [unrolled: 1-line block ×4, first 2 shown]
	ds_write_b128 v3, v[8:11]
.LBB129_15:
	s_andn2_saveexec_b64 s[8:9], s[8:9]
	s_cbranch_execz .LBB129_17
; %bb.16:
	global_load_dwordx4 v[8:11], v[0:1], off
	s_waitcnt vmcnt(0)
	ds_write2_b64 v3, v[8:9], v[10:11] offset1:1
.LBB129_17:
	s_or_b64 exec, exec, s[8:9]
	v_add_u32_e32 v8, 8, v5
	v_cmp_le_i32_e64 s[8:9], s22, v8
	s_and_saveexec_b64 s[12:13], s[8:9]
	s_xor_b64 s[8:9], exec, s[12:13]
	s_cbranch_execz .LBB129_19
; %bb.18:
	v_mul_u32_u24_e32 v8, 33, v8
	v_add_lshl_u32 v12, v8, v4, 4
	v_mov_b32_e32 v8, 0
	v_mov_b32_e32 v9, v8
	v_mov_b32_e32 v10, v8
	v_mov_b32_e32 v11, v8
	ds_write_b128 v12, v[8:11]
.LBB129_19:
	s_andn2_saveexec_b64 s[12:13], s[8:9]
	s_cbranch_execz .LBB129_21
; %bb.20:
	s_lshl_b32 s8, s26, 3
	s_ashr_i32 s9, s8, 31
	s_lshl_b64 s[8:9], s[8:9], 4
	v_mov_b32_e32 v9, s9
	v_add_co_u32_e64 v8, s[8:9], s8, v0
	v_addc_co_u32_e64 v9, s[8:9], v1, v9, s[8:9]
	global_load_dwordx4 v[8:11], v[8:9], off
	v_add_u32_e32 v12, 0x1080, v3
	s_waitcnt vmcnt(0)
	ds_write2_b64 v12, v[8:9], v[10:11] offset1:1
.LBB129_21:
	s_or_b64 exec, exec, s[12:13]
	v_add_u32_e32 v8, 16, v5
	v_cmp_le_i32_e64 s[8:9], s22, v8
	s_and_saveexec_b64 s[12:13], s[8:9]
	s_xor_b64 s[8:9], exec, s[12:13]
	s_cbranch_execz .LBB129_23
; %bb.22:
	v_mul_u32_u24_e32 v8, 33, v8
	v_add_lshl_u32 v12, v8, v4, 4
	v_mov_b32_e32 v8, 0
	v_mov_b32_e32 v9, v8
	;; [unrolled: 1-line block ×4, first 2 shown]
	ds_write_b128 v12, v[8:11]
.LBB129_23:
	s_andn2_saveexec_b64 s[12:13], s[8:9]
	s_cbranch_execz .LBB129_25
; %bb.24:
	s_lshl_b32 s8, s26, 4
	s_ashr_i32 s9, s8, 31
	s_lshl_b64 s[8:9], s[8:9], 4
	v_mov_b32_e32 v9, s9
	v_add_co_u32_e64 v8, s[8:9], s8, v0
	v_addc_co_u32_e64 v9, s[8:9], v1, v9, s[8:9]
	global_load_dwordx4 v[8:11], v[8:9], off
	v_add_u32_e32 v12, 0x2100, v3
	s_waitcnt vmcnt(0)
	ds_write2_b64 v12, v[8:9], v[10:11] offset1:1
.LBB129_25:
	s_or_b64 exec, exec, s[12:13]
	v_add_u32_e32 v8, 24, v5
	v_cmp_le_i32_e64 s[8:9], s22, v8
	s_and_saveexec_b64 s[12:13], s[8:9]
	s_xor_b64 s[8:9], exec, s[12:13]
	s_cbranch_execz .LBB129_27
; %bb.26:
	v_mov_b32_e32 v8, 0
	v_mov_b32_e32 v9, v8
	;; [unrolled: 1-line block ×4, first 2 shown]
	ds_write_b128 v3, v[8:11] offset:12672
                                        ; implicit-def: $vgpr3
.LBB129_27:
	s_andn2_saveexec_b64 s[12:13], s[8:9]
	s_cbranch_execz .LBB129_29
; %bb.28:
	s_mul_i32 s8, s26, 24
	s_ashr_i32 s9, s8, 31
	s_lshl_b64 s[8:9], s[8:9], 4
	v_mov_b32_e32 v9, s9
	v_add_co_u32_e64 v8, s[8:9], s8, v0
	v_addc_co_u32_e64 v9, s[8:9], v1, v9, s[8:9]
	global_load_dwordx4 v[8:11], v[8:9], off
	v_add_u32_e32 v3, 0x3180, v3
	s_waitcnt vmcnt(0)
	ds_write2_b64 v3, v[8:9], v[10:11] offset1:1
.LBB129_29:
	s_or_b64 exec, exec, s[12:13]
	v_add_co_u32_e64 v0, s[8:9], v0, v2
	v_addc_co_u32_e64 v1, s[8:9], 0, v1, s[8:9]
	v_mov_b32_e32 v2, s11
	v_subrev_co_u32_e64 v0, s[8:9], s10, v0
	v_subb_co_u32_e64 v1, s[8:9], v1, v2, s[8:9]
	v_add_co_u32_e64 v0, s[8:9], 16, v0
	v_addc_co_u32_e64 v1, s[8:9], 0, v1, s[8:9]
	v_cndmask_b32_e32 v7, v1, v7, vcc
	v_cndmask_b32_e32 v6, v0, v6, vcc
.LBB129_30:
	v_lshlrev_b32_e32 v0, 2, v5
	v_mul_u32_u24_e32 v44, 33, v4
	v_cmp_lt_u32_e64 s[8:9], v0, v4
	v_add_lshl_u32 v10, v0, v44, 4
	s_waitcnt lgkmcnt(0)
	s_barrier
	s_and_saveexec_b64 s[10:11], s[8:9]
	s_cbranch_execz .LBB129_32
; %bb.31:
	v_mul_u32_u24_e32 v1, 0x84, v5
	v_add_lshl_u32 v1, v1, v4, 4
	ds_read_b128 v[12:15], v1
	s_waitcnt lgkmcnt(0)
	ds_write_b128 v10, v[12:15]
.LBB129_32:
	s_or_b64 exec, exec, s[10:11]
	v_or_b32_e32 v1, 1, v0
	v_cmp_lt_u32_e64 s[10:11], v1, v4
	s_and_saveexec_b64 s[12:13], s[10:11]
	s_cbranch_execz .LBB129_34
; %bb.33:
	v_mul_u32_u24_e32 v1, 33, v1
	v_add_lshl_u32 v1, v1, v4, 4
	ds_read_b128 v[12:15], v1
	s_waitcnt lgkmcnt(0)
	ds_write_b128 v10, v[12:15] offset:16
.LBB129_34:
	s_or_b64 exec, exec, s[12:13]
	v_or_b32_e32 v1, 2, v0
	v_cmp_lt_u32_e64 s[12:13], v1, v4
	s_and_saveexec_b64 s[14:15], s[12:13]
	s_cbranch_execz .LBB129_36
; %bb.35:
	v_mul_u32_u24_e32 v1, 33, v1
	v_add_lshl_u32 v1, v1, v4, 4
	ds_read_b128 v[12:15], v1
	s_waitcnt lgkmcnt(0)
	ds_write_b128 v10, v[12:15] offset:32
.LBB129_36:
	s_or_b64 exec, exec, s[14:15]
	v_or_b32_e32 v1, 3, v0
	v_cmp_lt_u32_e64 s[14:15], v1, v4
	v_mad_u32_u24 v1, v1, 33, v4
	v_lshlrev_b32_e32 v11, 4, v1
	s_and_saveexec_b64 s[16:17], s[14:15]
	s_cbranch_execz .LBB129_38
; %bb.37:
	ds_read_b128 v[12:15], v11
	s_waitcnt lgkmcnt(0)
	ds_write_b128 v10, v[12:15] offset:48
.LBB129_38:
	s_or_b64 exec, exec, s[16:17]
	v_mul_u32_u24_e32 v1, 0x84, v5
	v_lshlrev_b32_e32 v14, 4, v0
	s_waitcnt lgkmcnt(0)
	s_barrier
	v_add_lshl_u32 v13, v1, v4, 4
	ds_read_b128 v[0:3], v14 offset:18176
	ds_read_b128 v[16:19], v13
	ds_read_b128 v[20:23], v14 offset:18192
	ds_read_b128 v[24:27], v14 offset:18208
	v_add_u32_e32 v12, 0xfffffbe0, v11
	ds_read_b128 v[28:31], v12
	ds_read_b128 v[32:35], v12 offset:528
	s_waitcnt lgkmcnt(4)
	v_mul_f64 v[8:9], v[2:3], v[18:19]
	v_fma_f64 v[8:9], v[0:1], v[16:17], -v[8:9]
	v_mul_f64 v[0:1], v[0:1], v[18:19]
	v_fmac_f64_e32 v[0:1], v[2:3], v[16:17]
	s_waitcnt lgkmcnt(1)
	v_mul_f64 v[16:17], v[20:21], v[30:31]
	v_add_f64 v[2:3], v[8:9], 0
	v_add_f64 v[0:1], v[0:1], 0
	v_mul_f64 v[8:9], v[22:23], v[30:31]
	v_fmac_f64_e32 v[16:17], v[22:23], v[28:29]
	v_fma_f64 v[8:9], v[20:21], v[28:29], -v[8:9]
	v_add_f64 v[20:21], v[0:1], v[16:17]
	s_waitcnt lgkmcnt(0)
	v_mul_f64 v[0:1], v[26:27], v[34:35]
	v_add_f64 v[8:9], v[2:3], v[8:9]
	v_fma_f64 v[22:23], v[24:25], v[32:33], -v[0:1]
	ds_read_b128 v[0:3], v14 offset:18224
	ds_read_b128 v[16:19], v11
	v_mul_f64 v[24:25], v[24:25], v[34:35]
	v_fmac_f64_e32 v[24:25], v[26:27], v[32:33]
	v_add_f64 v[8:9], v[8:9], v[22:23]
	v_add_f64 v[20:21], v[20:21], v[24:25]
	s_waitcnt lgkmcnt(0)
	v_mul_f64 v[22:23], v[2:3], v[18:19]
	v_mul_f64 v[18:19], v[0:1], v[18:19]
	v_fma_f64 v[22:23], v[0:1], v[16:17], -v[22:23]
	v_fmac_f64_e32 v[18:19], v[2:3], v[16:17]
	v_add_f64 v[0:1], v[8:9], v[22:23]
	v_add_f64 v[2:3], v[20:21], v[18:19]
	v_add_lshl_u32 v45, v5, v44, 4
	s_barrier
	ds_write_b128 v45, v[0:3]
	v_pk_mov_b32 v[0:1], 0, 0
	v_cmp_gt_u32_e64 s[20:21], 32, v43
	v_pk_mov_b32 v[2:3], v[0:1], v[0:1] op_sel:[0,1]
	s_waitcnt lgkmcnt(0)
	s_barrier
	s_and_saveexec_b64 s[16:17], s[20:21]
	s_cbranch_execz .LBB129_40
; %bb.39:
	v_lshlrev_b32_e32 v15, 4, v44
	ds_read_b128 v[0:3], v15
	ds_read_b128 v[16:19], v15 offset:16
	ds_read_b128 v[20:23], v15 offset:32
	ds_read_b128 v[24:27], v15 offset:48
	s_waitcnt lgkmcnt(2)
	v_add_f64 v[0:1], v[16:17], v[0:1]
	v_add_f64 v[8:9], v[18:19], v[2:3]
	s_waitcnt lgkmcnt(1)
	v_add_f64 v[16:17], v[0:1], v[20:21]
	ds_read_b128 v[0:3], v15 offset:64
	v_add_f64 v[8:9], v[8:9], v[22:23]
	s_waitcnt lgkmcnt(1)
	v_add_f64 v[20:21], v[16:17], v[24:25]
	ds_read_b128 v[16:19], v15 offset:80
	;; [unrolled: 4-line block ×3, first 2 shown]
	v_add_f64 v[8:9], v[8:9], v[2:3]
	ds_read_b128 v[0:3], v15 offset:112
	s_waitcnt lgkmcnt(2)
	v_add_f64 v[16:17], v[24:25], v[16:17]
	v_add_f64 v[8:9], v[8:9], v[18:19]
	s_waitcnt lgkmcnt(1)
	v_add_f64 v[16:17], v[16:17], v[20:21]
	v_add_f64 v[8:9], v[8:9], v[22:23]
	;; [unrolled: 3-line block ×3, first 2 shown]
.LBB129_40:
	s_or_b64 exec, exec, s[16:17]
	s_lshl_b32 s16, s26, 5
	s_ashr_i32 s17, s16, 31
	s_lshl_b64 s[36:37], s[16:17], 4
	v_mov_b32_e32 v9, s37
	v_add_co_u32_e32 v8, vcc, s36, v6
	v_addc_co_u32_e32 v9, vcc, v7, v9, vcc
	v_add_co_u32_e32 v6, vcc, 0x200, v8
	v_cndmask_b32_e64 v7, 0, 1, s[34:35]
	s_mov_b64 s[18:19], vcc
	v_cmp_ne_u32_e64 s[16:17], 1, v7
	s_andn2_b64 vcc, exec, s[34:35]
	v_addc_co_u32_e64 v7, s[18:19], 0, v9, s[18:19]
	s_barrier
	s_cbranch_vccnz .LBB129_42
; %bb.41:
	s_lshl_b32 s18, s26, 3
	s_ashr_i32 s19, s18, 31
	s_lshl_b64 s[18:19], s[18:19], 4
	v_mov_b32_e32 v15, s19
	v_add_co_u32_e32 v8, vcc, s18, v8
	s_ashr_i32 s27, s26, 31
	v_addc_co_u32_e32 v9, vcc, v9, v15, vcc
	s_lshl_b64 s[18:19], s[26:27], 7
	v_mov_b32_e32 v15, s19
	v_add_co_u32_e32 v28, vcc, s18, v8
	global_load_dwordx4 v[16:19], v[6:7], off
	v_addc_co_u32_e32 v29, vcc, v9, v15, vcc
	global_load_dwordx4 v[20:23], v[8:9], off offset:512
	global_load_dwordx4 v[24:27], v[28:29], off offset:512
	v_add_co_u32_e32 v8, vcc, s18, v28
	v_addc_co_u32_e32 v9, vcc, v29, v15, vcc
	global_load_dwordx4 v[28:31], v[8:9], off offset:512
	v_mul_u32_u24_e32 v8, 33, v5
	v_add_lshl_u32 v8, v8, v4, 4
	v_add_u32_e32 v9, 0x1080, v8
	v_add_u32_e32 v15, 0x2100, v8
	;; [unrolled: 1-line block ×3, first 2 shown]
	s_waitcnt vmcnt(3)
	ds_write2_b64 v8, v[16:17], v[18:19] offset1:1
	s_waitcnt vmcnt(2)
	ds_write2_b64 v9, v[20:21], v[22:23] offset1:1
	;; [unrolled: 2-line block ×4, first 2 shown]
	s_cbranch_execz .LBB129_43
	s_branch .LBB129_60
.LBB129_42:
.LBB129_43:
	v_lshlrev_b32_e32 v15, 4, v4
	v_sub_co_u32_e32 v9, vcc, v6, v15
	s_ashr_i32 s23, s22, 31
	v_subbrev_co_u32_e32 v16, vcc, 0, v7, vcc
	s_lshl_b64 s[34:35], s[22:23], 4
	v_mov_b32_e32 v17, s35
	v_add_co_u32_e32 v9, vcc, s34, v9
	v_addc_co_u32_e32 v16, vcc, v16, v17, vcc
	v_or_b32_e32 v8, 32, v4
	v_add_co_u32_e32 v17, vcc, 0xfffffdf0, v9
	v_addc_co_u32_e32 v9, vcc, -1, v16, vcc
	v_cmp_gt_i32_e64 s[18:19], s22, v8
	s_sub_i32 s23, s22, 32
	v_mul_u32_u24_e32 v16, 33, v5
	v_cndmask_b32_e64 v9, v9, v7, s[18:19]
	v_cndmask_b32_e64 v8, v17, v6, s[18:19]
	v_cmp_le_i32_e32 vcc, s23, v5
	v_add_lshl_u32 v16, v16, v4, 4
	s_and_saveexec_b64 s[38:39], vcc
	s_xor_b64 s[38:39], exec, s[38:39]
	s_cbranch_execz .LBB129_45
; %bb.44:
	v_mov_b32_e32 v18, 0
	v_mov_b32_e32 v19, v18
	;; [unrolled: 1-line block ×4, first 2 shown]
	ds_write_b128 v16, v[18:21]
.LBB129_45:
	s_andn2_saveexec_b64 s[38:39], s[38:39]
	s_cbranch_execz .LBB129_47
; %bb.46:
	global_load_dwordx4 v[18:21], v[8:9], off
	s_waitcnt vmcnt(0)
	ds_write2_b64 v16, v[18:19], v[20:21] offset1:1
.LBB129_47:
	s_or_b64 exec, exec, s[38:39]
	v_add_u32_e32 v17, 8, v5
	v_cmp_le_i32_e32 vcc, s23, v17
	s_and_saveexec_b64 s[38:39], vcc
	s_xor_b64 s[38:39], exec, s[38:39]
	s_cbranch_execz .LBB129_49
; %bb.48:
	v_mul_u32_u24_e32 v17, 33, v17
	v_mov_b32_e32 v18, 0
	v_add_lshl_u32 v17, v17, v4, 4
	v_mov_b32_e32 v19, v18
	v_mov_b32_e32 v20, v18
	;; [unrolled: 1-line block ×3, first 2 shown]
	ds_write_b128 v17, v[18:21]
.LBB129_49:
	s_andn2_saveexec_b64 s[38:39], s[38:39]
	s_cbranch_execz .LBB129_51
; %bb.50:
	s_lshl_b32 s44, s26, 3
	s_ashr_i32 s45, s44, 31
	s_lshl_b64 s[44:45], s[44:45], 4
	v_mov_b32_e32 v17, s45
	v_add_co_u32_e32 v18, vcc, s44, v8
	v_addc_co_u32_e32 v19, vcc, v9, v17, vcc
	global_load_dwordx4 v[18:21], v[18:19], off
	v_add_u32_e32 v17, 0x1080, v16
	s_waitcnt vmcnt(0)
	ds_write2_b64 v17, v[18:19], v[20:21] offset1:1
.LBB129_51:
	s_or_b64 exec, exec, s[38:39]
	v_add_u32_e32 v17, 16, v5
	v_cmp_le_i32_e32 vcc, s23, v17
	s_and_saveexec_b64 s[38:39], vcc
	s_xor_b64 s[38:39], exec, s[38:39]
	s_cbranch_execz .LBB129_53
; %bb.52:
	v_mul_u32_u24_e32 v17, 33, v17
	v_mov_b32_e32 v18, 0
	v_add_lshl_u32 v17, v17, v4, 4
	v_mov_b32_e32 v19, v18
	v_mov_b32_e32 v20, v18
	v_mov_b32_e32 v21, v18
	ds_write_b128 v17, v[18:21]
.LBB129_53:
	s_andn2_saveexec_b64 s[38:39], s[38:39]
	s_cbranch_execz .LBB129_55
; %bb.54:
	s_lshl_b32 s44, s26, 4
	s_ashr_i32 s45, s44, 31
	s_lshl_b64 s[44:45], s[44:45], 4
	v_mov_b32_e32 v17, s45
	v_add_co_u32_e32 v18, vcc, s44, v8
	v_addc_co_u32_e32 v19, vcc, v9, v17, vcc
	global_load_dwordx4 v[18:21], v[18:19], off
	v_add_u32_e32 v17, 0x2100, v16
	s_waitcnt vmcnt(0)
	ds_write2_b64 v17, v[18:19], v[20:21] offset1:1
.LBB129_55:
	s_or_b64 exec, exec, s[38:39]
	v_add_u32_e32 v17, 24, v5
	v_cmp_le_i32_e32 vcc, s23, v17
	s_and_saveexec_b64 s[38:39], vcc
	s_xor_b64 s[38:39], exec, s[38:39]
	s_cbranch_execz .LBB129_57
; %bb.56:
	v_mov_b32_e32 v18, 0
	v_mov_b32_e32 v19, v18
	;; [unrolled: 1-line block ×4, first 2 shown]
	ds_write_b128 v16, v[18:21] offset:12672
                                        ; implicit-def: $vgpr16
.LBB129_57:
	s_andn2_saveexec_b64 s[38:39], s[38:39]
	s_cbranch_execz .LBB129_59
; %bb.58:
	s_mul_i32 s44, s26, 24
	s_ashr_i32 s45, s44, 31
	s_lshl_b64 s[44:45], s[44:45], 4
	v_mov_b32_e32 v17, s45
	v_add_co_u32_e32 v18, vcc, s44, v8
	v_addc_co_u32_e32 v19, vcc, v9, v17, vcc
	global_load_dwordx4 v[18:21], v[18:19], off
	v_add_u32_e32 v16, 0x3180, v16
	s_waitcnt vmcnt(0)
	ds_write2_b64 v16, v[18:19], v[20:21] offset1:1
.LBB129_59:
	s_or_b64 exec, exec, s[38:39]
	v_add_co_u32_e32 v8, vcc, v8, v15
	v_addc_co_u32_e32 v9, vcc, 0, v9, vcc
	v_mov_b32_e32 v15, s35
	v_subrev_co_u32_e32 v8, vcc, s34, v8
	v_subb_co_u32_e32 v9, vcc, v9, v15, vcc
	v_add_co_u32_e32 v8, vcc, 0x210, v8
	v_addc_co_u32_e32 v9, vcc, 0, v9, vcc
	v_cndmask_b32_e64 v7, v9, v7, s[18:19]
	v_cndmask_b32_e64 v6, v8, v6, s[18:19]
.LBB129_60:
	v_add_u32_e32 v8, 0x4700, v14
	v_add_u32_e32 v9, 0x210, v12
	s_waitcnt lgkmcnt(0)
	s_barrier
	s_and_saveexec_b64 s[18:19], s[8:9]
	s_cbranch_execnz .LBB129_69
; %bb.61:
	s_or_b64 exec, exec, s[18:19]
	s_and_saveexec_b64 s[8:9], s[10:11]
	s_cbranch_execnz .LBB129_70
.LBB129_62:
	s_or_b64 exec, exec, s[8:9]
	s_and_saveexec_b64 s[8:9], s[12:13]
	s_cbranch_execnz .LBB129_71
.LBB129_63:
	s_or_b64 exec, exec, s[8:9]
	s_and_saveexec_b64 s[8:9], s[14:15]
	s_cbranch_execz .LBB129_65
.LBB129_64:
	ds_read_b128 v[14:17], v11
	s_waitcnt lgkmcnt(0)
	ds_write_b128 v10, v[14:17] offset:48
.LBB129_65:
	s_or_b64 exec, exec, s[8:9]
	s_waitcnt lgkmcnt(0)
	s_barrier
	ds_read_b128 v[14:17], v8 offset:512
	ds_read_b128 v[18:21], v13
	ds_read_b128 v[22:25], v8 offset:528
	ds_read_b128 v[26:29], v8 offset:544
	v_cmp_eq_u32_e64 s[8:9], 1, v5
	s_waitcnt lgkmcnt(2)
	v_mul_f64 v[30:31], v[16:17], v[20:21]
	v_fma_f64 v[34:35], v[14:15], v[18:19], -v[30:31]
	ds_read_b128 v[30:33], v8 offset:560
	ds_read_b128 v[46:49], v12
	v_mul_f64 v[14:15], v[14:15], v[20:21]
	v_fmac_f64_e32 v[14:15], v[16:17], v[18:19]
	v_add_f64 v[18:19], v[14:15], 0
	v_add_f64 v[16:17], v[34:35], 0
	s_waitcnt lgkmcnt(0)
	v_mul_f64 v[14:15], v[24:25], v[48:49]
	v_fma_f64 v[20:21], v[22:23], v[46:47], -v[14:15]
	v_mul_f64 v[22:23], v[22:23], v[48:49]
	ds_read_b128 v[12:15], v12 offset:528
	v_fmac_f64_e32 v[22:23], v[24:25], v[46:47]
	v_add_f64 v[20:21], v[16:17], v[20:21]
	v_add_f64 v[22:23], v[18:19], v[22:23]
	ds_read_b128 v[16:19], v11
	s_waitcnt lgkmcnt(1)
	v_mul_f64 v[24:25], v[28:29], v[14:15]
	v_fma_f64 v[24:25], v[26:27], v[12:13], -v[24:25]
	v_mul_f64 v[14:15], v[26:27], v[14:15]
	v_fmac_f64_e32 v[14:15], v[28:29], v[12:13]
	v_add_f64 v[12:13], v[20:21], v[24:25]
	s_waitcnt lgkmcnt(0)
	v_mul_f64 v[20:21], v[32:33], v[18:19]
	v_mul_f64 v[18:19], v[30:31], v[18:19]
	v_add_f64 v[14:15], v[22:23], v[14:15]
	v_fma_f64 v[20:21], v[30:31], v[16:17], -v[20:21]
	v_fmac_f64_e32 v[18:19], v[32:33], v[16:17]
	v_add_f64 v[12:13], v[12:13], v[20:21]
	v_add_f64 v[14:15], v[14:15], v[18:19]
	s_barrier
	ds_write_b128 v45, v[12:15]
	s_waitcnt lgkmcnt(0)
	s_barrier
	s_and_saveexec_b64 s[10:11], s[8:9]
	s_cbranch_execz .LBB129_67
; %bb.66:
	v_lshlrev_b32_e32 v9, 4, v44
	ds_read_b128 v[0:3], v9
	ds_read_b128 v[12:15], v9 offset:16
	ds_read_b128 v[16:19], v9 offset:32
	;; [unrolled: 1-line block ×3, first 2 shown]
	s_waitcnt lgkmcnt(2)
	v_add_f64 v[0:1], v[12:13], v[0:1]
	v_add_f64 v[12:13], v[14:15], v[2:3]
	s_waitcnt lgkmcnt(1)
	v_add_f64 v[14:15], v[0:1], v[16:17]
	ds_read_b128 v[0:3], v9 offset:64
	v_add_f64 v[12:13], v[12:13], v[18:19]
	s_waitcnt lgkmcnt(1)
	v_add_f64 v[16:17], v[14:15], v[20:21]
	v_add_f64 v[20:21], v[12:13], v[22:23]
	ds_read_b128 v[12:15], v9 offset:80
	s_waitcnt lgkmcnt(1)
	v_add_f64 v[22:23], v[16:17], v[0:1]
	ds_read_b128 v[16:19], v9 offset:96
	v_add_f64 v[20:21], v[20:21], v[2:3]
	ds_read_b128 v[0:3], v9 offset:112
	s_waitcnt lgkmcnt(2)
	v_add_f64 v[12:13], v[22:23], v[12:13]
	v_add_f64 v[14:15], v[20:21], v[14:15]
	s_waitcnt lgkmcnt(1)
	v_add_f64 v[12:13], v[12:13], v[16:17]
	v_add_f64 v[14:15], v[14:15], v[18:19]
	;; [unrolled: 3-line block ×3, first 2 shown]
.LBB129_67:
	s_or_b64 exec, exec, s[10:11]
	v_mov_b32_e32 v9, s37
	v_subrev_co_u32_e64 v40, s[10:11], s36, v6
	s_and_b64 vcc, exec, s[16:17]
	v_subb_co_u32_e64 v41, s[10:11], v7, v9, s[10:11]
	s_barrier
	s_cbranch_vccnz .LBB129_72
; %bb.68:
	s_lshl_b32 s10, s26, 3
	s_ashr_i32 s11, s10, 31
	s_lshl_b64 s[10:11], s[10:11], 4
	v_mov_b32_e32 v7, s11
	v_add_co_u32_e32 v6, vcc, s10, v40
	s_ashr_i32 s27, s26, 31
	v_addc_co_u32_e32 v7, vcc, v41, v7, vcc
	s_lshl_b64 s[10:11], s[26:27], 7
	global_load_dwordx4 v[16:19], v[40:41], off
	global_load_dwordx4 v[20:23], v[6:7], off
	v_mov_b32_e32 v9, s11
	v_add_co_u32_e32 v6, vcc, s10, v6
	v_addc_co_u32_e32 v7, vcc, v7, v9, vcc
	v_add_co_u32_e32 v12, vcc, s10, v6
	v_addc_co_u32_e32 v13, vcc, v7, v9, vcc
	global_load_dwordx4 v[24:27], v[6:7], off
	global_load_dwordx4 v[28:31], v[12:13], off
	v_mad_u32_u24 v9, v5, 33, v4
	v_add_u32_e32 v11, 8, v5
	v_add_u32_e32 v12, 16, v5
	;; [unrolled: 1-line block ×3, first 2 shown]
	v_lshlrev_b32_e32 v15, 4, v9
	v_add_u32_e32 v7, 0x108, v9
	v_add_u32_e32 v6, 0x210, v9
	;; [unrolled: 1-line block ×6, first 2 shown]
	s_waitcnt vmcnt(3)
	ds_write2_b64 v15, v[16:17], v[18:19] offset1:1
	s_waitcnt vmcnt(2)
	ds_write2_b64 v32, v[20:21], v[22:23] offset1:1
	;; [unrolled: 2-line block ×4, first 2 shown]
	s_cbranch_execz .LBB129_73
	s_branch .LBB129_90
.LBB129_69:
	ds_read_b128 v[14:17], v13
	s_waitcnt lgkmcnt(0)
	ds_write_b128 v10, v[14:17]
	s_or_b64 exec, exec, s[18:19]
	s_and_saveexec_b64 s[8:9], s[10:11]
	s_cbranch_execz .LBB129_62
.LBB129_70:
	ds_read_b128 v[14:17], v12
	s_waitcnt lgkmcnt(0)
	ds_write_b128 v10, v[14:17] offset:16
	s_or_b64 exec, exec, s[8:9]
	s_and_saveexec_b64 s[8:9], s[12:13]
	s_cbranch_execz .LBB129_63
.LBB129_71:
	ds_read_b128 v[14:17], v9
	s_waitcnt lgkmcnt(0)
	ds_write_b128 v10, v[14:17] offset:32
	s_or_b64 exec, exec, s[8:9]
	s_and_saveexec_b64 s[8:9], s[14:15]
	s_cbranch_execnz .LBB129_64
	s_branch .LBB129_65
.LBB129_72:
                                        ; implicit-def: $vgpr9
                                        ; implicit-def: $vgpr11
                                        ; implicit-def: $vgpr7
                                        ; implicit-def: $vgpr12
                                        ; implicit-def: $vgpr6
                                        ; implicit-def: $vgpr13
                                        ; implicit-def: $vgpr14
.LBB129_73:
	v_lshlrev_b32_e32 v15, 4, v4
	v_sub_co_u32_e32 v7, vcc, v40, v15
	s_ashr_i32 s23, s22, 31
	v_subbrev_co_u32_e32 v9, vcc, 0, v41, vcc
	s_lshl_b64 s[12:13], s[22:23], 4
	v_mov_b32_e32 v11, s13
	v_add_co_u32_e32 v7, vcc, s12, v7
	v_addc_co_u32_e32 v9, vcc, v9, v11, vcc
	v_or_b32_e32 v6, 32, v4
	v_add_co_u32_e32 v11, vcc, 0xfffffdf0, v7
	v_addc_co_u32_e32 v7, vcc, -1, v9, vcc
	v_cmp_gt_i32_e64 s[10:11], s22, v6
	v_mad_u32_u24 v9, v5, 33, v4
	v_cndmask_b32_e64 v7, v7, v41, s[10:11]
	v_cndmask_b32_e64 v6, v11, v40, s[10:11]
	v_cmp_le_i32_e32 vcc, s22, v5
	v_lshlrev_b32_e32 v16, 4, v9
	s_and_saveexec_b64 s[14:15], vcc
	s_xor_b64 s[14:15], exec, s[14:15]
	s_cbranch_execz .LBB129_75
; %bb.74:
	v_mov_b32_e32 v18, 0
	v_mov_b32_e32 v19, v18
	;; [unrolled: 1-line block ×4, first 2 shown]
	ds_write_b128 v16, v[18:21]
.LBB129_75:
	s_andn2_saveexec_b64 s[14:15], s[14:15]
	s_cbranch_execz .LBB129_77
; %bb.76:
	global_load_dwordx4 v[18:21], v[6:7], off
	s_waitcnt vmcnt(0)
	ds_write2_b64 v16, v[18:19], v[20:21] offset1:1
.LBB129_77:
	s_or_b64 exec, exec, s[14:15]
	v_add_u32_e32 v11, 8, v5
	v_cmp_le_i32_e32 vcc, s22, v11
	s_and_saveexec_b64 s[14:15], vcc
	s_xor_b64 s[14:15], exec, s[14:15]
	s_cbranch_execz .LBB129_79
; %bb.78:
	v_mul_u32_u24_e32 v12, 33, v11
	v_mov_b32_e32 v18, 0
	v_add_lshl_u32 v12, v12, v4, 4
	v_mov_b32_e32 v19, v18
	v_mov_b32_e32 v20, v18
	;; [unrolled: 1-line block ×3, first 2 shown]
	ds_write_b128 v12, v[18:21]
.LBB129_79:
	s_andn2_saveexec_b64 s[14:15], s[14:15]
	s_cbranch_execz .LBB129_81
; %bb.80:
	s_lshl_b32 s16, s26, 3
	s_ashr_i32 s17, s16, 31
	s_lshl_b64 s[16:17], s[16:17], 4
	v_mov_b32_e32 v13, s17
	v_add_co_u32_e32 v12, vcc, s16, v6
	v_addc_co_u32_e32 v13, vcc, v7, v13, vcc
	global_load_dwordx4 v[18:21], v[12:13], off
	v_add_u32_e32 v12, 0x1080, v16
	s_waitcnt vmcnt(0)
	ds_write2_b64 v12, v[18:19], v[20:21] offset1:1
.LBB129_81:
	s_or_b64 exec, exec, s[14:15]
	v_add_u32_e32 v12, 16, v5
	v_cmp_le_i32_e32 vcc, s22, v12
	s_and_saveexec_b64 s[14:15], vcc
	s_xor_b64 s[14:15], exec, s[14:15]
	s_cbranch_execz .LBB129_83
; %bb.82:
	v_mul_u32_u24_e32 v13, 33, v12
	v_mov_b32_e32 v18, 0
	v_add_lshl_u32 v13, v13, v4, 4
	v_mov_b32_e32 v19, v18
	v_mov_b32_e32 v20, v18
	;; [unrolled: 1-line block ×3, first 2 shown]
	ds_write_b128 v13, v[18:21]
.LBB129_83:
	s_andn2_saveexec_b64 s[14:15], s[14:15]
	s_cbranch_execz .LBB129_85
; %bb.84:
	s_lshl_b32 s16, s26, 4
	s_ashr_i32 s17, s16, 31
	s_lshl_b64 s[16:17], s[16:17], 4
	v_mov_b32_e32 v13, s17
	v_add_co_u32_e32 v18, vcc, s16, v6
	v_addc_co_u32_e32 v19, vcc, v7, v13, vcc
	global_load_dwordx4 v[18:21], v[18:19], off
	v_add_u32_e32 v13, 0x2100, v16
	s_waitcnt vmcnt(0)
	ds_write2_b64 v13, v[18:19], v[20:21] offset1:1
.LBB129_85:
	s_or_b64 exec, exec, s[14:15]
	v_add_u32_e32 v13, 24, v5
	v_cmp_le_i32_e32 vcc, s22, v13
                                        ; implicit-def: $vgpr14
	s_and_saveexec_b64 s[14:15], vcc
	s_xor_b64 s[14:15], exec, s[14:15]
	s_cbranch_execz .LBB129_87
; %bb.86:
	v_mad_u32_u24 v14, v13, 33, v4
	v_mov_b32_e32 v16, 0
	v_lshlrev_b32_e32 v4, 4, v14
	v_mov_b32_e32 v17, v16
	v_mov_b32_e32 v18, v16
	;; [unrolled: 1-line block ×3, first 2 shown]
	ds_write_b128 v4, v[16:19]
                                        ; implicit-def: $vgpr16
.LBB129_87:
	s_andn2_saveexec_b64 s[14:15], s[14:15]
	s_cbranch_execz .LBB129_89
; %bb.88:
	s_mul_i32 s16, s26, 24
	s_ashr_i32 s17, s16, 31
	s_lshl_b64 s[16:17], s[16:17], 4
	v_mov_b32_e32 v4, s17
	v_add_co_u32_e32 v18, vcc, s16, v6
	v_addc_co_u32_e32 v19, vcc, v7, v4, vcc
	global_load_dwordx4 v[18:21], v[18:19], off
	v_add_u32_e32 v14, 0x318, v9
	v_add_u32_e32 v4, 0x3180, v16
	s_waitcnt vmcnt(0)
	ds_write2_b64 v4, v[18:19], v[20:21] offset1:1
.LBB129_89:
	s_or_b64 exec, exec, s[14:15]
	v_add_co_u32_e32 v4, vcc, v6, v15
	v_addc_co_u32_e32 v6, vcc, 0, v7, vcc
	v_mov_b32_e32 v7, s13
	v_subrev_co_u32_e32 v4, vcc, s12, v4
	v_subb_co_u32_e32 v6, vcc, v6, v7, vcc
	v_add_co_u32_e32 v4, vcc, 0x210, v4
	v_addc_co_u32_e32 v6, vcc, 0, v6, vcc
	v_cndmask_b32_e64 v41, v6, v41, s[10:11]
	v_cndmask_b32_e64 v40, v4, v40, s[10:11]
	v_add_u32_e32 v7, 0x108, v9
	v_add_u32_e32 v6, 0x210, v9
.LBB129_90:
	v_lshlrev_b32_e32 v5, 4, v5
	s_waitcnt lgkmcnt(0)
	s_barrier
	v_lshlrev_b32_e32 v4, 4, v9
	ds_read_b128 v[46:49], v5 offset:18176
	ds_read_b128 v[50:53], v4
	v_lshlrev_b32_e32 v5, 4, v11
	v_lshlrev_b32_e32 v4, 4, v7
	ds_read_b128 v[54:57], v5 offset:18176
	ds_read_b128 v[58:61], v4
	v_lshlrev_b32_e32 v7, 4, v12
	;; [unrolled: 4-line block ×3, first 2 shown]
	v_lshlrev_b32_e32 v6, 4, v14
	ds_read_b128 v[70:73], v7 offset:18176
	ds_read_b128 v[74:77], v6
	s_waitcnt lgkmcnt(6)
	v_mul_f64 v[4:5], v[48:49], v[52:53]
	v_fma_f64 v[4:5], v[46:47], v[50:51], -v[4:5]
	s_waitcnt lgkmcnt(4)
	v_mul_f64 v[16:17], v[56:57], v[60:61]
	v_add_f64 v[4:5], v[4:5], 0
	v_fma_f64 v[16:17], v[54:55], v[58:59], -v[16:17]
	s_waitcnt lgkmcnt(2)
	v_mul_f64 v[6:7], v[64:65], v[68:69]
	v_add_f64 v[4:5], v[4:5], v[16:17]
	v_fma_f64 v[6:7], v[62:63], v[66:67], -v[6:7]
	v_add_f64 v[4:5], v[4:5], v[6:7]
	s_waitcnt lgkmcnt(0)
	v_mul_f64 v[6:7], v[72:73], v[76:77]
	v_fma_f64 v[6:7], v[70:71], v[74:75], -v[6:7]
	v_add_f64 v[78:79], v[4:5], v[6:7]
	ds_read_b128 v[28:31], v10
	ds_read_b128 v[20:23], v10 offset:16
	ds_read_b128 v[12:15], v10 offset:32
	;; [unrolled: 1-line block ×7, first 2 shown]
	v_mul_f64 v[46:47], v[46:47], v[52:53]
	v_fmac_f64_e32 v[46:47], v[48:49], v[50:51]
	v_mul_f64 v[48:49], v[54:55], v[60:61]
	v_add_f64 v[46:47], v[46:47], 0
	v_fmac_f64_e32 v[48:49], v[56:57], v[58:59]
	v_add_f64 v[46:47], v[46:47], v[48:49]
	v_mul_f64 v[48:49], v[62:63], v[68:69]
	v_fmac_f64_e32 v[48:49], v[64:65], v[66:67]
	v_add_f64 v[46:47], v[46:47], v[48:49]
	v_mul_f64 v[48:49], v[70:71], v[76:77]
	v_fmac_f64_e32 v[48:49], v[72:73], v[74:75]
	v_add_f64 v[80:81], v[46:47], v[48:49]
	s_waitcnt lgkmcnt(0)
	s_barrier
	ds_write_b128 v45, v[78:81]
	s_waitcnt lgkmcnt(0)
	s_barrier
	s_and_saveexec_b64 s[10:11], s[8:9]
	s_cbranch_execz .LBB129_92
; %bb.91:
	v_lshlrev_b32_e32 v62, 4, v44
	ds_read_b128 v[46:49], v62
	ds_read_b128 v[50:53], v62 offset:16
	ds_read_b128 v[54:57], v62 offset:32
	;; [unrolled: 1-line block ×3, first 2 shown]
	s_waitcnt lgkmcnt(3)
	v_add_f64 v[0:1], v[0:1], v[46:47]
	v_add_f64 v[2:3], v[2:3], v[48:49]
	s_waitcnt lgkmcnt(2)
	v_add_f64 v[0:1], v[0:1], v[50:51]
	v_add_f64 v[46:47], v[2:3], v[52:53]
	s_waitcnt lgkmcnt(1)
	v_add_f64 v[48:49], v[0:1], v[54:55]
	ds_read_b128 v[0:3], v62 offset:64
	v_add_f64 v[46:47], v[46:47], v[56:57]
	s_waitcnt lgkmcnt(1)
	v_add_f64 v[50:51], v[48:49], v[58:59]
	v_add_f64 v[54:55], v[46:47], v[60:61]
	ds_read_b128 v[46:49], v62 offset:80
	s_waitcnt lgkmcnt(1)
	v_add_f64 v[56:57], v[50:51], v[0:1]
	ds_read_b128 v[50:53], v62 offset:96
	v_add_f64 v[54:55], v[54:55], v[2:3]
	ds_read_b128 v[0:3], v62 offset:112
	s_waitcnt lgkmcnt(2)
	v_add_f64 v[46:47], v[56:57], v[46:47]
	v_add_f64 v[48:49], v[54:55], v[48:49]
	s_waitcnt lgkmcnt(1)
	v_add_f64 v[46:47], v[46:47], v[50:51]
	v_add_f64 v[48:49], v[48:49], v[52:53]
	;; [unrolled: 3-line block ×3, first 2 shown]
.LBB129_92:
	s_or_b64 exec, exec, s[10:11]
	v_mul_f64 v[46:47], v[30:31], v[34:35]
	v_fma_f64 v[46:47], v[28:29], v[32:33], -v[46:47]
	v_mul_f64 v[28:29], v[28:29], v[34:35]
	v_fmac_f64_e32 v[28:29], v[30:31], v[32:33]
	v_mul_f64 v[32:33], v[22:23], v[26:27]
	v_fma_f64 v[32:33], v[20:21], v[24:25], -v[32:33]
	v_mul_f64 v[20:21], v[20:21], v[26:27]
	v_fmac_f64_e32 v[20:21], v[22:23], v[24:25]
	v_mul_f64 v[24:25], v[14:15], v[18:19]
	v_add_f64 v[30:31], v[46:47], 0
	v_add_f64 v[28:29], v[28:29], 0
	v_fma_f64 v[24:25], v[12:13], v[16:17], -v[24:25]
	v_mul_f64 v[12:13], v[12:13], v[18:19]
	v_add_f64 v[22:23], v[30:31], v[32:33]
	v_add_f64 v[20:21], v[28:29], v[20:21]
	v_fmac_f64_e32 v[12:13], v[14:15], v[16:17]
	v_mul_f64 v[16:17], v[6:7], v[10:11]
	v_mul_f64 v[10:11], v[4:5], v[10:11]
	v_add_f64 v[14:15], v[22:23], v[24:25]
	v_add_f64 v[12:13], v[20:21], v[12:13]
	v_fma_f64 v[16:17], v[4:5], v[8:9], -v[16:17]
	v_fmac_f64_e32 v[10:11], v[6:7], v[8:9]
	v_add_f64 v[4:5], v[14:15], v[16:17]
	v_add_f64 v[6:7], v[12:13], v[10:11]
	s_barrier
	ds_write_b128 v45, v[4:7]
	s_waitcnt lgkmcnt(0)
	s_barrier
	s_and_saveexec_b64 s[8:9], s[20:21]
	s_cbranch_execz .LBB129_94
; %bb.93:
	v_lshlrev_b32_e32 v20, 4, v44
	ds_read_b128 v[4:7], v20
	ds_read_b128 v[8:11], v20 offset:16
	ds_read_b128 v[12:15], v20 offset:32
	;; [unrolled: 1-line block ×3, first 2 shown]
	s_waitcnt lgkmcnt(3)
	v_add_f64 v[0:1], v[0:1], v[4:5]
	v_add_f64 v[2:3], v[2:3], v[6:7]
	s_waitcnt lgkmcnt(2)
	v_add_f64 v[0:1], v[0:1], v[8:9]
	v_add_f64 v[4:5], v[2:3], v[10:11]
	s_waitcnt lgkmcnt(1)
	v_add_f64 v[6:7], v[0:1], v[12:13]
	ds_read_b128 v[0:3], v20 offset:64
	v_add_f64 v[4:5], v[4:5], v[14:15]
	s_waitcnt lgkmcnt(1)
	v_add_f64 v[8:9], v[6:7], v[16:17]
	v_add_f64 v[12:13], v[4:5], v[18:19]
	ds_read_b128 v[4:7], v20 offset:80
	s_waitcnt lgkmcnt(1)
	v_add_f64 v[14:15], v[8:9], v[0:1]
	ds_read_b128 v[8:11], v20 offset:96
	v_add_f64 v[12:13], v[12:13], v[2:3]
	ds_read_b128 v[0:3], v20 offset:112
	s_waitcnt lgkmcnt(2)
	v_add_f64 v[4:5], v[14:15], v[4:5]
	v_add_f64 v[6:7], v[12:13], v[6:7]
	s_waitcnt lgkmcnt(1)
	v_add_f64 v[4:5], v[4:5], v[8:9]
	v_add_f64 v[6:7], v[6:7], v[10:11]
	;; [unrolled: 3-line block ×3, first 2 shown]
.LBB129_94:
	s_or_b64 exec, exec, s[8:9]
	s_load_dwordx2 s[4:5], s[4:5], 0x78
	s_mul_hi_u32 s8, s40, s7
	s_mul_i32 s42, s42, s7
	s_add_i32 s8, s8, s42
	s_mul_i32 s7, s40, s7
	s_mul_i32 s8, s8, s41
	s_mul_hi_u32 s9, s7, s41
	s_add_i32 s9, s9, s8
	s_mul_i32 s8, s7, s41
	s_lshl_b64 s[8:9], s[8:9], 4
	s_waitcnt lgkmcnt(0)
	s_add_u32 s7, s4, s8
	s_mul_i32 s4, s6, s40
	s_addc_u32 s8, s5, s9
	s_ashr_i32 s5, s4, 31
	s_lshl_b64 s[4:5], s[4:5], 4
	s_add_u32 s7, s7, s4
	v_cmp_le_i32_e32 vcc, s22, v42
	s_addc_u32 s16, s8, s5
	s_and_b64 vcc, s[30:31], vcc
	s_cmp_lt_i32 s6, 1
	v_lshlrev_b32_e32 v154, 4, v42
	s_barrier
	s_cbranch_scc1 .LBB129_101
; %bb.95:
	s_mul_i32 s4, s24, s33
	s_ashr_i32 s5, s4, 31
	s_lshl_b64 s[4:5], s[4:5], 4
	v_mov_b32_e32 v4, s5
	v_subrev_co_u32_e64 v155, s[4:5], s4, v36
	v_subb_co_u32_e64 v156, s[4:5], v37, v4, s[4:5]
	v_mov_b32_e32 v4, s29
	v_subrev_co_u32_e64 v5, s[4:5], s28, v40
	v_subb_co_u32_e64 v4, s[4:5], v41, v4, s[4:5]
	v_sub_co_u32_e64 v7, s[4:5], v5, v38
	v_subb_co_u32_e64 v8, s[4:5], v4, v39, s[4:5]
	v_mul_lo_u32 v4, v149, s26
	v_lshl_add_u32 v4, v4, 2, v42
	v_ashrrev_i32_e32 v5, 31, v4
	v_lshlrev_b64 v[4:5], 4, v[4:5]
	v_add_co_u32_e64 v4, s[4:5], v7, v4
	v_addc_co_u32_e64 v5, s[4:5], v8, v5, s[4:5]
	s_movk_i32 s4, 0xfe00
	v_add_co_u32_e64 v7, s[4:5], s4, v4
	v_addc_co_u32_e64 v8, s[4:5], -1, v5, s[4:5]
	v_sub_co_u32_e64 v4, s[4:5], v4, v154
	v_subbrev_co_u32_e64 v5, s[4:5], 0, v5, s[4:5]
	s_ashr_i32 s23, s22, 31
	s_lshl_b64 s[4:5], s[22:23], 4
	v_mov_b32_e32 v9, s5
	v_add_co_u32_e64 v4, s[4:5], s4, v4
	v_addc_co_u32_e64 v5, s[4:5], v5, v9, s[4:5]
	s_movk_i32 s4, 0xfdf0
	v_add_co_u32_e64 v4, s[4:5], s4, v4
	v_addc_co_u32_e64 v5, s[4:5], -1, v5, s[4:5]
	v_cndmask_b32_e32 v9, v8, v5, vcc
	v_cndmask_b32_e32 v8, v7, v4, vcc
	v_and_b32_e32 v4, 48, v42
	v_and_b32_e32 v6, 15, v42
	v_lshlrev_b32_e32 v5, 4, v4
	s_movk_i32 s8, 0x430
	v_mad_u32_u24 v159, v6, s8, v5
	v_or_b32_e32 v5, 0xf0, v154
	v_mad_u32_u24 v160, v6, s8, v5
	v_lshlrev_b32_e32 v5, 2, v43
	v_and_b32_e32 v5, 0x7ffc0, v5
	v_mad_u32_u24 v161, v6, s8, v5
	s_ashr_i32 s27, s26, 31
	v_mov_b32_e32 v5, 0x4300
	v_lshl_add_u32 v162, v149, 6, v5
	s_movk_i32 s9, 0x10c0
	v_and_b32_e32 v5, 0x1fff0, v43
	s_lshl_b64 s[10:11], s[26:27], 4
	s_mul_hi_i32 s18, s26, 0xd0
	v_mov_b32_e32 v151, 0
	s_lshl_b32 s17, s33, 6
	v_add_u32_e32 v157, 0x4300, v154
	v_add_u32_e32 v158, 0x4700, v154
	v_cmp_gt_u32_e64 s[4:5], 64, v43
	v_mad_u32_u24 v163, v149, s9, v154
	v_mad_u32_u24 v164, v6, s8, v5
	s_mul_i32 s19, s26, 0xd0
	v_or_b32_e32 v150, v4, v6
	s_mov_b32 s12, 0
	v_mov_b32_e32 v165, s11
	v_mov_b32_e32 v166, s18
	s_branch .LBB129_97
.LBB129_96:                             ;   in Loop: Header=BB129_97 Depth=1
	s_or_b64 exec, exec, s[14:15]
	v_mul_f64 v[132:133], v[6:7], v[22:23]
	v_fma_f64 v[132:133], v[4:5], v[20:21], -v[132:133]
	v_mul_f64 v[4:5], v[4:5], v[22:23]
	v_mul_f64 v[22:23], v[10:11], v[42:43]
	v_add_f64 v[0:1], v[0:1], v[132:133]
	v_fma_f64 v[22:23], v[8:9], v[40:41], -v[22:23]
	v_add_f64 v[0:1], v[0:1], v[22:23]
	v_mul_f64 v[22:23], v[14:15], v[46:47]
	v_fma_f64 v[22:23], v[12:13], v[44:45], -v[22:23]
	v_add_f64 v[0:1], v[0:1], v[22:23]
	v_mul_f64 v[22:23], v[18:19], v[50:51]
	v_fmac_f64_e32 v[4:5], v[6:7], v[20:21]
	v_fma_f64 v[22:23], v[16:17], v[48:49], -v[22:23]
	v_add_f64 v[2:3], v[2:3], v[4:5]
	v_mul_f64 v[4:5], v[26:27], v[70:71]
	v_add_f64 v[0:1], v[0:1], v[22:23]
	v_fma_f64 v[4:5], v[24:25], v[68:69], -v[4:5]
	v_add_f64 v[0:1], v[0:1], v[4:5]
	v_mul_f64 v[4:5], v[34:35], v[82:83]
	v_fma_f64 v[4:5], v[32:33], v[80:81], -v[4:5]
	v_add_f64 v[0:1], v[0:1], v[4:5]
	v_mul_f64 v[4:5], v[30:31], v[78:79]
	;; [unrolled: 3-line block ×4, first 2 shown]
	v_mul_f64 v[8:9], v[8:9], v[42:43]
	v_fma_f64 v[4:5], v[52:53], v[100:101], -v[4:5]
	v_mul_f64 v[12:13], v[12:13], v[46:47]
	v_fmac_f64_e32 v[8:9], v[10:11], v[40:41]
	v_add_f64 v[0:1], v[0:1], v[4:5]
	v_mul_f64 v[4:5], v[62:63], v[118:119]
	v_mul_f64 v[16:17], v[16:17], v[50:51]
	v_add_f64 v[2:3], v[2:3], v[8:9]
	v_fmac_f64_e32 v[12:13], v[14:15], v[44:45]
	v_fma_f64 v[4:5], v[60:61], v[116:117], -v[4:5]
	v_add_f64 v[2:3], v[2:3], v[12:13]
	v_fmac_f64_e32 v[16:17], v[18:19], v[48:49]
	v_mul_f64 v[6:7], v[24:25], v[70:71]
	v_add_f64 v[0:1], v[0:1], v[4:5]
	v_mul_f64 v[4:5], v[58:59], v[114:115]
	v_add_f64 v[2:3], v[2:3], v[16:17]
	v_mul_f64 v[8:9], v[32:33], v[82:83]
	v_fmac_f64_e32 v[6:7], v[26:27], v[68:69]
	v_fma_f64 v[4:5], v[56:57], v[112:113], -v[4:5]
	v_mul_f64 v[10:11], v[28:29], v[78:79]
	v_add_f64 v[2:3], v[2:3], v[6:7]
	v_fmac_f64_e32 v[8:9], v[34:35], v[80:81]
	v_add_f64 v[0:1], v[0:1], v[4:5]
	v_mul_f64 v[4:5], v[66:67], v[110:111]
	v_mul_f64 v[12:13], v[36:37], v[74:75]
	v_add_f64 v[2:3], v[2:3], v[8:9]
	v_fmac_f64_e32 v[10:11], v[30:31], v[76:77]
	v_fma_f64 v[4:5], v[64:65], v[108:109], -v[4:5]
	v_add_f64 v[2:3], v[2:3], v[10:11]
	v_fmac_f64_e32 v[12:13], v[38:39], v[72:73]
	v_mul_f64 v[6:7], v[52:53], v[102:103]
	v_add_f64 v[0:1], v[0:1], v[4:5]
	v_mul_f64 v[4:5], v[90:91], v[106:107]
	v_add_f64 v[2:3], v[2:3], v[12:13]
	v_mul_f64 v[8:9], v[60:61], v[118:119]
	v_fmac_f64_e32 v[6:7], v[54:55], v[100:101]
	v_fma_f64 v[4:5], v[88:89], v[104:105], -v[4:5]
	v_mul_f64 v[10:11], v[56:57], v[114:115]
	v_add_f64 v[2:3], v[2:3], v[6:7]
	v_fmac_f64_e32 v[8:9], v[62:63], v[116:117]
	v_add_f64 v[0:1], v[0:1], v[4:5]
	v_mul_f64 v[4:5], v[94:95], v[122:123]
	v_mul_f64 v[12:13], v[64:65], v[110:111]
	v_add_f64 v[2:3], v[2:3], v[8:9]
	v_fmac_f64_e32 v[10:11], v[58:59], v[112:113]
	v_fma_f64 v[4:5], v[92:93], v[120:121], -v[4:5]
	v_add_f64 v[2:3], v[2:3], v[10:11]
	v_fmac_f64_e32 v[12:13], v[66:67], v[108:109]
	v_mul_f64 v[6:7], v[88:89], v[106:107]
	v_add_f64 v[0:1], v[0:1], v[4:5]
	v_mul_f64 v[4:5], v[86:87], v[126:127]
	v_add_f64 v[2:3], v[2:3], v[12:13]
	v_mul_f64 v[8:9], v[92:93], v[122:123]
	v_fma_f64 v[4:5], v[84:85], v[124:125], -v[4:5]
	v_fmac_f64_e32 v[6:7], v[90:91], v[104:105]
	v_mul_f64 v[10:11], v[84:85], v[126:127]
	v_add_f64 v[0:1], v[0:1], v[4:5]
	v_mul_f64 v[4:5], v[98:99], v[130:131]
	v_fmac_f64_e32 v[8:9], v[94:95], v[120:121]
	v_add_f64 v[2:3], v[2:3], v[6:7]
	v_fma_f64 v[4:5], v[96:97], v[128:129], -v[4:5]
	v_mul_f64 v[12:13], v[96:97], v[130:131]
	v_fmac_f64_e32 v[10:11], v[86:87], v[124:125]
	v_add_f64 v[2:3], v[2:3], v[8:9]
	v_add_f64 v[0:1], v[0:1], v[4:5]
	v_fmac_f64_e32 v[12:13], v[98:99], v[128:129]
	v_add_f64 v[2:3], v[2:3], v[10:11]
	s_add_i32 s6, s6, -1
	s_add_i32 s12, s12, s17
	v_mov_b32_e32 v4, s18
	v_add_co_u32_e64 v8, s[8:9], s19, v152
	v_add_f64 v[2:3], v[2:3], v[12:13]
	v_add_u32_e32 v150, 64, v150
	s_cmp_eq_u32 s6, 0
	v_addc_co_u32_e64 v9, s[8:9], v153, v4, s[8:9]
	s_barrier
	s_cbranch_scc1 .LBB129_101
.LBB129_97:                             ; =>This Inner Loop Header: Depth=1
	s_and_saveexec_b64 s[14:15], s[2:3]
	s_cbranch_execz .LBB129_99
; %bb.98:                               ;   in Loop: Header=BB129_97 Depth=1
	s_ashr_i32 s13, s12, 31
	s_lshl_b64 s[8:9], s[12:13], 4
	v_mov_b32_e32 v5, s9
	v_add_co_u32_e64 v4, s[8:9], s8, v155
	v_addc_co_u32_e64 v5, s[8:9], v156, v5, s[8:9]
	global_load_dwordx4 v[4:7], v[4:5], off
	s_waitcnt vmcnt(0)
	ds_write2_b64 v157, v[4:5], v[6:7] offset1:1
.LBB129_99:                             ;   in Loop: Header=BB129_97 Depth=1
	s_or_b64 exec, exec, s[14:15]
	v_add_co_u32_e64 v12, s[8:9], s10, v8
	v_addc_co_u32_e64 v13, s[8:9], v9, v165, s[8:9]
	v_add_co_u32_e64 v16, s[8:9], s10, v12
	s_waitcnt lgkmcnt(0)
	s_barrier
	global_load_dwordx4 v[4:7], v[8:9], off
	v_addc_co_u32_e64 v17, s[8:9], v13, v165, s[8:9]
	global_load_dwordx4 v[8:11], v[12:13], off
	v_add_co_u32_e64 v28, s[8:9], s10, v16
	global_load_dwordx4 v[12:15], v[16:17], off
	v_addc_co_u32_e64 v29, s[8:9], v17, v165, s[8:9]
	global_load_dwordx4 v[16:19], v[28:29], off
	ds_read_b128 v[24:27], v158
	ds_read_b128 v[20:23], v162
	v_add_co_u32_e64 v36, s[8:9], s19, v28
	v_addc_co_u32_e64 v37, s[8:9], v29, v166, s[8:9]
	v_add_co_u32_e64 v38, s[8:9], s10, v36
	v_addc_co_u32_e64 v39, s[8:9], v37, v165, s[8:9]
	;; [unrolled: 2-line block ×3, first 2 shown]
	s_waitcnt vmcnt(3) lgkmcnt(1)
	v_mul_f64 v[28:29], v[6:7], v[26:27]
	v_mul_f64 v[30:31], v[4:5], v[26:27]
	v_fma_f64 v[28:29], v[4:5], v[24:25], -v[28:29]
	v_fmac_f64_e32 v[30:31], v[6:7], v[24:25]
	s_waitcnt vmcnt(2)
	v_mul_f64 v[34:35], v[10:11], v[26:27]
	v_mul_f64 v[32:33], v[8:9], v[26:27]
	ds_write_b128 v163, v[28:31]
	v_fma_f64 v[30:31], v[8:9], v[24:25], -v[34:35]
	v_fmac_f64_e32 v[32:33], v[10:11], v[24:25]
	s_waitcnt vmcnt(1)
	v_mul_f64 v[28:29], v[14:15], v[26:27]
	v_mul_f64 v[34:35], v[12:13], v[26:27]
	ds_read_b128 v[40:43], v162 offset:16
	ds_write_b128 v163, v[30:33] offset:1072
	v_fma_f64 v[32:33], v[12:13], v[24:25], -v[28:29]
	v_fmac_f64_e32 v[34:35], v[14:15], v[24:25]
	s_waitcnt vmcnt(0)
	v_mul_f64 v[30:31], v[18:19], v[26:27]
	v_mul_f64 v[28:29], v[16:17], v[26:27]
	ds_read_b128 v[44:47], v162 offset:32
	ds_write_b128 v163, v[32:35] offset:2144
	v_fma_f64 v[26:27], v[16:17], v[24:25], -v[30:31]
	v_fmac_f64_e32 v[28:29], v[18:19], v[24:25]
	ds_read_b128 v[48:51], v162 offset:48
	ds_write_b128 v163, v[26:29] offset:3216
	s_waitcnt lgkmcnt(0)
	s_barrier
	ds_read_b128 v[128:131], v161
	ds_read_b128 v[124:127], v161 offset:16
	ds_read_b128 v[120:123], v161 offset:32
	;; [unrolled: 1-line block ×3, first 2 shown]
	s_waitcnt lgkmcnt(0)
	s_barrier
	global_load_dwordx4 v[24:27], v[36:37], off
	global_load_dwordx4 v[32:35], v[38:39], off
	;; [unrolled: 1-line block ×3, first 2 shown]
	v_add_co_u32_e64 v52, s[8:9], s10, v52
	v_addc_co_u32_e64 v53, s[8:9], v53, v165, s[8:9]
	global_load_dwordx4 v[36:39], v[52:53], off
	v_add_co_u32_e64 v66, s[8:9], s19, v52
	v_addc_co_u32_e64 v67, s[8:9], v53, v166, s[8:9]
	ds_read_b128 v[52:55], v158
	ds_read_b128 v[68:71], v162 offset:256
	v_add_co_u32_e64 v88, s[8:9], s10, v66
	v_addc_co_u32_e64 v89, s[8:9], v67, v165, s[8:9]
	v_add_co_u32_e64 v90, s[8:9], s10, v88
	v_addc_co_u32_e64 v91, s[8:9], v89, v165, s[8:9]
	v_add_f64 v[128:129], v[128:129], 0
	v_add_f64 v[130:131], v[130:131], 0
	;; [unrolled: 1-line block ×7, first 2 shown]
	s_waitcnt vmcnt(3) lgkmcnt(1)
	v_mul_f64 v[58:59], v[26:27], v[54:55]
	v_mul_f64 v[56:57], v[24:25], v[54:55]
	s_waitcnt vmcnt(2)
	v_mul_f64 v[62:63], v[34:35], v[54:55]
	v_mul_f64 v[60:61], v[32:33], v[54:55]
	s_waitcnt vmcnt(1)
	v_mul_f64 v[72:73], v[30:31], v[54:55]
	v_mul_f64 v[64:65], v[28:29], v[54:55]
	v_fmac_f64_e32 v[56:57], v[26:27], v[52:53]
	s_waitcnt vmcnt(0)
	v_mul_f64 v[74:75], v[38:39], v[54:55]
	v_mul_f64 v[86:87], v[36:37], v[54:55]
	v_fma_f64 v[54:55], v[24:25], v[52:53], -v[58:59]
	v_fma_f64 v[58:59], v[32:33], v[52:53], -v[62:63]
	v_fmac_f64_e32 v[60:61], v[34:35], v[52:53]
	ds_write_b128 v163, v[54:57]
	v_fma_f64 v[62:63], v[28:29], v[52:53], -v[72:73]
	v_fmac_f64_e32 v[64:65], v[30:31], v[52:53]
	ds_read_b128 v[80:83], v162 offset:272
	ds_write_b128 v163, v[58:61] offset:1072
	v_fma_f64 v[84:85], v[36:37], v[52:53], -v[74:75]
	v_fmac_f64_e32 v[86:87], v[38:39], v[52:53]
	ds_read_b128 v[76:79], v162 offset:288
	ds_write_b128 v163, v[62:65] offset:2144
	ds_read_b128 v[72:75], v162 offset:304
	ds_write_b128 v163, v[84:87] offset:3216
	v_add_co_u32_e64 v84, s[8:9], s10, v90
	v_addc_co_u32_e64 v85, s[8:9], v91, v165, s[8:9]
	s_waitcnt lgkmcnt(0)
	s_barrier
	ds_read_b128 v[144:147], v161
	ds_read_b128 v[140:143], v161 offset:16
	ds_read_b128 v[136:139], v161 offset:32
	;; [unrolled: 1-line block ×3, first 2 shown]
	s_waitcnt lgkmcnt(0)
	s_barrier
	global_load_dwordx4 v[52:55], v[66:67], off
	global_load_dwordx4 v[60:63], v[88:89], off
	;; [unrolled: 1-line block ×3, first 2 shown]
	v_add_co_u32_e64 v98, s[8:9], s19, v84
	global_load_dwordx4 v[64:67], v[84:85], off
	v_addc_co_u32_e64 v99, s[8:9], v85, v166, s[8:9]
	ds_read_b128 v[84:87], v158
	ds_read_b128 v[100:103], v162 offset:512
	v_add_co_u32_e64 v152, s[8:9], s10, v98
	v_addc_co_u32_e64 v153, s[8:9], v99, v165, s[8:9]
	v_add_co_u32_e64 v184, s[8:9], s10, v152
	v_addc_co_u32_e64 v185, s[8:9], v153, v165, s[8:9]
	v_add_f64 v[106:107], v[146:147], 0
	v_add_f64 v[106:107], v[106:107], v[142:143]
	v_add_f64 v[106:107], v[106:107], v[138:139]
	v_add_f64 v[134:135], v[106:107], v[134:135]
	s_waitcnt vmcnt(3) lgkmcnt(1)
	v_mul_f64 v[90:91], v[54:55], v[86:87]
	v_mul_f64 v[88:89], v[52:53], v[86:87]
	s_waitcnt vmcnt(2)
	v_mul_f64 v[94:95], v[62:63], v[86:87]
	v_mul_f64 v[92:93], v[60:61], v[86:87]
	s_waitcnt vmcnt(1)
	;; [unrolled: 3-line block ×3, first 2 shown]
	v_mul_f64 v[110:111], v[66:67], v[86:87]
	v_mul_f64 v[170:171], v[64:65], v[86:87]
	v_fma_f64 v[86:87], v[52:53], v[84:85], -v[90:91]
	v_fmac_f64_e32 v[88:89], v[54:55], v[84:85]
	v_fma_f64 v[90:91], v[60:61], v[84:85], -v[94:95]
	v_fmac_f64_e32 v[92:93], v[62:63], v[84:85]
	ds_write_b128 v163, v[86:89]
	v_fma_f64 v[94:95], v[56:57], v[84:85], -v[108:109]
	v_fmac_f64_e32 v[96:97], v[58:59], v[84:85]
	ds_read_b128 v[116:119], v162 offset:528
	ds_write_b128 v163, v[90:93] offset:1072
	v_fma_f64 v[168:169], v[64:65], v[84:85], -v[110:111]
	v_fmac_f64_e32 v[170:171], v[66:67], v[84:85]
	ds_read_b128 v[112:115], v162 offset:544
	ds_write_b128 v163, v[94:97] offset:2144
	ds_read_b128 v[108:111], v162 offset:560
	ds_write_b128 v163, v[168:171] offset:3216
	s_waitcnt lgkmcnt(0)
	s_barrier
	ds_read_b128 v[168:171], v161
	ds_read_b128 v[172:175], v161 offset:16
	ds_read_b128 v[176:179], v161 offset:32
	;; [unrolled: 1-line block ×3, first 2 shown]
	s_waitcnt lgkmcnt(0)
	s_barrier
	global_load_dwordx4 v[88:91], v[98:99], off
	global_load_dwordx4 v[92:95], v[152:153], off
	;; [unrolled: 1-line block ×3, first 2 shown]
	v_add_co_u32_e64 v152, s[8:9], s10, v184
	v_addc_co_u32_e64 v153, s[8:9], v185, v165, s[8:9]
	global_load_dwordx4 v[96:99], v[152:153], off
	v_add_f64 v[184:185], v[120:121], v[104:105]
	v_add_f64 v[104:105], v[144:145], 0
	;; [unrolled: 1-line block ×5, first 2 shown]
	ds_read_b128 v[120:123], v158
	ds_read_b128 v[104:107], v162 offset:768
	v_add_f64 v[124:125], v[168:169], 0
	v_add_f64 v[126:127], v[170:171], 0
	;; [unrolled: 1-line block ×8, first 2 shown]
	s_waitcnt vmcnt(3) lgkmcnt(1)
	v_mul_f64 v[126:127], v[90:91], v[122:123]
	v_mul_f64 v[124:125], v[88:89], v[122:123]
	s_waitcnt vmcnt(2)
	v_mul_f64 v[130:131], v[94:95], v[122:123]
	v_mul_f64 v[128:129], v[92:93], v[122:123]
	s_waitcnt vmcnt(1)
	v_mul_f64 v[140:141], v[86:87], v[122:123]
	v_mul_f64 v[142:143], v[84:85], v[122:123]
	v_fmac_f64_e32 v[124:125], v[90:91], v[120:121]
	s_waitcnt vmcnt(0)
	v_mul_f64 v[144:145], v[98:99], v[122:123]
	v_mul_f64 v[146:147], v[96:97], v[122:123]
	v_fma_f64 v[122:123], v[88:89], v[120:121], -v[126:127]
	v_fma_f64 v[126:127], v[92:93], v[120:121], -v[130:131]
	v_fmac_f64_e32 v[128:129], v[94:95], v[120:121]
	ds_write_b128 v163, v[122:125]
	v_fma_f64 v[140:141], v[84:85], v[120:121], -v[140:141]
	v_fma_f64 v[144:145], v[96:97], v[120:121], -v[144:145]
	v_fmac_f64_e32 v[142:143], v[86:87], v[120:121]
	v_fmac_f64_e32 v[146:147], v[98:99], v[120:121]
	ds_read_b128 v[120:123], v162 offset:784
	ds_write_b128 v163, v[126:129] offset:1072
	ds_read_b128 v[124:127], v162 offset:800
	ds_write_b128 v163, v[140:143] offset:2144
	;; [unrolled: 2-line block ×3, first 2 shown]
	s_waitcnt lgkmcnt(0)
	s_barrier
	ds_read_b128 v[140:143], v161
	ds_read_b128 v[144:147], v161 offset:16
	ds_read_b128 v[168:171], v161 offset:32
	;; [unrolled: 1-line block ×3, first 2 shown]
	s_waitcnt lgkmcnt(0)
	s_barrier
	ds_write_b128 v164, v[184:187]
	ds_write_b128 v164, v[132:135] offset:256
	ds_write_b128 v164, v[136:139] offset:512
	v_add_f64 v[132:133], v[140:141], 0
	v_add_f64 v[134:135], v[142:143], 0
	;; [unrolled: 1-line block ×8, first 2 shown]
	ds_write_b128 v164, v[132:135] offset:768
	s_waitcnt lgkmcnt(0)
	s_barrier
	s_and_saveexec_b64 s[14:15], s[4:5]
	s_cbranch_execz .LBB129_96
; %bb.100:                              ;   in Loop: Header=BB129_97 Depth=1
	ds_read_b128 v[132:135], v159
	ds_read_b128 v[136:139], v159 offset:16
	ds_read_b128 v[140:143], v159 offset:32
	;; [unrolled: 1-line block ×3, first 2 shown]
	s_waitcnt lgkmcnt(2)
	v_add_f64 v[132:133], v[136:137], v[132:133]
	v_add_f64 v[136:137], v[138:139], v[134:135]
	s_waitcnt lgkmcnt(1)
	v_add_f64 v[138:139], v[132:133], v[140:141]
	ds_read_b128 v[132:135], v159 offset:64
	v_add_f64 v[140:141], v[136:137], v[142:143]
	s_waitcnt lgkmcnt(1)
	v_add_f64 v[142:143], v[138:139], v[144:145]
	ds_read_b128 v[136:139], v159 offset:80
	;; [unrolled: 4-line block ×9, first 2 shown]
	v_add_f64 v[134:135], v[144:145], v[134:135]
	s_waitcnt lgkmcnt(1)
	v_add_f64 v[136:137], v[132:133], v[136:137]
	v_add_f64 v[144:145], v[134:135], v[138:139]
	ds_read_b128 v[132:135], v159 offset:208
	s_waitcnt lgkmcnt(1)
	v_add_f64 v[146:147], v[136:137], v[140:141]
	ds_read_b128 v[136:139], v159 offset:224
	v_add_f64 v[144:145], v[144:145], v[142:143]
	ds_read_b128 v[140:143], v160
	s_waitcnt lgkmcnt(2)
	v_add_f64 v[132:133], v[146:147], v[132:133]
	v_add_f64 v[134:135], v[144:145], v[134:135]
	s_waitcnt lgkmcnt(1)
	v_add_f64 v[132:133], v[132:133], v[136:137]
	v_lshlrev_b64 v[136:137], 4, v[150:151]
	v_add_f64 v[134:135], v[134:135], v[138:139]
	v_mov_b32_e32 v138, s16
	v_add_co_u32_e64 v136, s[8:9], s7, v136
	s_waitcnt lgkmcnt(0)
	v_add_f64 v[132:133], v[132:133], v[140:141]
	v_add_f64 v[134:135], v[134:135], v[142:143]
	v_addc_co_u32_e64 v137, s[8:9], v138, v137, s[8:9]
	global_store_dwordx4 v[136:137], v[132:135], off
	s_branch .LBB129_96
.LBB129_101:
	s_movk_i32 s2, 0x430
	s_or_b64 s[0:1], s[0:1], vcc
	v_mad_u32_u24 v4, v149, s2, v154
	s_xor_b64 s[0:1], s[0:1], -1
	ds_write_b128 v4, v[0:3]
	s_waitcnt lgkmcnt(0)
	s_barrier
	s_and_saveexec_b64 s[2:3], s[0:1]
	s_cbranch_execz .LBB129_103
; %bb.102:
	ds_read_b128 v[0:3], v154 offset:1072
	ds_read_b128 v[4:7], v154
	ds_read_b128 v[8:11], v154 offset:2144
	ds_read_b128 v[12:15], v154 offset:3216
	v_ashrrev_i32_e32 v149, 31, v148
	s_waitcnt lgkmcnt(2)
	v_add_f64 v[0:1], v[0:1], v[4:5]
	v_add_f64 v[2:3], v[2:3], v[6:7]
	v_lshlrev_b64 v[4:5], 4, v[148:149]
	s_waitcnt lgkmcnt(1)
	v_add_f64 v[0:1], v[0:1], v[8:9]
	v_add_f64 v[2:3], v[2:3], v[10:11]
	v_mov_b32_e32 v6, s16
	v_add_co_u32_e32 v4, vcc, s7, v4
	s_waitcnt lgkmcnt(0)
	v_add_f64 v[0:1], v[0:1], v[12:13]
	v_add_f64 v[2:3], v[2:3], v[14:15]
	v_addc_co_u32_e32 v5, vcc, v6, v5, vcc
	global_store_dwordx4 v[4:5], v[0:3], off
.LBB129_103:
	s_endpgm
	.section	.rodata,"a",@progbits
	.p2align	6, 0x0
	.amdhsa_kernel _ZL26rocblas_hemvn_kernel_lowerILb0ELi64ELi4ELi33ELi32ELi16Ei19rocblas_complex_numIdEPKS1_PS1_EviT6_lT7_lT5_lS6_lS7_lS5_lT8_i
		.amdhsa_group_segment_fixed_size 19200
		.amdhsa_private_segment_fixed_size 0
		.amdhsa_kernarg_size 392
		.amdhsa_user_sgpr_count 6
		.amdhsa_user_sgpr_private_segment_buffer 1
		.amdhsa_user_sgpr_dispatch_ptr 0
		.amdhsa_user_sgpr_queue_ptr 0
		.amdhsa_user_sgpr_kernarg_segment_ptr 1
		.amdhsa_user_sgpr_dispatch_id 0
		.amdhsa_user_sgpr_flat_scratch_init 0
		.amdhsa_user_sgpr_kernarg_preload_length 0
		.amdhsa_user_sgpr_kernarg_preload_offset 0
		.amdhsa_user_sgpr_private_segment_size 0
		.amdhsa_uses_dynamic_stack 0
		.amdhsa_system_sgpr_private_segment_wavefront_offset 0
		.amdhsa_system_sgpr_workgroup_id_x 1
		.amdhsa_system_sgpr_workgroup_id_y 0
		.amdhsa_system_sgpr_workgroup_id_z 1
		.amdhsa_system_sgpr_workgroup_info 0
		.amdhsa_system_vgpr_workitem_id 1
		.amdhsa_next_free_vgpr 188
		.amdhsa_next_free_sgpr 46
		.amdhsa_accum_offset 188
		.amdhsa_reserve_vcc 1
		.amdhsa_reserve_flat_scratch 0
		.amdhsa_float_round_mode_32 0
		.amdhsa_float_round_mode_16_64 0
		.amdhsa_float_denorm_mode_32 3
		.amdhsa_float_denorm_mode_16_64 3
		.amdhsa_dx10_clamp 1
		.amdhsa_ieee_mode 1
		.amdhsa_fp16_overflow 0
		.amdhsa_tg_split 0
		.amdhsa_exception_fp_ieee_invalid_op 0
		.amdhsa_exception_fp_denorm_src 0
		.amdhsa_exception_fp_ieee_div_zero 0
		.amdhsa_exception_fp_ieee_overflow 0
		.amdhsa_exception_fp_ieee_underflow 0
		.amdhsa_exception_fp_ieee_inexact 0
		.amdhsa_exception_int_div_zero 0
	.end_amdhsa_kernel
	.section	.text._ZL26rocblas_hemvn_kernel_lowerILb0ELi64ELi4ELi33ELi32ELi16Ei19rocblas_complex_numIdEPKS1_PS1_EviT6_lT7_lT5_lS6_lS7_lS5_lT8_i,"axG",@progbits,_ZL26rocblas_hemvn_kernel_lowerILb0ELi64ELi4ELi33ELi32ELi16Ei19rocblas_complex_numIdEPKS1_PS1_EviT6_lT7_lT5_lS6_lS7_lS5_lT8_i,comdat
.Lfunc_end129:
	.size	_ZL26rocblas_hemvn_kernel_lowerILb0ELi64ELi4ELi33ELi32ELi16Ei19rocblas_complex_numIdEPKS1_PS1_EviT6_lT7_lT5_lS6_lS7_lS5_lT8_i, .Lfunc_end129-_ZL26rocblas_hemvn_kernel_lowerILb0ELi64ELi4ELi33ELi32ELi16Ei19rocblas_complex_numIdEPKS1_PS1_EviT6_lT7_lT5_lS6_lS7_lS5_lT8_i
                                        ; -- End function
	.section	.AMDGPU.csdata,"",@progbits
; Kernel info:
; codeLenInByte = 9200
; NumSgprs: 50
; NumVgprs: 188
; NumAgprs: 0
; TotalNumVgprs: 188
; ScratchSize: 0
; MemoryBound: 0
; FloatMode: 240
; IeeeMode: 1
; LDSByteSize: 19200 bytes/workgroup (compile time only)
; SGPRBlocks: 6
; VGPRBlocks: 23
; NumSGPRsForWavesPerEU: 50
; NumVGPRsForWavesPerEU: 188
; AccumOffset: 188
; Occupancy: 2
; WaveLimiterHint : 1
; COMPUTE_PGM_RSRC2:SCRATCH_EN: 0
; COMPUTE_PGM_RSRC2:USER_SGPR: 6
; COMPUTE_PGM_RSRC2:TRAP_HANDLER: 0
; COMPUTE_PGM_RSRC2:TGID_X_EN: 1
; COMPUTE_PGM_RSRC2:TGID_Y_EN: 0
; COMPUTE_PGM_RSRC2:TGID_Z_EN: 1
; COMPUTE_PGM_RSRC2:TIDIG_COMP_CNT: 1
; COMPUTE_PGM_RSRC3_GFX90A:ACCUM_OFFSET: 46
; COMPUTE_PGM_RSRC3_GFX90A:TG_SPLIT: 0
	.section	.text._ZL50rocblas_symv_kernel_upper_double_buffered_diagonalILi32ELi4E24rocblas_internal_val_ptrIfEPKPKfPKPfEvbiT1_lT2_lllSA_lllS9_lT3_llli,"axG",@progbits,_ZL50rocblas_symv_kernel_upper_double_buffered_diagonalILi32ELi4E24rocblas_internal_val_ptrIfEPKPKfPKPfEvbiT1_lT2_lllSA_lllS9_lT3_llli,comdat
	.globl	_ZL50rocblas_symv_kernel_upper_double_buffered_diagonalILi32ELi4E24rocblas_internal_val_ptrIfEPKPKfPKPfEvbiT1_lT2_lllSA_lllS9_lT3_llli ; -- Begin function _ZL50rocblas_symv_kernel_upper_double_buffered_diagonalILi32ELi4E24rocblas_internal_val_ptrIfEPKPKfPKPfEvbiT1_lT2_lllSA_lllS9_lT3_llli
	.p2align	8
	.type	_ZL50rocblas_symv_kernel_upper_double_buffered_diagonalILi32ELi4E24rocblas_internal_val_ptrIfEPKPKfPKPfEvbiT1_lT2_lllSA_lllS9_lT3_llli,@function
_ZL50rocblas_symv_kernel_upper_double_buffered_diagonalILi32ELi4E24rocblas_internal_val_ptrIfEPKPKfPKPfEvbiT1_lT2_lllSA_lllS9_lT3_llli: ; @_ZL50rocblas_symv_kernel_upper_double_buffered_diagonalILi32ELi4E24rocblas_internal_val_ptrIfEPKPKfPKPfEvbiT1_lT2_lllSA_lllS9_lT3_llli
; %bb.0:
	s_load_dword s0, s[4:5], 0x0
	s_load_dwordx8 s[8:15], s[4:5], 0x8
	s_load_dwordx2 s[20:21], s[4:5], 0x28
	s_mov_b32 s22, s7
	s_mov_b64 s[2:3], -1
	s_waitcnt lgkmcnt(0)
	s_bitcmp1_b32 s0, 0
	s_cselect_b64 s[0:1], -1, 0
	s_xor_b64 s[0:1], s[0:1], -1
	s_and_b64 vcc, exec, s[0:1]
                                        ; implicit-def: $sgpr28
	s_cbranch_vccnz .LBB130_7
; %bb.1:
	s_load_dwordx4 s[16:19], s[4:5], 0x58
	s_andn2_b64 vcc, exec, s[2:3]
	s_cbranch_vccz .LBB130_8
.LBB130_2:
	s_andn2_b64 vcc, exec, s[0:1]
	s_cbranch_vccnz .LBB130_4
.LBB130_3:
	s_waitcnt lgkmcnt(0)
	s_mul_i32 s0, s22, s19
	s_mul_hi_u32 s1, s22, s18
	s_add_i32 s1, s1, s0
	s_mul_i32 s0, s22, s18
	s_lshl_b64 s[0:1], s[0:1], 2
	s_add_u32 s0, s16, s0
	s_addc_u32 s1, s17, s1
	s_load_dword s16, s[0:1], 0x0
.LBB130_4:
	s_waitcnt lgkmcnt(0)
	v_cmp_eq_f32_e64 s[18:19], s28, 0
	v_cmp_eq_f32_e64 s[0:1], s16, 1.0
	s_and_b64 s[0:1], s[18:19], s[0:1]
	s_and_b64 vcc, exec, s[0:1]
	s_cbranch_vccnz .LBB130_43
; %bb.5:
	v_cmp_neq_f32_e64 s[26:27], s28, 0
	s_mov_b32 s23, 0
	s_and_b64 vcc, exec, s[26:27]
	s_cbranch_vccnz .LBB130_9
; %bb.6:
	s_mov_b64 s[8:9], 0
	s_load_dwordx2 s[24:25], s[4:5], 0x68
	s_cbranch_execz .LBB130_10
	s_branch .LBB130_11
.LBB130_7:
	s_mul_i32 s2, s22, s11
	s_mul_hi_u32 s3, s22, s10
	s_add_i32 s3, s3, s2
	s_mul_i32 s2, s22, s10
	s_lshl_b64 s[2:3], s[2:3], 2
	s_add_u32 s2, s8, s2
	s_addc_u32 s3, s9, s3
	s_load_dword s28, s[2:3], 0x0
	s_load_dwordx4 s[16:19], s[4:5], 0x58
	s_cbranch_execnz .LBB130_2
.LBB130_8:
	s_waitcnt lgkmcnt(0)
	s_mov_b32 s28, s8
	s_andn2_b64 vcc, exec, s[0:1]
	s_cbranch_vccz .LBB130_3
	s_branch .LBB130_4
.LBB130_9:
                                        ; implicit-def: $sgpr8_sgpr9
	s_load_dwordx2 s[24:25], s[4:5], 0x68
.LBB130_10:
	s_lshl_b64 s[0:1], s[22:23], 3
	s_add_u32 s0, s12, s0
	s_addc_u32 s1, s13, s1
	s_load_dwordx2 s[0:1], s[0:1], 0x0
	s_lshl_b64 s[2:3], s[14:15], 2
	s_waitcnt lgkmcnt(0)
	s_add_u32 s8, s0, s2
	s_addc_u32 s9, s1, s3
.LBB130_11:
	s_load_dwordx4 s[0:3], s[4:5], 0x38
	s_load_dwordx2 s[10:11], s[4:5], 0x48
	s_andn2_b64 vcc, exec, s[26:27]
	s_cbranch_vccnz .LBB130_13
; %bb.12:
	s_lshl_b64 s[12:13], s[22:23], 3
	s_waitcnt lgkmcnt(0)
	s_add_u32 s0, s0, s12
	s_addc_u32 s1, s1, s13
	s_load_dwordx2 s[0:1], s[0:1], 0x0
	s_lshl_b64 s[2:3], s[2:3], 2
	s_waitcnt lgkmcnt(0)
	s_add_u32 s12, s0, s2
	s_addc_u32 s13, s1, s3
	s_branch .LBB130_14
.LBB130_13:
	s_mov_b64 s[12:13], 0
.LBB130_14:
	s_waitcnt lgkmcnt(0)
	s_load_dwordx4 s[0:3], s[4:5], 0x70
	s_lshl_b64 s[4:5], s[22:23], 3
	s_add_u32 s4, s24, s4
	s_addc_u32 s5, s25, s5
	s_load_dwordx2 s[4:5], s[4:5], 0x0
	s_waitcnt lgkmcnt(0)
	s_lshl_b64 s[0:1], s[0:1], 2
	v_bfe_u32 v9, v0, 10, 10
	v_and_b32_e32 v8, 0x3ff, v0
	s_add_u32 s4, s4, s0
	s_addc_u32 s5, s5, s1
	s_lshl_b32 s6, s6, 5
	s_ashr_i32 s7, s6, 31
	s_mul_i32 s0, s6, s3
	s_mul_hi_u32 s1, s6, s2
	s_add_i32 s0, s1, s0
	s_mul_i32 s1, s7, s2
	s_add_i32 s1, s0, s1
	s_mul_i32 s0, s6, s2
	s_lshl_b64 s[0:1], s[0:1], 2
	s_add_u32 s14, s4, s0
	s_addc_u32 s15, s5, s1
	s_mov_b64 s[4:5], -1
	s_andn2_b64 vcc, exec, s[18:19]
	v_cmp_eq_u32_e64 s[0:1], 0, v9
	s_cbranch_vccnz .LBB130_18
; %bb.15:
	s_and_saveexec_b64 s[4:5], s[0:1]
	s_cbranch_execz .LBB130_17
; %bb.16:
	v_mad_u64_u32 v[0:1], s[0:1], v8, s2, 0
	v_mov_b32_e32 v2, v1
	v_mad_u64_u32 v[2:3], s[0:1], v8, s3, v[2:3]
	v_mov_b32_e32 v1, v2
	v_lshlrev_b64 v[0:1], 2, v[0:1]
	v_mov_b32_e32 v2, s15
	v_add_co_u32_e32 v0, vcc, s14, v0
	v_addc_co_u32_e32 v1, vcc, v2, v1, vcc
	global_load_dword v2, v[0:1], off
	s_waitcnt vmcnt(0)
	v_mul_f32_e32 v2, s16, v2
	global_store_dword v[0:1], v2, off
.LBB130_17:
	s_or_b64 exec, exec, s[4:5]
	s_mov_b64 s[4:5], 0
.LBB130_18:
	s_andn2_b64 vcc, exec, s[4:5]
	s_cbranch_vccnz .LBB130_43
; %bb.19:
	v_mov_b32_e32 v10, 0
	v_cmp_eq_u32_e64 s[0:1], 0, v9
	s_and_saveexec_b64 s[4:5], s[0:1]
	s_cbranch_execz .LBB130_23
; %bb.20:
	v_cmp_eq_f32_e64 s[18:19], s16, 0
	v_mov_b32_e32 v10, 0
	s_and_b64 vcc, exec, s[18:19]
	s_cbranch_vccnz .LBB130_22
; %bb.21:
	v_mad_u64_u32 v[0:1], s[18:19], v8, s2, 0
	v_mov_b32_e32 v2, v1
	v_mad_u64_u32 v[2:3], s[18:19], v8, s3, v[2:3]
	v_mov_b32_e32 v1, v2
	v_lshlrev_b64 v[0:1], 2, v[0:1]
	v_mov_b32_e32 v2, s15
	v_add_co_u32_e32 v0, vcc, s14, v0
	v_addc_co_u32_e32 v1, vcc, v2, v1, vcc
	global_load_dword v0, v[0:1], off
	s_waitcnt vmcnt(0)
	v_mul_f32_e32 v10, s16, v0
.LBB130_22:
	s_mul_i32 s17, s6, s11
	s_mul_hi_u32 s18, s6, s10
	s_add_i32 s17, s18, s17
	s_mul_i32 s18, s7, s10
	s_add_i32 s19, s17, s18
	s_mul_i32 s18, s6, s10
	s_lshl_b64 s[18:19], s[18:19], 2
	s_add_u32 s17, s12, s18
	s_addc_u32 s18, s13, s19
	v_mad_u64_u32 v[0:1], s[12:13], v8, s10, 0
	v_mov_b32_e32 v2, v1
	v_mad_u64_u32 v[2:3], s[10:11], v8, s11, v[2:3]
	v_mov_b32_e32 v1, v2
	v_lshlrev_b64 v[0:1], 2, v[0:1]
	v_mov_b32_e32 v2, s18
	v_add_co_u32_e32 v0, vcc, s17, v0
	v_addc_co_u32_e32 v1, vcc, v2, v1, vcc
	flat_load_dword v0, v[0:1]
	v_lshlrev_b32_e32 v1, 2, v8
	s_waitcnt vmcnt(0) lgkmcnt(0)
	ds_write_b32 v1, v0 offset:5120
.LBB130_23:
	s_or_b64 exec, exec, s[4:5]
	s_add_u32 s4, s20, 1
	s_addc_u32 s5, s21, 0
	s_mul_i32 s7, s4, s7
	s_mul_hi_u32 s10, s4, s6
	s_add_i32 s7, s10, s7
	s_mul_i32 s5, s5, s6
	s_add_i32 s5, s7, s5
	s_mul_i32 s4, s4, s6
	s_lshl_b64 s[4:5], s[4:5], 2
	s_add_u32 s6, s8, s4
	s_addc_u32 s7, s9, s5
	v_mad_u64_u32 v[0:1], s[4:5], v9, s20, 0
	v_mov_b32_e32 v2, v1
	v_mad_u64_u32 v[2:3], s[4:5], v9, s21, v[2:3]
	v_mov_b32_e32 v1, v2
	v_lshlrev_b64 v[0:1], 2, v[0:1]
	v_mov_b32_e32 v2, s7
	v_add_co_u32_e32 v0, vcc, s6, v0
	v_addc_co_u32_e32 v1, vcc, v2, v1, vcc
	v_lshlrev_b32_e32 v11, 2, v8
	v_add_co_u32_e32 v0, vcc, v0, v11
	v_addc_co_u32_e32 v1, vcc, 0, v1, vcc
	v_cmp_lt_u32_e32 vcc, 15, v8
	s_mul_i32 s12, s21, 12
	s_mul_hi_u32 s13, s20, 12
	s_mul_i32 s4, s20, 12
                                        ; implicit-def: $sgpr8_sgpr9
                                        ; implicit-def: $sgpr10_sgpr11
	s_and_saveexec_b64 s[6:7], vcc
	s_xor_b64 s[6:7], exec, s[6:7]
; %bb.24:
	s_lshl_b64 s[8:9], s[20:21], 2
	s_lshl_b64 s[10:11], s[20:21], 3
	s_add_i32 s5, s13, s12
; %bb.25:
	s_or_saveexec_b64 s[6:7], s[6:7]
	v_lshlrev_b32_e32 v12, 5, v9
	v_pk_mov_b32 v[2:3], s[4:5], s[4:5] op_sel:[0,1]
	v_pk_mov_b32 v[4:5], s[10:11], s[10:11] op_sel:[0,1]
	;; [unrolled: 1-line block ×3, first 2 shown]
	s_xor_b64 exec, exec, s[6:7]
	s_cbranch_execz .LBB130_27
; %bb.26:
	flat_load_dword v4, v[0:1]
	v_or_b32_e32 v2, v12, v8
	s_lshl_b64 s[8:9], s[20:21], 4
	v_lshlrev_b32_e32 v6, 2, v2
	v_mov_b32_e32 v5, s9
	v_add_co_u32_e32 v2, vcc, s8, v0
	v_addc_co_u32_e32 v3, vcc, v1, v5, vcc
	s_lshl_b64 s[10:11], s[20:21], 3
	s_add_i32 s5, s13, s12
	s_waitcnt vmcnt(0) lgkmcnt(0)
	ds_write_b32 v6, v4
	flat_load_dword v4, v[2:3]
	v_add_co_u32_e32 v2, vcc, s8, v2
	v_addc_co_u32_e32 v3, vcc, v3, v5, vcc
	s_waitcnt vmcnt(0) lgkmcnt(0)
	ds_write_b32 v6, v4 offset:512
	flat_load_dword v4, v[2:3]
	v_add_co_u32_e32 v2, vcc, s8, v2
	v_addc_co_u32_e32 v3, vcc, v3, v5, vcc
	s_lshl_b64 s[8:9], s[20:21], 2
	s_waitcnt vmcnt(0) lgkmcnt(0)
	ds_write_b32 v6, v4 offset:1024
	flat_load_dword v7, v[2:3]
	v_pk_mov_b32 v[2:3], s[4:5], s[4:5] op_sel:[0,1]
	v_pk_mov_b32 v[4:5], s[10:11], s[10:11] op_sel:[0,1]
	s_waitcnt vmcnt(0) lgkmcnt(0)
	ds_write_b32 v6, v7 offset:1536
	v_pk_mov_b32 v[6:7], s[8:9], s[8:9] op_sel:[0,1]
.LBB130_27:
	s_or_b64 exec, exec, s[6:7]
	s_lshl_b64 s[4:5], s[20:21], 6
	v_mov_b32_e32 v13, s5
	v_add_co_u32_e32 v14, vcc, s4, v0
	v_addc_co_u32_e32 v15, vcc, v1, v13, vcc
	flat_load_dword v1, v[14:15]
	v_lshlrev_b64 v[6:7], 2, v[6:7]
	v_add_lshl_u32 v0, v12, v8, 2
	v_add_co_u32_e32 v6, vcc, v14, v6
	v_addc_co_u32_e32 v7, vcc, v15, v7, vcc
	v_lshlrev_b64 v[4:5], 2, v[4:5]
	v_add_co_u32_e32 v4, vcc, v14, v4
	v_addc_co_u32_e32 v5, vcc, v15, v5, vcc
	v_lshlrev_b64 v[2:3], 2, v[2:3]
	v_add_co_u32_e32 v2, vcc, v14, v2
	v_addc_co_u32_e32 v3, vcc, v15, v3, vcc
	s_waitcnt vmcnt(0) lgkmcnt(0)
	ds_write_b32 v0, v1 offset:2048
	flat_load_dword v1, v[6:7]
	s_waitcnt vmcnt(0) lgkmcnt(0)
	ds_write_b32 v0, v1 offset:2560
	flat_load_dword v1, v[4:5]
	v_lshlrev_b32_e32 v4, 5, v8
	s_waitcnt vmcnt(0) lgkmcnt(0)
	ds_write_b32 v0, v1 offset:3072
	flat_load_dword v2, v[2:3]
	v_sub_u32_e32 v3, v8, v9
	v_sub_u32_e32 v5, 0, v3
	v_max_i32_e32 v6, v3, v5
	v_add_u32_e32 v1, 0x800, v0
	v_cmp_lt_u32_e32 vcc, 16, v6
	v_add_lshl_u32 v5, v9, v4, 2
	s_waitcnt vmcnt(0) lgkmcnt(0)
	ds_write_b32 v0, v2 offset:3584
	s_waitcnt lgkmcnt(0)
	s_barrier
	s_and_saveexec_b64 s[4:5], vcc
	s_cbranch_execz .LBB130_29
; %bb.28:
	ds_read_b32 v2, v5 offset:64
	s_waitcnt lgkmcnt(0)
	ds_write_b32 v1, v2
.LBB130_29:
	s_or_b64 exec, exec, s[4:5]
	v_add_u32_e32 v2, 0xa00, v0
	v_cmp_lt_u32_e32 vcc, 20, v6
	s_and_saveexec_b64 s[4:5], vcc
	s_cbranch_execz .LBB130_31
; %bb.30:
	ds_read_b32 v3, v5 offset:80
	s_waitcnt lgkmcnt(0)
	ds_write_b32 v2, v3
.LBB130_31:
	s_or_b64 exec, exec, s[4:5]
	v_add_u32_e32 v3, 0xc00, v0
	v_cmp_lt_u32_e32 vcc, 24, v6
	;; [unrolled: 10-line block ×3, first 2 shown]
	s_and_saveexec_b64 s[4:5], vcc
	s_cbranch_execz .LBB130_35
; %bb.34:
	ds_read_b32 v7, v5 offset:112
	s_waitcnt lgkmcnt(0)
	ds_write_b32 v4, v7
.LBB130_35:
	s_or_b64 exec, exec, s[4:5]
	v_add_u32_e32 v7, v12, v8
	v_cmp_ge_u32_e32 vcc, v8, v9
	v_lshlrev_b32_e32 v7, 2, v7
	s_and_saveexec_b64 s[4:5], vcc
	s_cbranch_execnz .LBB130_44
; %bb.36:
	s_or_b64 exec, exec, s[4:5]
	v_cmp_lt_u32_e32 vcc, 4, v6
	s_and_saveexec_b64 s[4:5], vcc
	s_cbranch_execnz .LBB130_45
.LBB130_37:
	s_or_b64 exec, exec, s[4:5]
	v_cmp_lt_u32_e32 vcc, 8, v6
	s_and_saveexec_b64 s[4:5], vcc
	s_cbranch_execz .LBB130_39
.LBB130_38:
	ds_read_b32 v13, v5 offset:32
	s_waitcnt lgkmcnt(0)
	ds_write_b32 v0, v13 offset:1024
.LBB130_39:
	s_or_b64 exec, exec, s[4:5]
	s_movk_i32 s4, 0x180
	v_cmp_lt_u32_e32 vcc, 12, v6
	v_add3_u32 v6, v12, v8, s4
	v_lshlrev_b32_e32 v6, 2, v6
	s_and_saveexec_b64 s[4:5], vcc
	s_cbranch_execz .LBB130_41
; %bb.40:
	ds_read_b32 v5, v5 offset:48
	s_waitcnt lgkmcnt(0)
	ds_write_b32 v6, v5
.LBB130_41:
	s_or_b64 exec, exec, s[4:5]
	v_lshlrev_b32_e32 v5, 2, v9
	v_add_u32_e32 v5, 0x1400, v5
	s_waitcnt lgkmcnt(0)
	s_barrier
	ds_read2_b32 v[12:13], v5 offset1:4
	ds_read_b32 v9, v7
	ds_read2st64_b32 v[14:15], v0 offset0:2 offset1:4
	ds_read2_b32 v[16:17], v5 offset0:8 offset1:12
	ds_read_b32 v6, v6
	s_waitcnt lgkmcnt(3)
	v_fma_f32 v9, v9, v12, 0
	s_waitcnt lgkmcnt(2)
	v_fmac_f32_e32 v9, v14, v13
	s_waitcnt lgkmcnt(1)
	v_fmac_f32_e32 v9, v15, v16
	ds_read2_b32 v[12:13], v5 offset0:16 offset1:20
	ds_read_b32 v14, v1
	ds_read_b32 v2, v2
	;; [unrolled: 1-line block ×3, first 2 shown]
	ds_read2_b32 v[0:1], v5 offset0:24 offset1:28
	ds_read_b32 v4, v4
	s_waitcnt lgkmcnt(6)
	v_fmac_f32_e32 v9, v6, v17
	s_waitcnt lgkmcnt(4)
	v_fmac_f32_e32 v9, v14, v12
	;; [unrolled: 2-line block ×5, first 2 shown]
	ds_write_b32 v7, v9 offset:4096
	s_waitcnt lgkmcnt(0)
	s_barrier
	s_and_saveexec_b64 s[4:5], s[0:1]
	s_cbranch_execz .LBB130_43
; %bb.42:
	v_add_u32_e32 v2, 0x1000, v11
	ds_read2_b32 v[0:1], v2 offset1:32
	ds_read2_b32 v[2:3], v2 offset0:64 offset1:96
	v_cmp_neq_f32_e64 vcc, s16, 0
	s_waitcnt lgkmcnt(1)
	v_add_f32_e32 v0, 0, v0
	v_add_f32_e32 v0, v0, v1
	s_waitcnt lgkmcnt(0)
	v_add_f32_e32 v0, v0, v2
	v_add_f32_e32 v0, v0, v3
	v_mul_f32_e32 v1, s28, v0
	v_fmac_f32_e32 v10, s28, v0
	v_cndmask_b32_e32 v4, v1, v10, vcc
	v_mad_u64_u32 v[0:1], s[0:1], v8, s2, 0
	v_mov_b32_e32 v2, v1
	v_mad_u64_u32 v[2:3], s[0:1], v8, s3, v[2:3]
	v_mov_b32_e32 v1, v2
	v_lshlrev_b64 v[0:1], 2, v[0:1]
	v_mov_b32_e32 v2, s15
	v_add_co_u32_e32 v0, vcc, s14, v0
	v_addc_co_u32_e32 v1, vcc, v2, v1, vcc
	global_store_dword v[0:1], v4, off
.LBB130_43:
	s_endpgm
.LBB130_44:
	ds_read_b32 v13, v5
	s_waitcnt lgkmcnt(0)
	ds_write_b32 v7, v13
	s_or_b64 exec, exec, s[4:5]
	v_cmp_lt_u32_e32 vcc, 4, v6
	s_and_saveexec_b64 s[4:5], vcc
	s_cbranch_execz .LBB130_37
.LBB130_45:
	ds_read_b32 v13, v5 offset:16
	s_waitcnt lgkmcnt(0)
	ds_write_b32 v0, v13 offset:512
	s_or_b64 exec, exec, s[4:5]
	v_cmp_lt_u32_e32 vcc, 8, v6
	s_and_saveexec_b64 s[4:5], vcc
	s_cbranch_execnz .LBB130_38
	s_branch .LBB130_39
	.section	.rodata,"a",@progbits
	.p2align	6, 0x0
	.amdhsa_kernel _ZL50rocblas_symv_kernel_upper_double_buffered_diagonalILi32ELi4E24rocblas_internal_val_ptrIfEPKPKfPKPfEvbiT1_lT2_lllSA_lllS9_lT3_llli
		.amdhsa_group_segment_fixed_size 5248
		.amdhsa_private_segment_fixed_size 0
		.amdhsa_kernarg_size 140
		.amdhsa_user_sgpr_count 6
		.amdhsa_user_sgpr_private_segment_buffer 1
		.amdhsa_user_sgpr_dispatch_ptr 0
		.amdhsa_user_sgpr_queue_ptr 0
		.amdhsa_user_sgpr_kernarg_segment_ptr 1
		.amdhsa_user_sgpr_dispatch_id 0
		.amdhsa_user_sgpr_flat_scratch_init 0
		.amdhsa_user_sgpr_kernarg_preload_length 0
		.amdhsa_user_sgpr_kernarg_preload_offset 0
		.amdhsa_user_sgpr_private_segment_size 0
		.amdhsa_uses_dynamic_stack 0
		.amdhsa_system_sgpr_private_segment_wavefront_offset 0
		.amdhsa_system_sgpr_workgroup_id_x 1
		.amdhsa_system_sgpr_workgroup_id_y 0
		.amdhsa_system_sgpr_workgroup_id_z 1
		.amdhsa_system_sgpr_workgroup_info 0
		.amdhsa_system_vgpr_workitem_id 1
		.amdhsa_next_free_vgpr 18
		.amdhsa_next_free_sgpr 29
		.amdhsa_accum_offset 20
		.amdhsa_reserve_vcc 1
		.amdhsa_reserve_flat_scratch 0
		.amdhsa_float_round_mode_32 0
		.amdhsa_float_round_mode_16_64 0
		.amdhsa_float_denorm_mode_32 3
		.amdhsa_float_denorm_mode_16_64 3
		.amdhsa_dx10_clamp 1
		.amdhsa_ieee_mode 1
		.amdhsa_fp16_overflow 0
		.amdhsa_tg_split 0
		.amdhsa_exception_fp_ieee_invalid_op 0
		.amdhsa_exception_fp_denorm_src 0
		.amdhsa_exception_fp_ieee_div_zero 0
		.amdhsa_exception_fp_ieee_overflow 0
		.amdhsa_exception_fp_ieee_underflow 0
		.amdhsa_exception_fp_ieee_inexact 0
		.amdhsa_exception_int_div_zero 0
	.end_amdhsa_kernel
	.section	.text._ZL50rocblas_symv_kernel_upper_double_buffered_diagonalILi32ELi4E24rocblas_internal_val_ptrIfEPKPKfPKPfEvbiT1_lT2_lllSA_lllS9_lT3_llli,"axG",@progbits,_ZL50rocblas_symv_kernel_upper_double_buffered_diagonalILi32ELi4E24rocblas_internal_val_ptrIfEPKPKfPKPfEvbiT1_lT2_lllSA_lllS9_lT3_llli,comdat
.Lfunc_end130:
	.size	_ZL50rocblas_symv_kernel_upper_double_buffered_diagonalILi32ELi4E24rocblas_internal_val_ptrIfEPKPKfPKPfEvbiT1_lT2_lllSA_lllS9_lT3_llli, .Lfunc_end130-_ZL50rocblas_symv_kernel_upper_double_buffered_diagonalILi32ELi4E24rocblas_internal_val_ptrIfEPKPKfPKPfEvbiT1_lT2_lllSA_lllS9_lT3_llli
                                        ; -- End function
	.section	.AMDGPU.csdata,"",@progbits
; Kernel info:
; codeLenInByte = 2028
; NumSgprs: 33
; NumVgprs: 18
; NumAgprs: 0
; TotalNumVgprs: 18
; ScratchSize: 0
; MemoryBound: 0
; FloatMode: 240
; IeeeMode: 1
; LDSByteSize: 5248 bytes/workgroup (compile time only)
; SGPRBlocks: 4
; VGPRBlocks: 2
; NumSGPRsForWavesPerEU: 33
; NumVGPRsForWavesPerEU: 18
; AccumOffset: 20
; Occupancy: 6
; WaveLimiterHint : 1
; COMPUTE_PGM_RSRC2:SCRATCH_EN: 0
; COMPUTE_PGM_RSRC2:USER_SGPR: 6
; COMPUTE_PGM_RSRC2:TRAP_HANDLER: 0
; COMPUTE_PGM_RSRC2:TGID_X_EN: 1
; COMPUTE_PGM_RSRC2:TGID_Y_EN: 0
; COMPUTE_PGM_RSRC2:TGID_Z_EN: 1
; COMPUTE_PGM_RSRC2:TIDIG_COMP_CNT: 1
; COMPUTE_PGM_RSRC3_GFX90A:ACCUM_OFFSET: 4
; COMPUTE_PGM_RSRC3_GFX90A:TG_SPLIT: 0
	.section	.text._ZL54rocblas_symv_kernel_upper_double_buffered_non_diagonalILi32ELi4ELi4E24rocblas_internal_val_ptrIfEPKPKfPKPfEvbiT2_lT3_lllSA_lllT4_llli,"axG",@progbits,_ZL54rocblas_symv_kernel_upper_double_buffered_non_diagonalILi32ELi4ELi4E24rocblas_internal_val_ptrIfEPKPKfPKPfEvbiT2_lT3_lllSA_lllT4_llli,comdat
	.globl	_ZL54rocblas_symv_kernel_upper_double_buffered_non_diagonalILi32ELi4ELi4E24rocblas_internal_val_ptrIfEPKPKfPKPfEvbiT2_lT3_lllSA_lllT4_llli ; -- Begin function _ZL54rocblas_symv_kernel_upper_double_buffered_non_diagonalILi32ELi4ELi4E24rocblas_internal_val_ptrIfEPKPKfPKPfEvbiT2_lT3_lllSA_lllT4_llli
	.p2align	8
	.type	_ZL54rocblas_symv_kernel_upper_double_buffered_non_diagonalILi32ELi4ELi4E24rocblas_internal_val_ptrIfEPKPKfPKPfEvbiT2_lT3_lllSA_lllT4_llli,@function
_ZL54rocblas_symv_kernel_upper_double_buffered_non_diagonalILi32ELi4ELi4E24rocblas_internal_val_ptrIfEPKPKfPKPfEvbiT2_lT3_lllSA_lllT4_llli: ; @_ZL54rocblas_symv_kernel_upper_double_buffered_non_diagonalILi32ELi4ELi4E24rocblas_internal_val_ptrIfEPKPKfPKPfEvbiT2_lT3_lllSA_lllT4_llli
; %bb.0:
	s_load_dword s0, s[4:5], 0x0
	s_load_dwordx8 s[12:19], s[4:5], 0x8
	s_load_dwordx2 s[2:3], s[4:5], 0x28
	s_waitcnt lgkmcnt(0)
	s_bitcmp0_b32 s0, 0
	s_cbranch_scc0 .LBB131_2
; %bb.1:
	s_mul_i32 s0, s8, s15
	s_mul_hi_u32 s1, s8, s14
	s_add_i32 s1, s1, s0
	s_mul_i32 s0, s8, s14
	s_lshl_b64 s[0:1], s[0:1], 2
	s_add_u32 s0, s12, s0
	s_addc_u32 s1, s13, s1
	s_load_dword s20, s[0:1], 0x0
	s_cbranch_execz .LBB131_3
	s_branch .LBB131_4
.LBB131_2:
                                        ; implicit-def: $sgpr20
.LBB131_3:
	s_waitcnt lgkmcnt(0)
	s_mov_b32 s20, s12
.LBB131_4:
	s_waitcnt lgkmcnt(0)
	v_cmp_eq_f32_e64 s[0:1], s20, 0
	s_and_b64 vcc, exec, s[0:1]
	s_cbranch_vccnz .LBB131_24
; %bb.5:
	s_load_dword s10, s[4:5], 0x84
	s_cmp_eq_u32 s6, 0
	s_waitcnt lgkmcnt(0)
	v_cvt_f32_u32_e32 v1, s10
	v_rcp_iflag_f32_e32 v1, v1
	v_mul_f32_e32 v1, 0x4f7ffffe, v1
	v_cvt_u32_f32_e32 v1, v1
	v_readfirstlane_b32 s0, v1
	s_cbranch_scc1 .LBB131_24
; %bb.6:
	s_sub_i32 s1, 0, s10
	s_mul_i32 s1, s1, s0
	s_mul_hi_u32 s1, s0, s1
	s_load_dwordx4 s[24:27], s[4:5], 0x38
	s_load_dwordx2 s[12:13], s[4:5], 0x48
	s_mov_b32 s9, 0
	s_add_i32 s11, s0, s1
	s_lshl_b64 s[0:1], s[8:9], 3
	s_add_u32 s14, s16, s0
	s_addc_u32 s15, s17, s1
	s_waitcnt lgkmcnt(0)
	s_add_u32 s8, s24, s0
	s_addc_u32 s9, s25, s1
	s_load_dwordx2 s[16:17], s[8:9], 0x0
	s_load_dwordx2 s[22:23], s[4:5], 0x58
	s_lshl_b64 s[8:9], s[26:27], 2
	v_and_b32_e32 v24, 0x3ff, v0
	v_bfe_u32 v0, v0, 10, 10
	s_waitcnt lgkmcnt(0)
	s_add_u32 s25, s16, s8
	s_addc_u32 s26, s17, s9
	s_add_u32 s16, s22, s0
	s_addc_u32 s17, s23, s1
	s_lshl_b32 s21, s6, 5
	s_mul_hi_u32 s11, s6, s11
	s_ashr_i32 s22, s21, 31
	v_cmp_eq_u32_e32 vcc, 0, v0
	s_and_saveexec_b64 s[8:9], vcc
	s_cbranch_execz .LBB131_8
; %bb.7:
	s_mul_i32 s0, s21, s13
	s_mul_hi_u32 s1, s21, s12
	s_add_i32 s0, s1, s0
	s_mul_i32 s1, s22, s12
	s_add_i32 s1, s0, s1
	s_mul_i32 s0, s21, s12
	s_lshl_b64 s[0:1], s[0:1], 2
	s_add_u32 s23, s25, s0
	s_addc_u32 s24, s26, s1
	v_mad_u64_u32 v[2:3], s[0:1], v24, s12, 0
	v_mov_b32_e32 v4, v3
	v_mad_u64_u32 v[4:5], s[0:1], v24, s13, v[4:5]
	v_mov_b32_e32 v3, v4
	v_lshlrev_b64 v[2:3], 2, v[2:3]
	v_mov_b32_e32 v1, s24
	v_add_co_u32_e64 v2, s[0:1], s23, v2
	v_addc_co_u32_e64 v3, s[0:1], v1, v3, s[0:1]
	global_load_dword v1, v[2:3], off
	v_lshlrev_b32_e32 v2, 2, v24
	s_waitcnt vmcnt(0)
	ds_write_b32 v2, v1 offset:3072
.LBB131_8:
	s_or_b64 exec, exec, s[8:9]
	s_mul_i32 s0, s11, s10
	s_sub_i32 s0, s6, s0
	s_add_i32 s1, s11, 1
	s_sub_i32 s8, s0, s10
	s_cmp_ge_u32 s0, s10
	s_cselect_b32 s1, s1, s11
	s_cselect_b32 s0, s8, s0
	s_add_i32 s8, s1, 1
	s_cmp_ge_u32 s0, s10
	s_cselect_b32 s0, s8, s1
	s_add_i32 s1, s10, -1
	s_cmp_lg_u32 s7, s1
	s_mov_b32 s23, s0
	s_cbranch_scc1 .LBB131_10
; %bb.9:
	s_mul_i32 s1, s0, s10
	s_sub_i32 s1, s6, s1
	s_add_i32 s23, s1, s0
.LBB131_10:
	s_cmp_eq_u32 s23, 0
	s_cbranch_scc1 .LBB131_24
; %bb.11:
	s_load_dwordx4 s[8:11], s[4:5], 0x60
	s_load_dwordx2 s[28:29], s[16:17], 0x0
	v_lshl_add_u32 v0, v0, 5, v24
	v_and_b32_e32 v4, 15, v24
	v_lshrrev_b32_e32 v25, 4, v0
	s_waitcnt lgkmcnt(0)
	s_lshl_b64 s[4:5], s[8:9], 2
	s_add_u32 s16, s28, s4
	s_addc_u32 s17, s29, s5
	s_mov_b32 s24, 0
	s_cmp_lt_i32 s23, 1
	v_mov_b32_e32 v28, 0
	v_lshlrev_b32_e32 v26, 2, v4
	v_mov_b32_e32 v31, 0
	v_mov_b32_e32 v33, 0
	;; [unrolled: 1-line block ×3, first 2 shown]
	s_barrier
	s_cbranch_scc1 .LBB131_21
; %bb.12:
	v_lshlrev_b32_e32 v3, 2, v25
	v_mov_b32_e32 v5, 0
	v_mad_u64_u32 v[0:1], s[4:5], v3, s2, v[4:5]
	v_mov_b32_e32 v2, v1
	v_mad_u64_u32 v[2:3], s[4:5], v3, s3, v[2:3]
	;; [unrolled: 2-line block ×3, first 2 shown]
	v_mov_b32_e32 v6, v3
	s_mul_i32 s7, s7, s0
	v_mad_u64_u32 v[6:7], s[4:5], v4, s13, v[6:7]
	s_lshl_b32 s0, s7, 5
	s_ashr_i32 s1, s0, 31
	s_mul_i32 s4, s0, s11
	s_mul_hi_u32 s5, s0, s10
	s_load_dwordx2 s[8:9], s[14:15], 0x0
	s_add_i32 s4, s5, s4
	s_mul_i32 s5, s1, s10
	s_add_i32 s5, s4, s5
	s_mul_i32 s4, s0, s10
	s_lshl_b64 s[4:5], s[4:5], 2
	s_add_u32 s4, s16, s4
	s_addc_u32 s5, s17, s5
	s_lshl_b64 s[6:7], s[18:19], 2
	s_waitcnt lgkmcnt(0)
	s_add_u32 s8, s8, s6
	s_addc_u32 s9, s9, s7
	s_mul_i32 s6, s21, s3
	s_mul_hi_u32 s7, s21, s2
	s_add_i32 s6, s7, s6
	s_mul_i32 s7, s22, s2
	s_add_i32 s7, s6, s7
	s_mul_i32 s6, s21, s2
	s_lshl_b64 s[6:7], s[6:7], 2
	s_add_u32 s8, s8, s6
	s_addc_u32 s9, s9, s7
	s_lshl_b64 s[6:7], s[0:1], 2
	s_add_u32 s14, s8, s6
	s_addc_u32 s15, s9, s7
	s_mul_i32 s6, s0, s13
	s_mul_hi_u32 s7, s0, s12
	s_add_i32 s6, s7, s6
	s_mul_i32 s1, s1, s12
	s_add_i32 s1, s6, s1
	s_mul_i32 s0, s0, s12
	s_lshl_b64 s[0:1], s[0:1], 2
	v_mov_b32_e32 v3, v6
	s_add_u32 s18, s25, s0
	v_lshlrev_b64 v[6:7], 2, v[0:1]
	s_addc_u32 s19, s26, s1
	v_mov_b32_e32 v1, s15
	v_add_co_u32_e64 v0, s[0:1], s14, v6
	v_addc_co_u32_e64 v1, s[0:1], v1, v7, s[0:1]
	s_lshl_b64 s[6:7], s[2:3], 2
	v_mov_b32_e32 v27, s7
	v_add_co_u32_e64 v8, s[0:1], s6, v0
	v_addc_co_u32_e64 v9, s[0:1], v1, v27, s[0:1]
	global_load_dword v29, v[0:1], off
	global_load_dword v32, v[8:9], off
	v_add_co_u32_e64 v0, s[0:1], s6, v8
	v_addc_co_u32_e64 v1, s[0:1], v9, v27, s[0:1]
	v_lshlrev_b64 v[8:9], 2, v[2:3]
	v_mov_b32_e32 v3, s19
	v_add_co_u32_e64 v2, s[0:1], s18, v8
	v_addc_co_u32_e64 v3, s[0:1], v3, v9, s[0:1]
	global_load_dword v34, v[0:1], off
	v_add_co_u32_e64 v0, s[0:1], s6, v0
	v_addc_co_u32_e64 v1, s[0:1], v1, v27, s[0:1]
	global_load_dword v37, v[2:3], off
	global_load_dword v38, v[0:1], off
	v_or_b32_e32 v3, 16, v4
	v_mad_u64_u32 v[0:1], s[0:1], v3, s12, 0
	v_mov_b32_e32 v2, v1
	v_mad_u64_u32 v[2:3], s[0:1], v3, s13, v[2:3]
	v_mov_b32_e32 v1, v2
	v_lshl_or_b32 v2, v25, 7, v26
	v_add_u32_e32 v30, 0x800, v2
	v_mad_u64_u32 v[2:3], s[0:1], v24, s10, 0
	v_mov_b32_e32 v10, v3
	v_mad_u64_u32 v[10:11], s[0:1], v24, s11, v[10:11]
	v_mov_b32_e32 v3, v10
	v_mov_b32_e32 v10, 0xc00
	v_lshl_add_u32 v35, v25, 4, v10
	v_mov_b32_e32 v10, 0x800
	s_lshl_b64 s[8:9], s[12:13], 7
	s_add_i32 s25, s23, -1
	s_lshl_b64 s[12:13], s[10:11], 7
	v_lshl_add_u32 v36, v24, 2, v10
	v_pk_mov_b32 v[10:11], s[4:5], s[4:5] op_sel:[0,1]
	v_lshlrev_b64 v[12:13], 2, v[0:1]
	v_lshlrev_b64 v[14:15], 2, v[2:3]
	v_mov_b32_e32 v33, v5
	v_mov_b32_e32 v31, v5
	;; [unrolled: 1-line block ×3, first 2 shown]
	s_waitcnt vmcnt(4)
	v_mov_b32_e32 v39, v29
	s_waitcnt vmcnt(3)
	v_mov_b32_e32 v40, v32
	;; [unrolled: 2-line block ×5, first 2 shown]
.LBB131_13:                             ; =>This Loop Header: Depth=1
                                        ;     Child Loop BB131_17 Depth 2
	v_mov_b32_e32 v1, s19
	v_add_co_u32_e64 v0, s[0:1], s18, v12
	v_addc_co_u32_e64 v1, s[0:1], v1, v13, s[0:1]
	global_load_dword v44, v[0:1], off
	v_mov_b32_e32 v0, s15
	v_add_co_u32_e64 v16, s[0:1], s14, v6
	v_addc_co_u32_e64 v17, s[0:1], v0, v7, s[0:1]
	v_add_co_u32_e64 v18, s[0:1], s6, v16
	v_addc_co_u32_e64 v19, s[0:1], v17, v27, s[0:1]
	;; [unrolled: 2-line block ×3, first 2 shown]
	v_add_co_u32_e64 v22, s[2:3], s6, v20
	global_load_dword v45, v[16:17], off offset:64
	global_load_dword v46, v[18:19], off offset:64
	v_addc_co_u32_e64 v23, s[4:5], v21, v27, s[2:3]
	global_load_dword v47, v[20:21], off offset:64
	global_load_dword v48, v[22:23], off offset:64
	ds_read_b128 v[0:3], v35
	s_add_u32 s18, s18, s8
	s_addc_u32 s19, s19, s9
	s_cmp_eq_u32 s24, s25
	s_cbranch_scc1 .LBB131_15
; %bb.14:                               ;   in Loop: Header=BB131_13 Depth=1
	v_mov_b32_e32 v23, s7
	v_addc_co_u32_e64 v21, s[0:1], v19, v23, s[0:1]
	v_addc_co_u32_e64 v23, s[0:1], v21, v23, s[2:3]
	global_load_dword v39, v[16:17], off offset:128
	global_load_dword v40, v[18:19], off offset:128
	;; [unrolled: 1-line block ×4, first 2 shown]
	v_mov_b32_e32 v17, s19
	v_add_co_u32_e64 v16, s[0:1], s18, v8
	v_addc_co_u32_e64 v17, s[0:1], v17, v9, s[0:1]
	global_load_dword v43, v[16:17], off
.LBB131_15:                             ;   in Loop: Header=BB131_13 Depth=1
	s_waitcnt lgkmcnt(0)
	v_fma_f32 v16, v29, v0, 0
	s_waitcnt vmcnt(3)
	v_fma_f32 v0, v45, v0, 0
	v_fmac_f32_e32 v16, v32, v1
	s_waitcnt vmcnt(2)
	v_fmac_f32_e32 v0, v46, v1
	v_fmac_f32_e32 v16, v34, v2
	s_waitcnt vmcnt(1)
	v_fmac_f32_e32 v0, v47, v2
	;; [unrolled: 3-line block ×3, first 2 shown]
	s_barrier
	ds_write2_b32 v30, v16, v0 offset1:16
	s_waitcnt lgkmcnt(0)
	s_barrier
	s_and_saveexec_b64 s[2:3], vcc
	s_cbranch_execz .LBB131_19
; %bb.16:                               ;   in Loop: Header=BB131_13 Depth=1
	v_add_co_u32_e64 v0, s[0:1], v10, v14
	v_addc_co_u32_e64 v1, s[0:1], v11, v15, s[0:1]
	global_load_dword v3, v[0:1], off
	ds_read2_b32 v[16:17], v36 offset1:32
	ds_read2_b32 v[18:19], v36 offset0:64 offset1:96
	ds_read2_b32 v[20:21], v36 offset0:128 offset1:160
	s_mov_b64 s[4:5], 0
	s_waitcnt lgkmcnt(2)
	v_add_f32_e32 v2, 0, v16
	v_add_f32_e32 v2, v2, v17
	ds_read2_b32 v[16:17], v36 offset0:192 offset1:224
	s_waitcnt lgkmcnt(2)
	v_add_f32_e32 v2, v2, v18
	v_add_f32_e32 v2, v2, v19
	s_waitcnt lgkmcnt(1)
	v_add_f32_e32 v2, v2, v20
	v_add_f32_e32 v2, v2, v21
	;; [unrolled: 3-line block ×3, first 2 shown]
	v_mul_f32_e32 v16, s20, v2
.LBB131_17:                             ;   Parent Loop BB131_13 Depth=1
                                        ; =>  This Inner Loop Header: Depth=2
	s_waitcnt vmcnt(0)
	v_add_f32_e32 v2, v3, v16
	global_atomic_cmpswap v2, v[0:1], v[2:3], off glc
	s_waitcnt vmcnt(0)
	v_cmp_eq_u32_e64 s[0:1], v2, v3
	s_or_b64 s[4:5], s[0:1], s[4:5]
	v_mov_b32_e32 v3, v2
	s_andn2_b64 exec, exec, s[4:5]
	s_cbranch_execnz .LBB131_17
; %bb.18:                               ;   in Loop: Header=BB131_13 Depth=1
	s_or_b64 exec, exec, s[4:5]
	v_mov_b32_e32 v0, s13
	v_add_co_u32_e64 v10, s[0:1], s12, v10
	v_addc_co_u32_e64 v11, s[0:1], v11, v0, s[0:1]
.LBB131_19:                             ;   in Loop: Header=BB131_13 Depth=1
	s_or_b64 exec, exec, s[2:3]
	s_add_u32 s14, s14, 0x80
	v_fmac_f32_e32 v5, v37, v29
	v_fmac_f32_e32 v33, v37, v32
	;; [unrolled: 1-line block ×4, first 2 shown]
	s_addc_u32 s15, s15, 0
	s_add_i32 s24, s24, 1
	v_fmac_f32_e32 v5, v44, v45
	v_fmac_f32_e32 v33, v44, v46
	;; [unrolled: 1-line block ×4, first 2 shown]
	s_cmp_eq_u32 s24, s23
	s_cbranch_scc1 .LBB131_21
; %bb.20:                               ;   in Loop: Header=BB131_13 Depth=1
	v_mov_b32_e32 v37, v43
	v_mov_b32_e32 v29, v39
	;; [unrolled: 1-line block ×5, first 2 shown]
	s_branch .LBB131_13
.LBB131_21:
	v_lshl_or_b32 v0, v25, 8, v26
	ds_write2_b32 v0, v5, v33 offset1:16
	ds_write2_b32 v0, v31, v28 offset0:32 offset1:48
	s_waitcnt lgkmcnt(0)
	s_barrier
	s_and_saveexec_b64 s[0:1], vcc
	s_cbranch_execz .LBB131_24
; %bb.22:
	s_mul_i32 s0, s21, s11
	s_mul_hi_u32 s1, s21, s10
	s_add_i32 s0, s1, s0
	s_mul_i32 s22, s22, s10
	s_add_i32 s1, s0, s22
	s_mul_i32 s0, s21, s10
	s_lshl_b64 s[0:1], s[0:1], 2
	s_add_u32 s2, s16, s0
	s_addc_u32 s3, s17, s1
	v_mad_u64_u32 v[0:1], s[0:1], v24, s10, 0
	v_mov_b32_e32 v2, v1
	v_mad_u64_u32 v[2:3], s[0:1], v24, s11, v[2:3]
	v_mov_b32_e32 v1, v2
	v_lshlrev_b64 v[0:1], 2, v[0:1]
	v_mov_b32_e32 v2, s3
	v_add_co_u32_e32 v0, vcc, s2, v0
	v_addc_co_u32_e32 v1, vcc, v2, v1, vcc
	global_load_dword v3, v[0:1], off
	v_lshlrev_b32_e32 v5, 4, v24
	v_add_u32_e32 v6, 1, v24
	v_add_u32_e32 v7, 2, v24
	;; [unrolled: 1-line block ×7, first 2 shown]
	v_or_b32_e32 v4, v4, v5
	v_and_or_b32 v6, v6, 15, v5
	v_and_or_b32 v7, v7, 15, v5
	;; [unrolled: 1-line block ×7, first 2 shown]
	v_lshlrev_b32_e32 v2, 2, v4
	v_lshlrev_b32_e32 v6, 2, v6
	v_lshlrev_b32_e32 v7, 2, v7
	v_lshlrev_b32_e32 v8, 2, v8
	v_lshlrev_b32_e32 v9, 2, v9
	v_lshlrev_b32_e32 v10, 2, v10
	v_lshlrev_b32_e32 v11, 2, v11
	v_lshlrev_b32_e32 v12, 2, v12
	ds_read_b32 v2, v2
	ds_read_b32 v6, v6
	;; [unrolled: 1-line block ×8, first 2 shown]
	s_waitcnt lgkmcnt(7)
	v_add_f32_e32 v2, 0, v2
	s_waitcnt lgkmcnt(6)
	v_add_f32_e32 v2, v2, v6
	;; [unrolled: 2-line block ×8, first 2 shown]
	v_add_u32_e32 v6, 9, v24
	v_add_u32_e32 v7, 10, v24
	;; [unrolled: 1-line block ×6, first 2 shown]
	v_add_u32_e32 v12, -1, v24
	v_xor_b32_e32 v4, 8, v4
	v_and_or_b32 v6, v6, 15, v5
	v_and_or_b32 v7, v7, 15, v5
	;; [unrolled: 1-line block ×7, first 2 shown]
	v_lshlrev_b32_e32 v4, 2, v4
	v_lshlrev_b32_e32 v6, 2, v6
	;; [unrolled: 1-line block ×8, first 2 shown]
	ds_read_b32 v4, v4
	ds_read_b32 v6, v6
	;; [unrolled: 1-line block ×8, first 2 shown]
	s_waitcnt lgkmcnt(7)
	v_add_f32_e32 v2, v2, v4
	s_waitcnt lgkmcnt(6)
	v_add_f32_e32 v2, v2, v6
	;; [unrolled: 2-line block ×8, first 2 shown]
	v_mul_f32_e32 v4, s20, v2
	s_mov_b64 s[0:1], 0
.LBB131_23:                             ; =>This Inner Loop Header: Depth=1
	s_waitcnt vmcnt(0)
	v_add_f32_e32 v2, v3, v4
	global_atomic_cmpswap v2, v[0:1], v[2:3], off glc
	s_waitcnt vmcnt(0)
	v_cmp_eq_u32_e32 vcc, v2, v3
	s_or_b64 s[0:1], vcc, s[0:1]
	v_mov_b32_e32 v3, v2
	s_andn2_b64 exec, exec, s[0:1]
	s_cbranch_execnz .LBB131_23
.LBB131_24:
	s_endpgm
	.section	.rodata,"a",@progbits
	.p2align	6, 0x0
	.amdhsa_kernel _ZL54rocblas_symv_kernel_upper_double_buffered_non_diagonalILi32ELi4ELi4E24rocblas_internal_val_ptrIfEPKPKfPKPfEvbiT2_lT3_lllSA_lllT4_llli
		.amdhsa_group_segment_fixed_size 3200
		.amdhsa_private_segment_fixed_size 0
		.amdhsa_kernarg_size 384
		.amdhsa_user_sgpr_count 6
		.amdhsa_user_sgpr_private_segment_buffer 1
		.amdhsa_user_sgpr_dispatch_ptr 0
		.amdhsa_user_sgpr_queue_ptr 0
		.amdhsa_user_sgpr_kernarg_segment_ptr 1
		.amdhsa_user_sgpr_dispatch_id 0
		.amdhsa_user_sgpr_flat_scratch_init 0
		.amdhsa_user_sgpr_kernarg_preload_length 0
		.amdhsa_user_sgpr_kernarg_preload_offset 0
		.amdhsa_user_sgpr_private_segment_size 0
		.amdhsa_uses_dynamic_stack 0
		.amdhsa_system_sgpr_private_segment_wavefront_offset 0
		.amdhsa_system_sgpr_workgroup_id_x 1
		.amdhsa_system_sgpr_workgroup_id_y 1
		.amdhsa_system_sgpr_workgroup_id_z 1
		.amdhsa_system_sgpr_workgroup_info 0
		.amdhsa_system_vgpr_workitem_id 1
		.amdhsa_next_free_vgpr 49
		.amdhsa_next_free_sgpr 30
		.amdhsa_accum_offset 52
		.amdhsa_reserve_vcc 1
		.amdhsa_reserve_flat_scratch 0
		.amdhsa_float_round_mode_32 0
		.amdhsa_float_round_mode_16_64 0
		.amdhsa_float_denorm_mode_32 3
		.amdhsa_float_denorm_mode_16_64 3
		.amdhsa_dx10_clamp 1
		.amdhsa_ieee_mode 1
		.amdhsa_fp16_overflow 0
		.amdhsa_tg_split 0
		.amdhsa_exception_fp_ieee_invalid_op 0
		.amdhsa_exception_fp_denorm_src 0
		.amdhsa_exception_fp_ieee_div_zero 0
		.amdhsa_exception_fp_ieee_overflow 0
		.amdhsa_exception_fp_ieee_underflow 0
		.amdhsa_exception_fp_ieee_inexact 0
		.amdhsa_exception_int_div_zero 0
	.end_amdhsa_kernel
	.section	.text._ZL54rocblas_symv_kernel_upper_double_buffered_non_diagonalILi32ELi4ELi4E24rocblas_internal_val_ptrIfEPKPKfPKPfEvbiT2_lT3_lllSA_lllT4_llli,"axG",@progbits,_ZL54rocblas_symv_kernel_upper_double_buffered_non_diagonalILi32ELi4ELi4E24rocblas_internal_val_ptrIfEPKPKfPKPfEvbiT2_lT3_lllSA_lllT4_llli,comdat
.Lfunc_end131:
	.size	_ZL54rocblas_symv_kernel_upper_double_buffered_non_diagonalILi32ELi4ELi4E24rocblas_internal_val_ptrIfEPKPKfPKPfEvbiT2_lT3_lllSA_lllT4_llli, .Lfunc_end131-_ZL54rocblas_symv_kernel_upper_double_buffered_non_diagonalILi32ELi4ELi4E24rocblas_internal_val_ptrIfEPKPKfPKPfEvbiT2_lT3_lllSA_lllT4_llli
                                        ; -- End function
	.section	.AMDGPU.csdata,"",@progbits
; Kernel info:
; codeLenInByte = 2384
; NumSgprs: 34
; NumVgprs: 49
; NumAgprs: 0
; TotalNumVgprs: 49
; ScratchSize: 0
; MemoryBound: 0
; FloatMode: 240
; IeeeMode: 1
; LDSByteSize: 3200 bytes/workgroup (compile time only)
; SGPRBlocks: 4
; VGPRBlocks: 6
; NumSGPRsForWavesPerEU: 34
; NumVGPRsForWavesPerEU: 49
; AccumOffset: 52
; Occupancy: 8
; WaveLimiterHint : 1
; COMPUTE_PGM_RSRC2:SCRATCH_EN: 0
; COMPUTE_PGM_RSRC2:USER_SGPR: 6
; COMPUTE_PGM_RSRC2:TRAP_HANDLER: 0
; COMPUTE_PGM_RSRC2:TGID_X_EN: 1
; COMPUTE_PGM_RSRC2:TGID_Y_EN: 1
; COMPUTE_PGM_RSRC2:TGID_Z_EN: 1
; COMPUTE_PGM_RSRC2:TIDIG_COMP_CNT: 1
; COMPUTE_PGM_RSRC3_GFX90A:ACCUM_OFFSET: 12
; COMPUTE_PGM_RSRC3_GFX90A:TG_SPLIT: 0
	.section	.text._ZL58rocblas_symv_kernel_upper_double_buffered_diagonal_genericILi32ELi8E24rocblas_internal_val_ptrIfEPKPKfPKPfEvbiT1_lT2_lllSA_lllS9_lT3_lllii,"axG",@progbits,_ZL58rocblas_symv_kernel_upper_double_buffered_diagonal_genericILi32ELi8E24rocblas_internal_val_ptrIfEPKPKfPKPfEvbiT1_lT2_lllSA_lllS9_lT3_lllii,comdat
	.globl	_ZL58rocblas_symv_kernel_upper_double_buffered_diagonal_genericILi32ELi8E24rocblas_internal_val_ptrIfEPKPKfPKPfEvbiT1_lT2_lllSA_lllS9_lT3_lllii ; -- Begin function _ZL58rocblas_symv_kernel_upper_double_buffered_diagonal_genericILi32ELi8E24rocblas_internal_val_ptrIfEPKPKfPKPfEvbiT1_lT2_lllSA_lllS9_lT3_lllii
	.p2align	8
	.type	_ZL58rocblas_symv_kernel_upper_double_buffered_diagonal_genericILi32ELi8E24rocblas_internal_val_ptrIfEPKPKfPKPfEvbiT1_lT2_lllSA_lllS9_lT3_lllii,@function
_ZL58rocblas_symv_kernel_upper_double_buffered_diagonal_genericILi32ELi8E24rocblas_internal_val_ptrIfEPKPKfPKPfEvbiT1_lT2_lllSA_lllS9_lT3_lllii: ; @_ZL58rocblas_symv_kernel_upper_double_buffered_diagonal_genericILi32ELi8E24rocblas_internal_val_ptrIfEPKPKfPKPfEvbiT1_lT2_lllSA_lllS9_lT3_lllii
; %bb.0:
	s_load_dword s0, s[4:5], 0x0
	s_load_dwordx8 s[8:15], s[4:5], 0x8
	s_load_dwordx2 s[20:21], s[4:5], 0x28
	s_mov_b32 s22, s7
	s_mov_b64 s[2:3], -1
	s_waitcnt lgkmcnt(0)
	s_bitcmp1_b32 s0, 0
	s_cselect_b64 s[0:1], -1, 0
	s_xor_b64 s[0:1], s[0:1], -1
	s_and_b64 vcc, exec, s[0:1]
                                        ; implicit-def: $sgpr7
	s_cbranch_vccnz .LBB132_7
; %bb.1:
	s_load_dwordx4 s[16:19], s[4:5], 0x58
	s_andn2_b64 vcc, exec, s[2:3]
	s_cbranch_vccz .LBB132_8
.LBB132_2:
	s_andn2_b64 vcc, exec, s[0:1]
	s_cbranch_vccnz .LBB132_4
.LBB132_3:
	s_waitcnt lgkmcnt(0)
	s_mul_i32 s0, s22, s19
	s_mul_hi_u32 s1, s22, s18
	s_add_i32 s1, s1, s0
	s_mul_i32 s0, s22, s18
	s_lshl_b64 s[0:1], s[0:1], 2
	s_add_u32 s0, s16, s0
	s_addc_u32 s1, s17, s1
	s_load_dword s16, s[0:1], 0x0
.LBB132_4:
	s_waitcnt lgkmcnt(0)
	v_cmp_eq_f32_e64 s[24:25], s7, 0
	v_cmp_eq_f32_e64 s[0:1], s16, 1.0
	s_and_b64 s[0:1], s[24:25], s[0:1]
	s_and_b64 vcc, exec, s[0:1]
	s_cbranch_vccnz .LBB132_63
; %bb.5:
	v_cmp_neq_f32_e64 s[10:11], s7, 0
	s_mov_b32 s23, 0
	s_and_b64 vcc, exec, s[10:11]
	s_cbranch_vccnz .LBB132_9
; %bb.6:
	s_mov_b64 s[18:19], 0
	s_load_dwordx2 s[8:9], s[4:5], 0x68
	s_cbranch_execz .LBB132_10
	s_branch .LBB132_11
.LBB132_7:
	s_mul_i32 s2, s22, s11
	s_mul_hi_u32 s3, s22, s10
	s_add_i32 s3, s3, s2
	s_mul_i32 s2, s22, s10
	s_lshl_b64 s[2:3], s[2:3], 2
	s_add_u32 s2, s8, s2
	s_addc_u32 s3, s9, s3
	s_load_dword s7, s[2:3], 0x0
	s_load_dwordx4 s[16:19], s[4:5], 0x58
	s_cbranch_execnz .LBB132_2
.LBB132_8:
	s_waitcnt lgkmcnt(0)
	s_mov_b32 s7, s8
	s_andn2_b64 vcc, exec, s[0:1]
	s_cbranch_vccz .LBB132_3
	s_branch .LBB132_4
.LBB132_9:
                                        ; implicit-def: $sgpr18_sgpr19
	s_load_dwordx2 s[8:9], s[4:5], 0x68
.LBB132_10:
	s_lshl_b64 s[0:1], s[22:23], 3
	s_add_u32 s0, s12, s0
	s_addc_u32 s1, s13, s1
	s_load_dwordx2 s[0:1], s[0:1], 0x0
	s_lshl_b64 s[2:3], s[14:15], 2
	s_waitcnt lgkmcnt(0)
	s_add_u32 s18, s0, s2
	s_addc_u32 s19, s1, s3
.LBB132_11:
	s_load_dwordx4 s[0:3], s[4:5], 0x38
	s_load_dwordx2 s[12:13], s[4:5], 0x48
	s_andn2_b64 vcc, exec, s[10:11]
	s_cbranch_vccnz .LBB132_13
; %bb.12:
	s_lshl_b64 s[10:11], s[22:23], 3
	s_waitcnt lgkmcnt(0)
	s_add_u32 s0, s0, s10
	s_addc_u32 s1, s1, s11
	s_load_dwordx2 s[0:1], s[0:1], 0x0
	s_lshl_b64 s[2:3], s[2:3], 2
	s_waitcnt lgkmcnt(0)
	s_add_u32 s14, s0, s2
	s_addc_u32 s15, s1, s3
	s_branch .LBB132_14
.LBB132_13:
	s_mov_b64 s[14:15], 0
.LBB132_14:
	s_waitcnt lgkmcnt(0)
	s_lshl_b64 s[0:1], s[22:23], 3
	s_add_u32 s0, s8, s0
	s_addc_u32 s1, s9, s1
	s_load_dwordx4 s[8:11], s[4:5], 0x70
	s_load_dwordx2 s[2:3], s[0:1], 0x0
	s_load_dword s27, s[4:5], 0x88
	v_bfe_u32 v5, v0, 10, 10
	v_and_b32_e32 v4, 0x3ff, v0
	s_waitcnt lgkmcnt(0)
	s_lshl_b64 s[0:1], s[8:9], 2
	s_add_u32 s2, s2, s0
	s_addc_u32 s3, s3, s1
	s_lshl_b32 s28, s6, 5
	s_ashr_i32 s29, s28, 31
	s_mul_i32 s0, s28, s11
	s_mul_hi_u32 s1, s28, s10
	s_add_i32 s0, s1, s0
	s_mul_i32 s1, s29, s10
	s_add_i32 s1, s0, s1
	s_mul_i32 s0, s28, s10
	s_lshl_b64 s[0:1], s[0:1], 2
	s_add_u32 s17, s2, s0
	s_addc_u32 s26, s3, s1
	s_mov_b64 s[2:3], -1
	s_andn2_b64 vcc, exec, s[24:25]
	v_cmp_eq_u32_e64 s[0:1], 0, v5
	s_cbranch_vccnz .LBB132_21
; %bb.15:
	s_and_saveexec_b64 s[2:3], s[0:1]
	s_cbranch_execz .LBB132_20
; %bb.16:
	v_cmp_gt_i32_e64 s[0:1], s27, v4
	v_cmp_le_i32_e32 vcc, s27, v4
	s_and_saveexec_b64 s[8:9], vcc
	s_cbranch_execz .LBB132_18
; %bb.17:
	s_load_dword s22, s[4:5], 0x90
	s_waitcnt lgkmcnt(0)
	s_add_i32 s22, s22, -1
	s_cmp_lt_u32 s6, s22
	s_cselect_b64 s[22:23], -1, 0
	s_andn2_b64 s[0:1], s[0:1], exec
	s_and_b64 s[22:23], s[22:23], exec
	s_or_b64 s[0:1], s[0:1], s[22:23]
.LBB132_18:
	s_or_b64 exec, exec, s[8:9]
	s_and_b64 exec, exec, s[0:1]
	s_cbranch_execz .LBB132_20
; %bb.19:
	v_mad_u64_u32 v[0:1], s[0:1], v4, s10, 0
	v_mov_b32_e32 v2, v1
	v_mad_u64_u32 v[2:3], s[0:1], v4, s11, v[2:3]
	v_mov_b32_e32 v1, v2
	v_lshlrev_b64 v[0:1], 2, v[0:1]
	v_mov_b32_e32 v2, s26
	v_add_co_u32_e32 v0, vcc, s17, v0
	v_addc_co_u32_e32 v1, vcc, v2, v1, vcc
	global_load_dword v2, v[0:1], off
	s_waitcnt vmcnt(0)
	v_mul_f32_e32 v2, s16, v2
	global_store_dword v[0:1], v2, off
.LBB132_20:
	s_or_b64 exec, exec, s[2:3]
	s_mov_b64 s[2:3], 0
.LBB132_21:
	s_andn2_b64 vcc, exec, s[2:3]
	s_cbranch_vccnz .LBB132_63
; %bb.22:
	v_mov_b32_e32 v6, 0
	v_cmp_ne_u32_e64 s[2:3], 0, v5
	v_cmp_eq_u32_e64 s[0:1], 0, v5
	s_and_saveexec_b64 s[8:9], s[0:1]
	s_cbranch_execz .LBB132_29
; %bb.23:
	v_cmp_gt_i32_e64 s[24:25], s27, v4
	v_cmp_le_i32_e32 vcc, s27, v4
                                        ; implicit-def: $sgpr30
	s_and_saveexec_b64 s[22:23], vcc
	s_cbranch_execz .LBB132_25
; %bb.24:
	s_load_dword s31, s[4:5], 0x90
	s_mov_b32 s30, 0
	s_waitcnt lgkmcnt(0)
	s_add_i32 s31, s31, -1
	s_cmp_lt_u32 s6, s31
	s_cselect_b64 s[34:35], -1, 0
	s_andn2_b64 s[24:25], s[24:25], exec
	s_and_b64 s[34:35], s[34:35], exec
	s_or_b64 s[24:25], s[24:25], s[34:35]
.LBB132_25:
	s_or_b64 exec, exec, s[22:23]
	v_mov_b32_e32 v6, s30
	s_and_saveexec_b64 s[22:23], s[24:25]
	s_cbranch_execz .LBB132_28
; %bb.26:
	s_mul_i32 s24, s28, s13
	s_mul_hi_u32 s25, s28, s12
	s_add_i32 s24, s25, s24
	s_mul_i32 s25, s29, s12
	s_add_i32 s25, s24, s25
	s_mul_i32 s24, s28, s12
	s_lshl_b64 s[24:25], s[24:25], 2
	s_add_u32 s24, s14, s24
	s_addc_u32 s25, s15, s25
	v_mad_u64_u32 v[0:1], s[14:15], v4, s12, 0
	v_mov_b32_e32 v2, v1
	v_mad_u64_u32 v[2:3], s[12:13], v4, s13, v[2:3]
	v_mov_b32_e32 v1, v2
	v_lshlrev_b64 v[0:1], 2, v[0:1]
	v_mov_b32_e32 v2, s25
	v_add_co_u32_e32 v0, vcc, s24, v0
	v_addc_co_u32_e32 v1, vcc, v2, v1, vcc
	flat_load_dword v0, v[0:1]
	v_cmp_eq_f32_e64 s[12:13], s16, 0
	v_lshlrev_b32_e32 v1, 2, v4
	v_mov_b32_e32 v6, 0
	s_and_b64 vcc, exec, s[12:13]
	s_waitcnt vmcnt(0) lgkmcnt(0)
	ds_write_b32 v1, v0 offset:6144
	s_cbranch_vccnz .LBB132_28
; %bb.27:
	v_mad_u64_u32 v[0:1], s[12:13], v4, s10, 0
	v_mov_b32_e32 v2, v1
	v_mad_u64_u32 v[2:3], s[12:13], v4, s11, v[2:3]
	v_mov_b32_e32 v1, v2
	v_lshlrev_b64 v[0:1], 2, v[0:1]
	v_mov_b32_e32 v2, s26
	v_add_co_u32_e32 v0, vcc, s17, v0
	v_addc_co_u32_e32 v1, vcc, v2, v1, vcc
	global_load_dword v0, v[0:1], off
	s_waitcnt vmcnt(0)
	v_mul_f32_e32 v6, s16, v0
.LBB132_28:
	s_or_b64 exec, exec, s[22:23]
.LBB132_29:
	s_or_b64 exec, exec, s[8:9]
	s_add_u32 s8, s20, 1
	s_addc_u32 s9, s21, 0
	s_mul_i32 s12, s8, s29
	s_mul_hi_u32 s13, s8, s28
	s_add_i32 s12, s13, s12
	s_mul_i32 s9, s9, s28
	s_add_i32 s9, s12, s9
	v_mad_u64_u32 v[0:1], s[12:13], v5, s20, 0
	s_mul_i32 s8, s8, s28
	v_mov_b32_e32 v2, v1
	s_lshl_b64 s[8:9], s[8:9], 2
	v_mad_u64_u32 v[2:3], s[12:13], v5, s21, v[2:3]
	s_load_dword s22, s[4:5], 0x90
	s_add_u32 s14, s18, s8
	v_mov_b32_e32 v1, v2
	s_addc_u32 s15, s19, s9
	v_lshlrev_b64 v[0:1], 2, v[0:1]
	v_mov_b32_e32 v2, s15
	v_add_co_u32_e32 v0, vcc, s14, v0
	v_addc_co_u32_e32 v1, vcc, v2, v1, vcc
	v_lshlrev_b32_e32 v7, 2, v4
	v_add_co_u32_e32 v0, vcc, v0, v7
	v_lshl_add_u32 v10, v5, 5, v4
	s_waitcnt lgkmcnt(0)
	s_add_i32 s22, s22, -1
	v_addc_co_u32_e32 v1, vcc, 0, v1, vcc
	s_cmp_eq_u32 s6, s22
	v_lshlrev_b32_e32 v8, 2, v10
	v_add_u32_e32 v9, 16, v5
	s_cbranch_scc1 .LBB132_32
; %bb.30:
	flat_load_dword v11, v[0:1]
	s_lshl_b64 s[4:5], s[20:21], 5
	v_mov_b32_e32 v12, s5
	v_add_co_u32_e32 v2, vcc, s4, v0
	v_addc_co_u32_e32 v3, vcc, v1, v12, vcc
	s_mul_i32 s14, s21, 0x60
	s_waitcnt vmcnt(0) lgkmcnt(0)
	ds_write_b32 v8, v11
	flat_load_dword v11, v[2:3]
	v_add_co_u32_e32 v2, vcc, s4, v2
	v_addc_co_u32_e32 v3, vcc, v3, v12, vcc
	v_add_u32_e32 v12, 16, v5
	v_lshlrev_b32_e32 v14, 5, v12
	v_add_lshl_u32 v14, v14, v4, 2
	s_waitcnt vmcnt(0) lgkmcnt(0)
	ds_write_b32 v8, v11 offset:1024
	flat_load_dword v13, v[2:3]
	v_mov_b32_e32 v2, 0x60
	v_mad_u64_u32 v[2:3], s[4:5], s20, v2, v[0:1]
	v_add_u32_e32 v11, 0x300, v10
	v_add_u32_e32 v3, s14, v3
	s_mov_b64 s[4:5], -1
	s_waitcnt vmcnt(0) lgkmcnt(0)
	ds_write_b32 v14, v13
	s_cbranch_execz .LBB132_33
; %bb.31:
                                        ; implicit-def: $vgpr9
	s_and_saveexec_b64 s[2:3], s[4:5]
	s_cbranch_execnz .LBB132_53
	s_branch .LBB132_54
.LBB132_32:
	s_mov_b64 s[4:5], 0
                                        ; implicit-def: $vgpr12
                                        ; implicit-def: $vgpr2_vgpr3
                                        ; implicit-def: $vgpr11
.LBB132_33:
	v_cmp_gt_i32_e32 vcc, s27, v4
	v_lshlrev_b32_e32 v3, 5, v9
	s_or_b64 s[2:3], s[2:3], vcc
	v_mov_b32_e32 v2, 0
	v_add_lshl_u32 v3, v3, v4, 2
	s_xor_b64 s[12:13], s[2:3], -1
	ds_write2st64_b32 v8, v2, v2 offset1:4
	ds_write_b32 v3, v2
	ds_write_b32 v8, v2 offset:3072
	s_and_saveexec_b64 s[2:3], s[12:13]
	s_cbranch_execz .LBB132_35
; %bb.34:
	ds_write_b32 v7, v2 offset:6144
.LBB132_35:
	s_or_b64 exec, exec, s[2:3]
                                        ; implicit-def: $vgpr12
                                        ; implicit-def: $vgpr2_vgpr3
                                        ; implicit-def: $vgpr11
	s_and_saveexec_b64 s[12:13], vcc
	s_cbranch_execz .LBB132_52
; %bb.36:
	s_cmp_lt_u32 s27, 8
	s_mov_b32 s23, 0
	s_cbranch_scc1 .LBB132_49
; %bb.37:
	s_lshr_b32 s23, s27, 3
	s_cmp_lt_u32 s27, 16
	s_cbranch_scc1 .LBB132_41
; %bb.38:
	s_add_i32 s24, s23, -2
	s_cmp_lt_u32 s24, 2
	s_cbranch_scc1 .LBB132_42
; %bb.39:
	s_lshr_b32 s2, s24, 1
	s_add_i32 s2, s2, 1
	s_mov_b32 s14, 1
	s_and_b32 s25, s2, -2
	s_mov_b32 s15, 0
.LBB132_40:                             ; =>This Inner Loop Header: Depth=1
	s_lshl_b32 s3, s15, 3
	s_lshl_b32 s2, s14, 3
	s_mul_i32 s29, s21, s2
	s_mul_hi_u32 s30, s20, s2
	s_mul_i32 s31, s21, s3
	s_mul_hi_u32 s33, s20, s3
	s_mul_i32 s2, s20, s2
	s_mul_i32 s28, s20, s3
	s_add_i32 s3, s30, s29
	s_add_i32 s29, s33, s31
	s_lshl_b64 s[28:29], s[28:29], 2
	s_lshl_b64 s[2:3], s[2:3], 2
	v_mov_b32_e32 v3, s29
	v_mov_b32_e32 v11, s3
	v_add_co_u32_e32 v2, vcc, s2, v0
	v_add_co_u32_e64 v12, s[2:3], s28, v0
	v_addc_co_u32_e64 v13, s[2:3], v1, v3, s[2:3]
	v_addc_co_u32_e32 v3, vcc, v1, v11, vcc
	flat_load_dword v11, v[12:13]
	flat_load_dword v14, v[2:3]
	s_lshl_b32 s2, s14, 8
	s_lshl_b32 s3, s15, 8
	s_add_i32 s30, s14, 2
	s_add_i32 s31, s15, 2
	v_add_lshl_u32 v15, s3, v10, 2
	v_add_lshl_u32 v16, s2, v10, 2
	s_lshl_b32 s3, s31, 3
	s_lshl_b32 s2, s30, 3
	s_mul_i32 s29, s21, s2
	s_mul_hi_u32 s33, s20, s2
	s_mul_i32 s34, s21, s3
	s_mul_hi_u32 s35, s20, s3
	s_mul_i32 s2, s20, s2
	s_mul_i32 s28, s20, s3
	s_add_i32 s3, s33, s29
	s_add_i32 s29, s35, s34
	s_lshl_b64 s[28:29], s[28:29], 2
	s_lshl_b64 s[2:3], s[2:3], 2
	v_mov_b32_e32 v3, s29
	v_mov_b32_e32 v17, s3
	v_add_co_u32_e32 v2, vcc, s2, v0
	v_add_co_u32_e64 v12, s[2:3], s28, v0
	v_addc_co_u32_e64 v13, s[2:3], v1, v3, s[2:3]
	v_addc_co_u32_e32 v3, vcc, v1, v17, vcc
	s_add_i32 s15, s15, 4
	s_add_i32 s14, s14, 4
	s_add_i32 s25, s25, -2
	s_lshl_b32 s2, s30, 8
	s_lshl_b32 s3, s31, 8
	s_cmp_lg_u32 s25, 0
	s_waitcnt vmcnt(0) lgkmcnt(0)
	ds_write_b32 v15, v11
	ds_write_b32 v16, v14
	flat_load_dword v11, v[12:13]
	flat_load_dword v14, v[2:3]
	v_add_lshl_u32 v2, s3, v10, 2
	v_add_lshl_u32 v3, s2, v10, 2
	s_waitcnt vmcnt(0) lgkmcnt(0)
	ds_write_b32 v2, v11
	ds_write_b32 v3, v14
	s_cbranch_scc1 .LBB132_40
	s_branch .LBB132_43
.LBB132_41:
	s_mov_b64 s[14:15], -1
	s_mov_b32 s2, 0
	s_branch .LBB132_46
.LBB132_42:
	s_mov_b32 s15, 0
	s_mov_b32 s14, 1
.LBB132_43:
	s_bitcmp1_b32 s24, 1
	s_cbranch_scc1 .LBB132_45
; %bb.44:
	s_lshl_b32 s2, s14, 3
	s_lshl_b32 s24, s15, 3
	s_mul_i32 s3, s21, s2
	s_mul_hi_u32 s25, s20, s2
	s_add_i32 s3, s25, s3
	s_mul_i32 s25, s21, s24
	s_mul_hi_u32 s28, s20, s24
	s_add_i32 s25, s28, s25
	s_mul_i32 s24, s20, s24
	s_lshl_b64 s[24:25], s[24:25], 2
	s_mul_i32 s2, s20, s2
	v_mov_b32_e32 v3, s25
	v_add_co_u32_e32 v2, vcc, s24, v0
	v_addc_co_u32_e32 v3, vcc, v1, v3, vcc
	s_lshl_b64 s[2:3], s[2:3], 2
	v_mov_b32_e32 v11, s3
	v_add_co_u32_e32 v12, vcc, s2, v0
	v_addc_co_u32_e32 v13, vcc, v1, v11, vcc
	flat_load_dword v11, v[2:3]
	flat_load_dword v14, v[12:13]
	s_lshl_b32 s3, s15, 8
	s_lshl_b32 s2, s14, 8
	v_add_lshl_u32 v2, s3, v10, 2
	v_add_lshl_u32 v3, s2, v10, 2
	s_waitcnt vmcnt(0) lgkmcnt(0)
	ds_write_b32 v2, v11
	ds_write_b32 v3, v14
.LBB132_45:
	s_and_b32 s2, s23, 0x1ffffffe
	s_cmp_lg_u32 s23, s2
	s_cselect_b64 s[14:15], -1, 0
.LBB132_46:
	s_and_b64 vcc, exec, s[14:15]
	s_cbranch_vccz .LBB132_49
; %bb.47:
	s_lshl_b32 s3, s2, 10
	v_lshlrev_b32_e32 v2, 7, v5
	v_add3_u32 v11, s3, v2, v7
	s_mov_b32 s3, 0
	s_sub_i32 s14, s23, s2
	s_lshl_b64 s[2:3], s[2:3], 5
	v_lshlrev_b32_e32 v2, 2, v5
	v_mov_b32_e32 v3, s3
	v_add_co_u32_e32 v12, vcc, s2, v2
	v_addc_co_u32_e32 v2, vcc, 0, v3, vcc
	v_mul_lo_u32 v13, s20, v2
	v_pk_mov_b32 v[2:3], s[8:9], s[8:9] op_sel:[0,1]
	v_mul_lo_u32 v14, s21, v12
	v_mad_u64_u32 v[2:3], s[2:3], s20, v12, v[2:3]
	v_add3_u32 v3, v14, v3, v13
	v_add_co_u32_e32 v2, vcc, v2, v7
	v_addc_co_u32_e32 v3, vcc, 0, v3, vcc
	v_mov_b32_e32 v12, s19
	v_add_co_u32_e32 v2, vcc, s18, v2
	s_lshl_b64 s[2:3], s[20:21], 5
	v_addc_co_u32_e32 v3, vcc, v12, v3, vcc
	v_mov_b32_e32 v12, s3
.LBB132_48:                             ; =>This Inner Loop Header: Depth=1
	flat_load_dword v13, v[2:3]
	s_add_i32 s14, s14, -1
	v_add_co_u32_e32 v2, vcc, s2, v2
	v_addc_co_u32_e32 v3, vcc, v3, v12, vcc
	s_cmp_lg_u32 s14, 0
	s_waitcnt vmcnt(0) lgkmcnt(0)
	ds_write_b32 v11, v13
	v_add_u32_e32 v11, 0x400, v11
	s_cbranch_scc1 .LBB132_48
.LBB132_49:
	s_and_b32 s2, s27, 7
	v_cmp_gt_u32_e32 vcc, s2, v5
	s_mov_b64 s[8:9], s[4:5]
                                        ; implicit-def: $vgpr2_vgpr3
                                        ; implicit-def: $vgpr11
	s_and_saveexec_b64 s[2:3], vcc
; %bb.50:
	s_lshl_b32 s8, s23, 3
	s_mul_i32 s9, s8, s21
	s_mul_hi_u32 s14, s8, s20
	s_add_i32 s9, s14, s9
	s_mul_i32 s8, s8, s20
	s_lshl_b64 s[8:9], s[8:9], 2
	v_mov_b32_e32 v3, s9
	v_add_co_u32_e32 v2, vcc, s8, v0
	v_addc_co_u32_e32 v3, vcc, v1, v3, vcc
	v_lshl_add_u32 v11, s23, 8, v10
	s_or_b64 s[8:9], s[4:5], exec
; %bb.51:
	s_or_b64 exec, exec, s[2:3]
	s_andn2_b64 s[2:3], s[4:5], exec
	s_and_b64 s[4:5], s[8:9], exec
	s_or_b64 s[4:5], s[2:3], s[4:5]
	v_mov_b32_e32 v12, v9
.LBB132_52:
	s_or_b64 exec, exec, s[12:13]
	s_and_saveexec_b64 s[2:3], s[4:5]
	s_cbranch_execz .LBB132_54
.LBB132_53:
	flat_load_dword v0, v[2:3]
	v_lshlrev_b32_e32 v1, 2, v11
	v_mov_b32_e32 v9, v12
	s_waitcnt vmcnt(0) lgkmcnt(0)
	ds_write_b32 v1, v0
.LBB132_54:
	s_or_b64 exec, exec, s[2:3]
	v_sub_u32_e32 v0, v4, v5
	v_sub_u32_e32 v1, 0, v0
	v_max_i32_e32 v2, v0, v1
	v_lshlrev_b32_e32 v1, 5, v4
	v_add_u32_e32 v3, v9, v1
	v_cmp_lt_u32_e32 vcc, 16, v2
	v_lshlrev_b32_e32 v0, 5, v9
	v_lshlrev_b32_e32 v3, 2, v3
	s_waitcnt lgkmcnt(0)
	s_barrier
	s_and_saveexec_b64 s[2:3], vcc
	s_cbranch_execnz .LBB132_64
; %bb.55:
	s_or_b64 exec, exec, s[2:3]
	v_cmp_lt_u32_e32 vcc, 24, v2
	s_and_saveexec_b64 s[2:3], vcc
	s_cbranch_execnz .LBB132_65
.LBB132_56:
	s_or_b64 exec, exec, s[2:3]
	v_cmp_ge_u32_e32 vcc, v4, v5
	s_and_saveexec_b64 s[2:3], vcc
	s_cbranch_execz .LBB132_58
.LBB132_57:
	v_add_lshl_u32 v3, v1, v5, 2
	ds_read_b32 v3, v3
	s_waitcnt lgkmcnt(0)
	ds_write_b32 v8, v3
.LBB132_58:
	s_or_b64 exec, exec, s[2:3]
	v_cmp_lt_u32_e32 vcc, 8, v2
	v_lshlrev_b32_e32 v2, 5, v5
	s_movk_i32 s2, 0x100
	v_add3_u32 v3, v2, v4, s2
	v_lshlrev_b32_e32 v3, 2, v3
	s_and_saveexec_b64 s[2:3], vcc
	s_cbranch_execz .LBB132_60
; %bb.59:
	v_add_lshl_u32 v1, v5, v1, 2
	ds_read_b32 v1, v1 offset:32
	s_waitcnt lgkmcnt(0)
	ds_write_b32 v3, v1
.LBB132_60:
	s_or_b64 exec, exec, s[2:3]
	v_lshlrev_b32_e32 v1, 2, v5
	v_add_u32_e32 v5, 0x1800, v1
	s_waitcnt lgkmcnt(0)
	s_barrier
	ds_read2_b32 v[10:11], v5 offset1:8
	v_lshlrev_b32_e32 v5, 2, v9
	v_add_lshl_u32 v0, v0, v4, 2
	ds_read_b32 v5, v5 offset:6144
	v_add_lshl_u32 v2, v2, v4, 2
	ds_read_b32 v9, v8
	ds_read_b32 v3, v3
	ds_read_b32 v2, v2 offset:3072
	ds_read_b32 v0, v0
	ds_read_b32 v1, v1 offset:6240
	s_waitcnt lgkmcnt(4)
	v_fma_f32 v9, v9, v10, 0
	s_waitcnt lgkmcnt(3)
	v_fmac_f32_e32 v9, v3, v11
	s_waitcnt lgkmcnt(1)
	v_fmac_f32_e32 v9, v0, v5
	;; [unrolled: 2-line block ×3, first 2 shown]
	ds_write_b32 v8, v9 offset:4096
	s_waitcnt lgkmcnt(0)
	s_barrier
	s_and_saveexec_b64 s[2:3], s[0:1]
	s_cbranch_execz .LBB132_63
; %bb.61:
	s_cmp_lt_u32 s6, s22
	v_cmp_gt_i32_e32 vcc, s27, v4
	s_cselect_b64 s[0:1], -1, 0
	s_or_b64 s[0:1], vcc, s[0:1]
	s_and_b64 exec, exec, s[0:1]
	s_cbranch_execz .LBB132_63
; %bb.62:
	v_add_u32_e32 v5, 0x1000, v7
	ds_read2_b32 v[0:1], v5 offset1:32
	ds_read2_b32 v[2:3], v5 offset0:64 offset1:96
	ds_read2_b32 v[8:9], v5 offset0:128 offset1:160
	;; [unrolled: 1-line block ×3, first 2 shown]
	v_cmp_neq_f32_e64 vcc, s16, 0
	s_waitcnt lgkmcnt(3)
	v_add_f32_e32 v0, 0, v0
	v_add_f32_e32 v0, v0, v1
	s_waitcnt lgkmcnt(2)
	v_add_f32_e32 v0, v0, v2
	v_add_f32_e32 v0, v0, v3
	;; [unrolled: 3-line block ×4, first 2 shown]
	v_mul_f32_e32 v1, s7, v0
	v_fmac_f32_e32 v6, s7, v0
	v_cndmask_b32_e32 v5, v1, v6, vcc
	v_mad_u64_u32 v[0:1], s[0:1], v4, s10, 0
	v_mov_b32_e32 v2, v1
	v_mad_u64_u32 v[2:3], s[0:1], v4, s11, v[2:3]
	v_mov_b32_e32 v1, v2
	v_lshlrev_b64 v[0:1], 2, v[0:1]
	v_mov_b32_e32 v2, s26
	v_add_co_u32_e32 v0, vcc, s17, v0
	v_addc_co_u32_e32 v1, vcc, v2, v1, vcc
	global_store_dword v[0:1], v5, off
.LBB132_63:
	s_endpgm
.LBB132_64:
	ds_read_b32 v10, v3
	v_add_lshl_u32 v11, v0, v4, 2
	s_waitcnt lgkmcnt(0)
	ds_write_b32 v11, v10
	s_or_b64 exec, exec, s[2:3]
	v_cmp_lt_u32_e32 vcc, 24, v2
	s_and_saveexec_b64 s[2:3], vcc
	s_cbranch_execz .LBB132_56
.LBB132_65:
	ds_read_b32 v3, v3 offset:32
	s_waitcnt lgkmcnt(0)
	ds_write_b32 v8, v3 offset:3072
	s_or_b64 exec, exec, s[2:3]
	v_cmp_ge_u32_e32 vcc, v4, v5
	s_and_saveexec_b64 s[2:3], vcc
	s_cbranch_execnz .LBB132_57
	s_branch .LBB132_58
	.section	.rodata,"a",@progbits
	.p2align	6, 0x0
	.amdhsa_kernel _ZL58rocblas_symv_kernel_upper_double_buffered_diagonal_genericILi32ELi8E24rocblas_internal_val_ptrIfEPKPKfPKPfEvbiT1_lT2_lllSA_lllS9_lT3_lllii
		.amdhsa_group_segment_fixed_size 6272
		.amdhsa_private_segment_fixed_size 0
		.amdhsa_kernarg_size 400
		.amdhsa_user_sgpr_count 6
		.amdhsa_user_sgpr_private_segment_buffer 1
		.amdhsa_user_sgpr_dispatch_ptr 0
		.amdhsa_user_sgpr_queue_ptr 0
		.amdhsa_user_sgpr_kernarg_segment_ptr 1
		.amdhsa_user_sgpr_dispatch_id 0
		.amdhsa_user_sgpr_flat_scratch_init 0
		.amdhsa_user_sgpr_kernarg_preload_length 0
		.amdhsa_user_sgpr_kernarg_preload_offset 0
		.amdhsa_user_sgpr_private_segment_size 0
		.amdhsa_uses_dynamic_stack 0
		.amdhsa_system_sgpr_private_segment_wavefront_offset 0
		.amdhsa_system_sgpr_workgroup_id_x 1
		.amdhsa_system_sgpr_workgroup_id_y 0
		.amdhsa_system_sgpr_workgroup_id_z 1
		.amdhsa_system_sgpr_workgroup_info 0
		.amdhsa_system_vgpr_workitem_id 1
		.amdhsa_next_free_vgpr 18
		.amdhsa_next_free_sgpr 36
		.amdhsa_accum_offset 20
		.amdhsa_reserve_vcc 1
		.amdhsa_reserve_flat_scratch 0
		.amdhsa_float_round_mode_32 0
		.amdhsa_float_round_mode_16_64 0
		.amdhsa_float_denorm_mode_32 3
		.amdhsa_float_denorm_mode_16_64 3
		.amdhsa_dx10_clamp 1
		.amdhsa_ieee_mode 1
		.amdhsa_fp16_overflow 0
		.amdhsa_tg_split 0
		.amdhsa_exception_fp_ieee_invalid_op 0
		.amdhsa_exception_fp_denorm_src 0
		.amdhsa_exception_fp_ieee_div_zero 0
		.amdhsa_exception_fp_ieee_overflow 0
		.amdhsa_exception_fp_ieee_underflow 0
		.amdhsa_exception_fp_ieee_inexact 0
		.amdhsa_exception_int_div_zero 0
	.end_amdhsa_kernel
	.section	.text._ZL58rocblas_symv_kernel_upper_double_buffered_diagonal_genericILi32ELi8E24rocblas_internal_val_ptrIfEPKPKfPKPfEvbiT1_lT2_lllSA_lllS9_lT3_lllii,"axG",@progbits,_ZL58rocblas_symv_kernel_upper_double_buffered_diagonal_genericILi32ELi8E24rocblas_internal_val_ptrIfEPKPKfPKPfEvbiT1_lT2_lllSA_lllS9_lT3_lllii,comdat
.Lfunc_end132:
	.size	_ZL58rocblas_symv_kernel_upper_double_buffered_diagonal_genericILi32ELi8E24rocblas_internal_val_ptrIfEPKPKfPKPfEvbiT1_lT2_lllSA_lllS9_lT3_lllii, .Lfunc_end132-_ZL58rocblas_symv_kernel_upper_double_buffered_diagonal_genericILi32ELi8E24rocblas_internal_val_ptrIfEPKPKfPKPfEvbiT1_lT2_lllSA_lllS9_lT3_lllii
                                        ; -- End function
	.section	.AMDGPU.csdata,"",@progbits
; Kernel info:
; codeLenInByte = 2792
; NumSgprs: 40
; NumVgprs: 18
; NumAgprs: 0
; TotalNumVgprs: 18
; ScratchSize: 0
; MemoryBound: 0
; FloatMode: 240
; IeeeMode: 1
; LDSByteSize: 6272 bytes/workgroup (compile time only)
; SGPRBlocks: 4
; VGPRBlocks: 2
; NumSGPRsForWavesPerEU: 40
; NumVGPRsForWavesPerEU: 18
; AccumOffset: 20
; Occupancy: 8
; WaveLimiterHint : 1
; COMPUTE_PGM_RSRC2:SCRATCH_EN: 0
; COMPUTE_PGM_RSRC2:USER_SGPR: 6
; COMPUTE_PGM_RSRC2:TRAP_HANDLER: 0
; COMPUTE_PGM_RSRC2:TGID_X_EN: 1
; COMPUTE_PGM_RSRC2:TGID_Y_EN: 0
; COMPUTE_PGM_RSRC2:TGID_Z_EN: 1
; COMPUTE_PGM_RSRC2:TIDIG_COMP_CNT: 1
; COMPUTE_PGM_RSRC3_GFX90A:ACCUM_OFFSET: 4
; COMPUTE_PGM_RSRC3_GFX90A:TG_SPLIT: 0
	.section	.text._ZL62rocblas_symv_kernel_upper_double_buffered_non_diagonal_genericILi32ELi8ELi2ELi0E24rocblas_internal_val_ptrIfEPKPKfPKPfEvbiT3_lT4_lllSA_lllT5_lllii,"axG",@progbits,_ZL62rocblas_symv_kernel_upper_double_buffered_non_diagonal_genericILi32ELi8ELi2ELi0E24rocblas_internal_val_ptrIfEPKPKfPKPfEvbiT3_lT4_lllSA_lllT5_lllii,comdat
	.globl	_ZL62rocblas_symv_kernel_upper_double_buffered_non_diagonal_genericILi32ELi8ELi2ELi0E24rocblas_internal_val_ptrIfEPKPKfPKPfEvbiT3_lT4_lllSA_lllT5_lllii ; -- Begin function _ZL62rocblas_symv_kernel_upper_double_buffered_non_diagonal_genericILi32ELi8ELi2ELi0E24rocblas_internal_val_ptrIfEPKPKfPKPfEvbiT3_lT4_lllSA_lllT5_lllii
	.p2align	8
	.type	_ZL62rocblas_symv_kernel_upper_double_buffered_non_diagonal_genericILi32ELi8ELi2ELi0E24rocblas_internal_val_ptrIfEPKPKfPKPfEvbiT3_lT4_lllSA_lllT5_lllii,@function
_ZL62rocblas_symv_kernel_upper_double_buffered_non_diagonal_genericILi32ELi8ELi2ELi0E24rocblas_internal_val_ptrIfEPKPKfPKPfEvbiT3_lT4_lllSA_lllT5_lllii: ; @_ZL62rocblas_symv_kernel_upper_double_buffered_non_diagonal_genericILi32ELi8ELi2ELi0E24rocblas_internal_val_ptrIfEPKPKfPKPfEvbiT3_lT4_lllSA_lllT5_lllii
; %bb.0:
	s_load_dword s0, s[4:5], 0x0
	s_load_dwordx8 s[12:19], s[4:5], 0x8
	s_load_dwordx2 s[20:21], s[4:5], 0x28
	s_waitcnt lgkmcnt(0)
	s_bitcmp0_b32 s0, 0
	s_cbranch_scc0 .LBB133_2
; %bb.1:
	s_mul_i32 s0, s8, s15
	s_mul_hi_u32 s1, s8, s14
	s_add_i32 s1, s1, s0
	s_mul_i32 s0, s8, s14
	s_lshl_b64 s[0:1], s[0:1], 2
	s_add_u32 s0, s12, s0
	s_addc_u32 s1, s13, s1
	s_load_dword s22, s[0:1], 0x0
	s_cbranch_execz .LBB133_3
	s_branch .LBB133_4
.LBB133_2:
                                        ; implicit-def: $sgpr22
.LBB133_3:
	s_waitcnt lgkmcnt(0)
	s_mov_b32 s22, s12
.LBB133_4:
	s_waitcnt lgkmcnt(0)
	v_cmp_eq_f32_e64 s[0:1], s22, 0
	s_and_b64 vcc, exec, s[0:1]
	s_cbranch_vccnz .LBB133_42
; %bb.5:
	s_load_dword s14, s[4:5], 0x84
	s_add_u32 s10, s4, 0x80
	s_addc_u32 s11, s5, 0
	s_cmp_eq_u32 s6, 0
	s_waitcnt lgkmcnt(0)
	v_cvt_f32_u32_e32 v1, s14
	v_rcp_iflag_f32_e32 v1, v1
	v_mul_f32_e32 v1, 0x4f7ffffe, v1
	v_cvt_u32_f32_e32 v1, v1
	v_readfirstlane_b32 s0, v1
	s_cbranch_scc1 .LBB133_42
; %bb.6:
	s_sub_i32 s1, 0, s14
	s_mul_i32 s1, s1, s0
	s_mul_hi_u32 s1, s0, s1
	s_add_i32 s0, s0, s1
	s_mul_hi_u32 s15, s6, s0
	s_load_dwordx2 s[24:25], s[4:5], 0x58
	s_load_dwordx4 s[0:3], s[4:5], 0x38
	s_mov_b32 s9, 0
	s_lshl_b64 s[8:9], s[8:9], 3
	s_add_u32 s12, s16, s8
	s_addc_u32 s13, s17, s9
	s_waitcnt lgkmcnt(0)
	s_add_u32 s0, s0, s8
	s_addc_u32 s1, s1, s9
	s_add_u32 s16, s24, s8
	s_mul_i32 s8, s15, s14
	s_addc_u32 s17, s25, s9
	s_sub_i32 s8, s6, s8
	s_add_i32 s9, s15, 1
	s_sub_i32 s23, s8, s14
	s_cmp_ge_u32 s8, s14
	s_cselect_b32 s9, s9, s15
	s_cselect_b32 s8, s23, s8
	s_add_i32 s15, s9, 1
	s_cmp_ge_u32 s8, s14
	s_cselect_b32 s28, s15, s9
	s_add_i32 s8, s14, -1
	s_cmp_lg_u32 s7, s8
	s_mov_b32 s23, s28
	s_cbranch_scc1 .LBB133_8
; %bb.7:
	s_mul_i32 s8, s28, s14
	s_sub_i32 s8, s6, s8
	s_add_i32 s23, s8, s28
.LBB133_8:
	s_cmp_eq_u32 s23, 0
	s_cbranch_scc1 .LBB133_42
; %bb.9:
	s_load_dwordx2 s[24:25], s[0:1], 0x0
	s_load_dwordx2 s[8:9], s[12:13], 0x0
	;; [unrolled: 1-line block ×3, first 2 shown]
	s_lshl_b64 s[0:1], s[2:3], 2
	s_load_dwordx2 s[12:13], s[4:5], 0x48
	s_load_dword s26, s[4:5], 0x78
	s_waitcnt lgkmcnt(0)
	s_add_u32 s29, s24, s0
	s_addc_u32 s30, s25, s1
	s_lshl_b32 s24, s6, 5
	s_ashr_i32 s25, s24, 31
	s_mul_i32 s0, s24, s13
	s_mul_hi_u32 s1, s24, s12
	s_load_dword s27, s[10:11], 0x0
	s_add_i32 s0, s1, s0
	s_mul_i32 s1, s25, s12
	s_add_i32 s1, s0, s1
	s_mul_i32 s0, s24, s12
	s_lshl_b64 s[0:1], s[0:1], 2
	s_add_u32 s31, s29, s0
	s_addc_u32 s33, s30, s1
	s_waitcnt lgkmcnt(0)
	s_add_i32 s27, s27, -1
	v_and_b32_e32 v22, 0x3ff, v0
	v_bfe_u32 v1, v0, 10, 10
	s_cmp_lg_u32 s6, s27
	v_lshl_add_u32 v2, v1, 5, v22
	s_cselect_b64 s[2:3], -1, 0
	v_and_b32_e32 v0, 15, v22
	v_lshrrev_b32_e32 v6, 4, v2
	v_cmp_eq_u32_e64 s[0:1], 0, v1
	s_mov_b64 s[10:11], -1
	s_and_b64 vcc, exec, s[2:3]
	s_cbranch_vccnz .LBB133_15
; %bb.10:
	s_and_saveexec_b64 s[10:11], s[0:1]
	s_cbranch_execz .LBB133_14
; %bb.11:
	v_cmp_gt_i32_e32 vcc, s26, v22
	v_mov_b32_e32 v1, 0
	s_and_saveexec_b64 s[16:17], vcc
	s_cbranch_execz .LBB133_13
; %bb.12:
	v_mad_u64_u32 v[2:3], s[34:35], v22, s12, 0
	v_mov_b32_e32 v4, v3
	v_mad_u64_u32 v[4:5], s[34:35], v22, s13, v[4:5]
	v_mov_b32_e32 v3, v4
	v_lshlrev_b64 v[2:3], 2, v[2:3]
	v_mov_b32_e32 v1, s33
	v_add_co_u32_e32 v2, vcc, s31, v2
	v_addc_co_u32_e32 v3, vcc, v1, v3, vcc
	global_load_dword v1, v[2:3], off
.LBB133_13:
	s_or_b64 exec, exec, s[16:17]
	v_lshlrev_b32_e32 v2, 2, v22
	s_waitcnt vmcnt(0)
	ds_write_b32 v2, v1 offset:4096
.LBB133_14:
	s_or_b64 exec, exec, s[10:11]
	v_lshlrev_b32_e32 v1, 2, v0
	v_lshl_or_b32 v1, v6, 7, v1
	v_mov_b32_e32 v2, 0
	ds_write2_b32 v1, v2, v2 offset1:16
	v_add_u32_e32 v1, 0x800, v1
	s_mov_b64 s[10:11], 0
	ds_write2_b32 v1, v2, v2 offset1:16
.LBB133_15:
	s_and_b64 vcc, exec, s[10:11]
	s_cbranch_vccz .LBB133_19
; %bb.16:
	s_and_saveexec_b64 s[10:11], s[0:1]
	s_cbranch_execz .LBB133_18
; %bb.17:
	v_mad_u64_u32 v[2:3], s[16:17], v22, s12, 0
	v_mov_b32_e32 v4, v3
	v_mad_u64_u32 v[4:5], s[16:17], v22, s13, v[4:5]
	v_mov_b32_e32 v3, v4
	v_lshlrev_b64 v[2:3], 2, v[2:3]
	v_mov_b32_e32 v1, s33
	v_add_co_u32_e32 v2, vcc, s31, v2
	v_addc_co_u32_e32 v3, vcc, v1, v3, vcc
	global_load_dword v1, v[2:3], off
	v_lshlrev_b32_e32 v2, 2, v22
	s_waitcnt vmcnt(0)
	ds_write_b32 v2, v1 offset:4096
.LBB133_18:
	s_or_b64 exec, exec, s[10:11]
.LBB133_19:
	s_lshr_b32 s10, s26, 31
	s_add_i32 s10, s26, s10
	s_ashr_i32 s31, s10, 1
	s_lshl_b64 s[10:11], s[18:19], 2
	s_add_u32 s10, s8, s10
	s_addc_u32 s11, s9, s11
	s_mul_i32 s8, s24, s21
	s_mul_hi_u32 s9, s24, s20
	s_add_i32 s8, s9, s8
	s_mul_i32 s9, s25, s20
	s_add_i32 s9, s8, s9
	s_mul_i32 s8, s24, s20
	s_lshl_b64 s[8:9], s[8:9], 2
	s_add_u32 s10, s10, s8
	s_mul_i32 s7, s7, s28
	s_addc_u32 s11, s11, s9
	s_lshl_b32 s16, s7, 5
	s_ashr_i32 s17, s16, 31
	s_lshl_b64 s[8:9], s[16:17], 2
	s_add_u32 s7, s10, s8
	v_lshlrev_b32_e32 v10, 1, v6
	v_mov_b32_e32 v1, 0
	s_addc_u32 s18, s11, s9
	v_mad_u64_u32 v[8:9], s[8:9], v10, s20, v[0:1]
	v_mov_b32_e32 v2, v9
	v_mad_u64_u32 v[2:3], s[8:9], v10, s21, v[2:3]
	s_mov_b32 s8, 0
	v_mov_b32_e32 v9, v2
	v_cmp_gt_i32_e32 vcc, s31, v6
	s_mov_b32 s9, s8
	s_or_b64 s[2:3], s[2:3], vcc
	v_pk_mov_b32 v[4:5], s[8:9], s[8:9] op_sel:[0,1]
	v_lshlrev_b64 v[2:3], 2, v[8:9]
	s_waitcnt lgkmcnt(0)
	s_barrier
	s_and_saveexec_b64 s[8:9], s[2:3]
	s_cbranch_execz .LBB133_21
; %bb.20:
	v_mov_b32_e32 v1, s18
	v_add_co_u32_e32 v12, vcc, s7, v2
	v_addc_co_u32_e32 v13, vcc, v1, v3, vcc
	s_lshl_b64 s[10:11], s[20:21], 2
	v_mov_b32_e32 v1, s11
	v_add_co_u32_e32 v14, vcc, s10, v12
	v_addc_co_u32_e32 v15, vcc, v13, v1, vcc
	global_load_dword v4, v[12:13], off
	global_load_dword v5, v[14:15], off
.LBB133_21:
	s_or_b64 exec, exec, s[8:9]
	s_load_dwordx4 s[8:11], s[4:5], 0x60
	v_lshl_or_b32 v1, v6, 5, v0
	s_waitcnt lgkmcnt(0)
	s_lshl_b64 s[4:5], s[8:9], 2
	s_add_u32 s19, s14, s4
	s_addc_u32 s28, s15, s5
	s_cmp_gt_i32 s23, 0
	s_cbranch_scc1 .LBB133_23
; %bb.22:
	v_lshl_or_b32 v6, v6, 5, v0
	v_or_b32_e32 v23, 16, v6
	s_mov_b32 s8, 0
	v_mov_b32_e32 v27, s8
	v_mov_b32_e32 v25, s8
	s_cbranch_execz .LBB133_24
	s_branch .LBB133_38
.LBB133_23:
                                        ; implicit-def: $sgpr8
                                        ; implicit-def: $vgpr6
                                        ; implicit-def: $vgpr23
	v_mov_b32_e32 v27, s8
	v_mov_b32_e32 v25, s8
.LBB133_24:
	v_mad_u64_u32 v[6:7], s[4:5], v0, s12, 0
	v_mov_b32_e32 v12, v7
	v_mad_u64_u32 v[12:13], s[4:5], v0, s13, v[12:13]
	s_mul_i32 s4, s16, s13
	s_mul_hi_u32 s5, s16, s12
	s_add_i32 s4, s5, s4
	s_mul_i32 s5, s17, s12
	s_add_i32 s5, s4, s5
	s_mul_i32 s4, s16, s12
	s_lshl_b64 s[4:5], s[4:5], 2
	v_mov_b32_e32 v7, v12
	s_add_u32 s29, s29, s4
	s_addc_u32 s30, s30, s5
	v_lshlrev_b64 v[6:7], 2, v[6:7]
	v_mov_b32_e32 v11, s30
	v_add_co_u32_e32 v12, vcc, s29, v6
	v_addc_co_u32_e32 v13, vcc, v11, v7, vcc
	global_load_dword v26, v[12:13], off
	s_mul_i32 s4, s16, s11
	s_mul_hi_u32 s5, s16, s10
	s_add_i32 s4, s5, s4
	s_mul_i32 s5, s17, s10
	s_add_i32 s5, s4, s5
	s_mul_i32 s4, s16, s10
	s_lshl_b64 s[4:5], s[4:5], 2
	s_add_u32 s14, s19, s4
	v_or_b32_e32 v11, 16, v0
	s_addc_u32 s15, s28, s5
	v_mad_u64_u32 v[12:13], s[4:5], v11, s12, 0
	v_mov_b32_e32 v14, v13
	v_mad_u64_u32 v[14:15], s[4:5], v11, s13, v[14:15]
	v_mov_b32_e32 v13, v14
	;; [unrolled: 2-line block ×4, first 2 shown]
	v_mov_b32_e32 v15, v16
	v_lshl_add_u32 v28, v10, 2, v11
	v_mov_b32_e32 v10, s21
	v_add_co_u32_e32 v16, vcc, s20, v8
	v_addc_co_u32_e32 v17, vcc, v9, v10, vcc
	s_lshl_b64 s[4:5], s[12:13], 7
	s_add_i32 s31, s23, -1
	v_lshlrev_b32_e32 v24, 2, v1
	v_or_b32_e32 v23, 16, v1
	s_lshl_b64 s[8:9], s[10:11], 7
	v_lshlrev_b32_e32 v29, 2, v22
	s_mov_b32 s33, 0
	v_pk_mov_b32 v[8:9], s[14:15], s[14:15] op_sel:[0,1]
	v_mov_b32_e32 v25, 0
	v_lshlrev_b64 v[10:11], 2, v[12:13]
	v_lshlrev_b64 v[12:13], 2, v[16:17]
	s_lshl_b64 s[12:13], s[20:21], 2
	v_lshlrev_b64 v[14:15], 2, v[14:15]
	v_mov_b32_e32 v27, 0
	v_mov_b32_e32 v30, 0
	;; [unrolled: 1-line block ×3, first 2 shown]
.LBB133_25:                             ; =>This Loop Header: Depth=1
                                        ;     Child Loop BB133_33 Depth 2
	v_mov_b32_e32 v17, s30
	v_add_co_u32_e32 v16, vcc, s29, v10
	v_addc_co_u32_e32 v17, vcc, v17, v11, vcc
	global_load_dword v32, v[16:17], off
	s_and_saveexec_b64 s[14:15], s[2:3]
	s_cbranch_execz .LBB133_27
; %bb.26:                               ;   in Loop: Header=BB133_25 Depth=1
	v_mov_b32_e32 v19, s18
	v_add_co_u32_e32 v16, vcc, s7, v12
	v_addc_co_u32_e32 v17, vcc, v19, v13, vcc
	v_add_co_u32_e32 v18, vcc, s7, v2
	v_addc_co_u32_e32 v19, vcc, v19, v3, vcc
	global_load_dword v30, v[18:19], off offset:64
	global_load_dword v31, v[16:17], off offset:64
.LBB133_27:                             ;   in Loop: Header=BB133_25 Depth=1
	s_or_b64 exec, exec, s[14:15]
	ds_read_b64 v[18:19], v28
	s_add_u32 s29, s29, s4
	s_addc_u32 s30, s30, s5
	s_cmp_eq_u32 s33, s31
	s_waitcnt vmcnt(1)
	v_mov_b32_e32 v33, v26
	v_pk_mov_b32 v[16:17], v[4:5], v[4:5] op_sel:[0,1]
	s_cbranch_scc1 .LBB133_31
; %bb.28:                               ;   in Loop: Header=BB133_25 Depth=1
	v_pk_mov_b32 v[16:17], v[4:5], v[4:5] op_sel:[0,1]
	s_and_saveexec_b64 s[14:15], s[2:3]
	s_cbranch_execz .LBB133_30
; %bb.29:                               ;   in Loop: Header=BB133_25 Depth=1
	v_mov_b32_e32 v16, s18
	v_add_co_u32_e32 v20, vcc, s7, v2
	v_addc_co_u32_e32 v21, vcc, v16, v3, vcc
	v_mov_b32_e32 v16, s13
	v_add_co_u32_e32 v34, vcc, s12, v20
	v_addc_co_u32_e32 v35, vcc, v21, v16, vcc
	global_load_dword v16, v[20:21], off offset:128
	global_load_dword v17, v[34:35], off offset:128
.LBB133_30:                             ;   in Loop: Header=BB133_25 Depth=1
	s_or_b64 exec, exec, s[14:15]
	v_mov_b32_e32 v21, s30
	v_add_co_u32_e32 v20, vcc, s29, v6
	v_addc_co_u32_e32 v21, vcc, v21, v7, vcc
	global_load_dword v33, v[20:21], off
.LBB133_31:                             ;   in Loop: Header=BB133_25 Depth=1
	s_waitcnt lgkmcnt(0)
	v_fma_f32 v20, v4, v18, 0
	v_fma_f32 v18, v30, v18, 0
	v_fmac_f32_e32 v20, v5, v19
	s_waitcnt vmcnt(0)
	v_fmac_f32_e32 v18, v31, v19
	s_barrier
	ds_write2_b32 v24, v20, v18 offset1:16
	s_waitcnt lgkmcnt(0)
	s_barrier
	s_and_saveexec_b64 s[14:15], s[0:1]
	s_cbranch_execz .LBB133_35
; %bb.32:                               ;   in Loop: Header=BB133_25 Depth=1
	v_add_co_u32_e32 v18, vcc, v8, v14
	v_addc_co_u32_e32 v19, vcc, v9, v15, vcc
	global_load_dword v21, v[18:19], off
	ds_read2_b32 v[34:35], v29 offset1:32
	ds_read2_b32 v[36:37], v29 offset0:64 offset1:96
	ds_read2_b32 v[38:39], v29 offset0:128 offset1:160
	v_add_u32_e32 v40, 0x400, v29
	s_mov_b64 s[16:17], 0
	s_waitcnt lgkmcnt(2)
	v_add_f32_e32 v20, 0, v34
	v_add_f32_e32 v20, v20, v35
	ds_read2_b32 v[34:35], v29 offset0:192 offset1:224
	s_waitcnt lgkmcnt(2)
	v_add_f32_e32 v20, v20, v36
	v_add_f32_e32 v20, v20, v37
	s_waitcnt lgkmcnt(1)
	v_add_f32_e32 v20, v20, v38
	ds_read2_b32 v[36:37], v40 offset1:32
	v_add_f32_e32 v20, v20, v39
	s_waitcnt lgkmcnt(1)
	v_add_f32_e32 v20, v20, v34
	v_add_f32_e32 v20, v20, v35
	ds_read2_b32 v[34:35], v40 offset0:64 offset1:96
	ds_read2_b32 v[38:39], v40 offset0:128 offset1:160
	s_waitcnt lgkmcnt(2)
	v_add_f32_e32 v20, v20, v36
	v_add_f32_e32 v20, v20, v37
	ds_read2_b32 v[36:37], v40 offset0:192 offset1:224
	s_waitcnt lgkmcnt(2)
	v_add_f32_e32 v20, v20, v34
	v_add_f32_e32 v20, v20, v35
	s_waitcnt lgkmcnt(1)
	v_add_f32_e32 v20, v20, v38
	v_add_f32_e32 v20, v20, v39
	;; [unrolled: 3-line block ×3, first 2 shown]
	v_mul_f32_e32 v34, s22, v20
.LBB133_33:                             ;   Parent Loop BB133_25 Depth=1
                                        ; =>  This Inner Loop Header: Depth=2
	s_waitcnt vmcnt(0)
	v_add_f32_e32 v20, v21, v34
	global_atomic_cmpswap v20, v[18:19], v[20:21], off glc
	s_waitcnt vmcnt(0)
	v_cmp_eq_u32_e32 vcc, v20, v21
	s_or_b64 s[16:17], vcc, s[16:17]
	v_mov_b32_e32 v21, v20
	s_andn2_b64 exec, exec, s[16:17]
	s_cbranch_execnz .LBB133_33
; %bb.34:                               ;   in Loop: Header=BB133_25 Depth=1
	s_or_b64 exec, exec, s[16:17]
	v_mov_b32_e32 v18, s9
	v_add_co_u32_e32 v8, vcc, s8, v8
	v_addc_co_u32_e32 v9, vcc, v9, v18, vcc
.LBB133_35:                             ;   in Loop: Header=BB133_25 Depth=1
	s_or_b64 exec, exec, s[14:15]
	s_add_u32 s7, s7, 0x80
	v_fmac_f32_e32 v25, v26, v4
	v_fmac_f32_e32 v27, v26, v5
	s_addc_u32 s18, s18, 0
	s_add_i32 s33, s33, 1
	v_fmac_f32_e32 v25, v32, v30
	v_fmac_f32_e32 v27, v32, v31
	s_cmp_eq_u32 s33, s23
	s_cbranch_scc1 .LBB133_37
; %bb.36:                               ;   in Loop: Header=BB133_25 Depth=1
	v_mov_b32_e32 v26, v33
	v_pk_mov_b32 v[4:5], v[16:17], v[16:17] op_sel:[0,1]
	s_branch .LBB133_25
.LBB133_37:
	v_mov_b32_e32 v6, v1
.LBB133_38:
	v_lshlrev_b32_e32 v1, 2, v6
	ds_write_b32 v1, v25 offset:2048
	v_lshlrev_b32_e32 v1, 2, v23
	ds_write_b32 v1, v27 offset:2048
	s_waitcnt lgkmcnt(0)
	s_barrier
	s_and_saveexec_b64 s[2:3], s[0:1]
	s_cbranch_execz .LBB133_42
; %bb.39:
	s_cmp_lt_u32 s6, s27
	v_cmp_gt_i32_e32 vcc, s26, v22
	s_cselect_b64 s[0:1], -1, 0
	s_or_b64 s[0:1], vcc, s[0:1]
	s_and_b64 exec, exec, s[0:1]
	s_cbranch_execz .LBB133_42
; %bb.40:
	s_mul_i32 s0, s24, s11
	s_mul_hi_u32 s1, s24, s10
	s_add_i32 s0, s1, s0
	s_mul_i32 s1, s25, s10
	s_add_i32 s1, s0, s1
	s_mul_i32 s0, s24, s10
	s_lshl_b64 s[0:1], s[0:1], 2
	s_add_u32 s2, s19, s0
	s_waitcnt vmcnt(1)
	v_lshlrev_b32_e32 v4, 4, v22
	s_addc_u32 s3, s28, s1
	s_waitcnt vmcnt(0)
	v_or_b32_e32 v5, v0, v4
	v_mad_u64_u32 v[0:1], s[0:1], v22, s10, 0
	v_mov_b32_e32 v2, v1
	v_mad_u64_u32 v[2:3], s[0:1], v22, s11, v[2:3]
	v_mov_b32_e32 v1, v2
	v_lshlrev_b64 v[0:1], 2, v[0:1]
	v_mov_b32_e32 v2, s3
	v_add_co_u32_e32 v0, vcc, s2, v0
	v_addc_co_u32_e32 v1, vcc, v2, v1, vcc
	global_load_dword v3, v[0:1], off
	v_add_u32_e32 v6, 1, v22
	v_add_u32_e32 v7, 2, v22
	;; [unrolled: 1-line block ×7, first 2 shown]
	v_and_or_b32 v6, v6, 15, v4
	v_and_or_b32 v7, v7, 15, v4
	;; [unrolled: 1-line block ×7, first 2 shown]
	v_lshlrev_b32_e32 v2, 2, v5
	v_lshlrev_b32_e32 v6, 2, v6
	;; [unrolled: 1-line block ×8, first 2 shown]
	ds_read_b32 v2, v2 offset:2048
	ds_read_b32 v6, v6 offset:2048
	;; [unrolled: 1-line block ×8, first 2 shown]
	s_waitcnt lgkmcnt(7)
	v_add_f32_e32 v2, 0, v2
	s_waitcnt lgkmcnt(6)
	v_add_f32_e32 v2, v2, v6
	;; [unrolled: 2-line block ×8, first 2 shown]
	v_add_u32_e32 v6, 9, v22
	v_add_u32_e32 v7, 10, v22
	;; [unrolled: 1-line block ×6, first 2 shown]
	v_add_u32_e32 v12, -1, v22
	v_xor_b32_e32 v5, 8, v5
	v_and_or_b32 v6, v6, 15, v4
	v_and_or_b32 v7, v7, 15, v4
	;; [unrolled: 1-line block ×7, first 2 shown]
	v_lshlrev_b32_e32 v5, 2, v5
	v_lshlrev_b32_e32 v6, 2, v6
	;; [unrolled: 1-line block ×8, first 2 shown]
	ds_read_b32 v5, v5 offset:2048
	ds_read_b32 v6, v6 offset:2048
	;; [unrolled: 1-line block ×8, first 2 shown]
	s_waitcnt lgkmcnt(7)
	v_add_f32_e32 v2, v2, v5
	s_waitcnt lgkmcnt(6)
	v_add_f32_e32 v2, v2, v6
	;; [unrolled: 2-line block ×8, first 2 shown]
	v_mul_f32_e32 v4, s22, v2
	s_mov_b64 s[0:1], 0
.LBB133_41:                             ; =>This Inner Loop Header: Depth=1
	s_waitcnt vmcnt(0)
	v_add_f32_e32 v2, v3, v4
	global_atomic_cmpswap v2, v[0:1], v[2:3], off glc
	s_waitcnt vmcnt(0)
	v_cmp_eq_u32_e32 vcc, v2, v3
	s_or_b64 s[0:1], vcc, s[0:1]
	v_mov_b32_e32 v3, v2
	s_andn2_b64 exec, exec, s[0:1]
	s_cbranch_execnz .LBB133_41
.LBB133_42:
	s_endpgm
	.section	.rodata,"a",@progbits
	.p2align	6, 0x0
	.amdhsa_kernel _ZL62rocblas_symv_kernel_upper_double_buffered_non_diagonal_genericILi32ELi8ELi2ELi0E24rocblas_internal_val_ptrIfEPKPKfPKPfEvbiT3_lT4_lllSA_lllT5_lllii
		.amdhsa_group_segment_fixed_size 4224
		.amdhsa_private_segment_fixed_size 0
		.amdhsa_kernarg_size 384
		.amdhsa_user_sgpr_count 6
		.amdhsa_user_sgpr_private_segment_buffer 1
		.amdhsa_user_sgpr_dispatch_ptr 0
		.amdhsa_user_sgpr_queue_ptr 0
		.amdhsa_user_sgpr_kernarg_segment_ptr 1
		.amdhsa_user_sgpr_dispatch_id 0
		.amdhsa_user_sgpr_flat_scratch_init 0
		.amdhsa_user_sgpr_kernarg_preload_length 0
		.amdhsa_user_sgpr_kernarg_preload_offset 0
		.amdhsa_user_sgpr_private_segment_size 0
		.amdhsa_uses_dynamic_stack 0
		.amdhsa_system_sgpr_private_segment_wavefront_offset 0
		.amdhsa_system_sgpr_workgroup_id_x 1
		.amdhsa_system_sgpr_workgroup_id_y 1
		.amdhsa_system_sgpr_workgroup_id_z 1
		.amdhsa_system_sgpr_workgroup_info 0
		.amdhsa_system_vgpr_workitem_id 1
		.amdhsa_next_free_vgpr 41
		.amdhsa_next_free_sgpr 36
		.amdhsa_accum_offset 44
		.amdhsa_reserve_vcc 1
		.amdhsa_reserve_flat_scratch 0
		.amdhsa_float_round_mode_32 0
		.amdhsa_float_round_mode_16_64 0
		.amdhsa_float_denorm_mode_32 3
		.amdhsa_float_denorm_mode_16_64 3
		.amdhsa_dx10_clamp 1
		.amdhsa_ieee_mode 1
		.amdhsa_fp16_overflow 0
		.amdhsa_tg_split 0
		.amdhsa_exception_fp_ieee_invalid_op 0
		.amdhsa_exception_fp_denorm_src 0
		.amdhsa_exception_fp_ieee_div_zero 0
		.amdhsa_exception_fp_ieee_overflow 0
		.amdhsa_exception_fp_ieee_underflow 0
		.amdhsa_exception_fp_ieee_inexact 0
		.amdhsa_exception_int_div_zero 0
	.end_amdhsa_kernel
	.section	.text._ZL62rocblas_symv_kernel_upper_double_buffered_non_diagonal_genericILi32ELi8ELi2ELi0E24rocblas_internal_val_ptrIfEPKPKfPKPfEvbiT3_lT4_lllSA_lllT5_lllii,"axG",@progbits,_ZL62rocblas_symv_kernel_upper_double_buffered_non_diagonal_genericILi32ELi8ELi2ELi0E24rocblas_internal_val_ptrIfEPKPKfPKPfEvbiT3_lT4_lllSA_lllT5_lllii,comdat
.Lfunc_end133:
	.size	_ZL62rocblas_symv_kernel_upper_double_buffered_non_diagonal_genericILi32ELi8ELi2ELi0E24rocblas_internal_val_ptrIfEPKPKfPKPfEvbiT3_lT4_lllSA_lllT5_lllii, .Lfunc_end133-_ZL62rocblas_symv_kernel_upper_double_buffered_non_diagonal_genericILi32ELi8ELi2ELi0E24rocblas_internal_val_ptrIfEPKPKfPKPfEvbiT3_lT4_lllSA_lllT5_lllii
                                        ; -- End function
	.section	.AMDGPU.csdata,"",@progbits
; Kernel info:
; codeLenInByte = 2568
; NumSgprs: 40
; NumVgprs: 41
; NumAgprs: 0
; TotalNumVgprs: 41
; ScratchSize: 0
; MemoryBound: 0
; FloatMode: 240
; IeeeMode: 1
; LDSByteSize: 4224 bytes/workgroup (compile time only)
; SGPRBlocks: 4
; VGPRBlocks: 5
; NumSGPRsForWavesPerEU: 40
; NumVGPRsForWavesPerEU: 41
; AccumOffset: 44
; Occupancy: 8
; WaveLimiterHint : 1
; COMPUTE_PGM_RSRC2:SCRATCH_EN: 0
; COMPUTE_PGM_RSRC2:USER_SGPR: 6
; COMPUTE_PGM_RSRC2:TRAP_HANDLER: 0
; COMPUTE_PGM_RSRC2:TGID_X_EN: 1
; COMPUTE_PGM_RSRC2:TGID_Y_EN: 1
; COMPUTE_PGM_RSRC2:TGID_Z_EN: 1
; COMPUTE_PGM_RSRC2:TIDIG_COMP_CNT: 1
; COMPUTE_PGM_RSRC3_GFX90A:ACCUM_OFFSET: 10
; COMPUTE_PGM_RSRC3_GFX90A:TG_SPLIT: 0
	.section	.text._ZL62rocblas_symv_kernel_upper_double_buffered_non_diagonal_genericILi32ELi8ELi2ELi1E24rocblas_internal_val_ptrIfEPKPKfPKPfEvbiT3_lT4_lllSA_lllT5_lllii,"axG",@progbits,_ZL62rocblas_symv_kernel_upper_double_buffered_non_diagonal_genericILi32ELi8ELi2ELi1E24rocblas_internal_val_ptrIfEPKPKfPKPfEvbiT3_lT4_lllSA_lllT5_lllii,comdat
	.globl	_ZL62rocblas_symv_kernel_upper_double_buffered_non_diagonal_genericILi32ELi8ELi2ELi1E24rocblas_internal_val_ptrIfEPKPKfPKPfEvbiT3_lT4_lllSA_lllT5_lllii ; -- Begin function _ZL62rocblas_symv_kernel_upper_double_buffered_non_diagonal_genericILi32ELi8ELi2ELi1E24rocblas_internal_val_ptrIfEPKPKfPKPfEvbiT3_lT4_lllSA_lllT5_lllii
	.p2align	8
	.type	_ZL62rocblas_symv_kernel_upper_double_buffered_non_diagonal_genericILi32ELi8ELi2ELi1E24rocblas_internal_val_ptrIfEPKPKfPKPfEvbiT3_lT4_lllSA_lllT5_lllii,@function
_ZL62rocblas_symv_kernel_upper_double_buffered_non_diagonal_genericILi32ELi8ELi2ELi1E24rocblas_internal_val_ptrIfEPKPKfPKPfEvbiT3_lT4_lllSA_lllT5_lllii: ; @_ZL62rocblas_symv_kernel_upper_double_buffered_non_diagonal_genericILi32ELi8ELi2ELi1E24rocblas_internal_val_ptrIfEPKPKfPKPfEvbiT3_lT4_lllSA_lllT5_lllii
; %bb.0:
	s_load_dword s0, s[4:5], 0x0
	s_load_dwordx8 s[12:19], s[4:5], 0x8
	s_load_dwordx2 s[20:21], s[4:5], 0x28
	s_waitcnt lgkmcnt(0)
	s_bitcmp0_b32 s0, 0
	s_cbranch_scc0 .LBB134_2
; %bb.1:
	s_mul_i32 s0, s8, s15
	s_mul_hi_u32 s1, s8, s14
	s_add_i32 s1, s1, s0
	s_mul_i32 s0, s8, s14
	s_lshl_b64 s[0:1], s[0:1], 2
	s_add_u32 s0, s12, s0
	s_addc_u32 s1, s13, s1
	s_load_dword s24, s[0:1], 0x0
	s_cbranch_execz .LBB134_3
	s_branch .LBB134_4
.LBB134_2:
                                        ; implicit-def: $sgpr24
.LBB134_3:
	s_waitcnt lgkmcnt(0)
	s_mov_b32 s24, s12
.LBB134_4:
	s_waitcnt lgkmcnt(0)
	v_cmp_eq_f32_e64 s[0:1], s24, 0
	s_and_b64 vcc, exec, s[0:1]
	s_cbranch_vccnz .LBB134_66
; %bb.5:
	s_load_dword s12, s[4:5], 0x84
	s_add_u32 s10, s4, 0x80
	s_addc_u32 s11, s5, 0
	s_cmp_eq_u32 s6, 0
	s_waitcnt lgkmcnt(0)
	v_cvt_f32_u32_e32 v1, s12
	v_rcp_iflag_f32_e32 v1, v1
	v_mul_f32_e32 v1, 0x4f7ffffe, v1
	v_cvt_u32_f32_e32 v1, v1
	v_readfirstlane_b32 s0, v1
	s_cbranch_scc1 .LBB134_66
; %bb.6:
	s_sub_i32 s1, 0, s12
	s_mul_i32 s1, s1, s0
	s_mul_hi_u32 s1, s0, s1
	s_add_i32 s0, s0, s1
	s_mul_hi_u32 s13, s6, s0
	s_load_dwordx2 s[14:15], s[4:5], 0x58
	s_load_dwordx4 s[0:3], s[4:5], 0x38
	s_mov_b32 s9, 0
	s_lshl_b64 s[8:9], s[8:9], 3
	s_add_u32 s16, s16, s8
	s_addc_u32 s17, s17, s9
	s_waitcnt lgkmcnt(0)
	s_add_u32 s0, s0, s8
	s_addc_u32 s1, s1, s9
	s_add_u32 s22, s14, s8
	s_mul_i32 s8, s13, s12
	s_addc_u32 s23, s15, s9
	s_sub_i32 s8, s6, s8
	s_add_i32 s9, s13, 1
	s_sub_i32 s14, s8, s12
	s_cmp_ge_u32 s8, s12
	s_cselect_b32 s9, s9, s13
	s_cselect_b32 s8, s14, s8
	s_add_i32 s13, s9, 1
	s_cmp_ge_u32 s8, s12
	s_cselect_b32 s28, s13, s9
	s_add_i32 s8, s12, -1
	s_cmp_lg_u32 s7, s8
	s_mov_b32 s25, s28
	s_cbranch_scc1 .LBB134_8
; %bb.7:
	s_mul_i32 s8, s28, s12
	s_sub_i32 s8, s6, s8
	s_add_i32 s25, s8, s28
.LBB134_8:
	s_cmp_eq_u32 s25, 0
	s_cbranch_scc1 .LBB134_66
; %bb.9:
	s_load_dwordx2 s[26:27], s[0:1], 0x0
	s_load_dwordx2 s[12:13], s[4:5], 0x48
	;; [unrolled: 1-line block ×4, first 2 shown]
	s_lshl_b64 s[0:1], s[2:3], 2
	s_waitcnt lgkmcnt(0)
	s_add_u32 s31, s26, s0
	s_addc_u32 s33, s27, s1
	s_lshl_b32 s22, s6, 5
	s_ashr_i32 s23, s22, 31
	s_mul_i32 s0, s22, s13
	s_mul_hi_u32 s1, s22, s12
	s_load_dword s26, s[10:11], 0x0
	s_add_i32 s0, s1, s0
	s_mul_i32 s1, s23, s12
	s_add_i32 s1, s0, s1
	s_mul_i32 s0, s22, s12
	s_lshl_b64 s[0:1], s[0:1], 2
	s_add_u32 s29, s31, s0
	s_addc_u32 s30, s33, s1
	s_waitcnt lgkmcnt(0)
	s_add_i32 s26, s26, -1
	s_cmp_lg_u32 s6, s26
	v_and_b32_e32 v20, 0x3ff, v0
	v_bfe_u32 v0, v0, 10, 10
	s_cselect_b64 s[10:11], -1, 0
	v_lshl_add_u32 v1, v0, 5, v20
	v_cmp_eq_u32_e64 s[0:1], 0, v0
	s_mov_b64 s[2:3], -1
	s_and_b64 vcc, exec, s[10:11]
	s_cbranch_vccz .LBB134_13
; %bb.10:
	s_and_saveexec_b64 s[2:3], s[0:1]
	s_cbranch_execz .LBB134_12
; %bb.11:
	v_mad_u64_u32 v[2:3], s[16:17], v20, s12, 0
	v_mov_b32_e32 v0, v3
	v_mad_u64_u32 v[4:5], s[16:17], v20, s13, v[0:1]
	v_mov_b32_e32 v3, v4
	v_lshlrev_b64 v[2:3], 2, v[2:3]
	v_mov_b32_e32 v0, s30
	v_add_co_u32_e32 v2, vcc, s29, v2
	v_addc_co_u32_e32 v3, vcc, v0, v3, vcc
	global_load_dword v0, v[2:3], off
	v_lshlrev_b32_e32 v2, 2, v20
	s_waitcnt vmcnt(0)
	ds_write_b32 v2, v0 offset:4096
.LBB134_12:
	s_or_b64 exec, exec, s[2:3]
	s_mov_b64 s[2:3], 0
.LBB134_13:
	s_load_dword s27, s[4:5], 0x78
	v_and_b32_e32 v0, 15, v20
	s_andn2_b64 vcc, exec, s[2:3]
	v_lshrrev_b32_e32 v8, 4, v1
	s_cbranch_vccnz .LBB134_19
; %bb.14:
	s_and_saveexec_b64 s[2:3], s[0:1]
	s_cbranch_execz .LBB134_18
; %bb.15:
	s_waitcnt lgkmcnt(0)
	v_cmp_gt_i32_e32 vcc, s27, v20
	v_mov_b32_e32 v1, 0
	s_and_saveexec_b64 s[16:17], vcc
	s_cbranch_execz .LBB134_17
; %bb.16:
	v_mad_u64_u32 v[2:3], s[34:35], v20, s12, 0
	v_mov_b32_e32 v4, v3
	v_mad_u64_u32 v[4:5], s[34:35], v20, s13, v[4:5]
	v_mov_b32_e32 v3, v4
	v_lshlrev_b64 v[2:3], 2, v[2:3]
	v_mov_b32_e32 v1, s30
	v_add_co_u32_e32 v2, vcc, s29, v2
	v_addc_co_u32_e32 v3, vcc, v1, v3, vcc
	global_load_dword v1, v[2:3], off
.LBB134_17:
	s_or_b64 exec, exec, s[16:17]
	v_lshlrev_b32_e32 v2, 2, v20
	s_waitcnt vmcnt(0)
	ds_write_b32 v2, v1 offset:4096
.LBB134_18:
	s_or_b64 exec, exec, s[2:3]
	v_lshlrev_b32_e32 v1, 2, v0
	v_lshl_or_b32 v1, v8, 7, v1
	v_mov_b32_e32 v2, 0
	ds_write2_b32 v1, v2, v2 offset1:16
	v_add_u32_e32 v1, 0x800, v1
	ds_write2_b32 v1, v2, v2 offset1:16
.LBB134_19:
	s_waitcnt lgkmcnt(0)
	s_lshr_b32 s2, s27, 31
	s_add_i32 s2, s27, s2
	s_ashr_i32 s34, s2, 1
	s_lshl_b64 s[2:3], s[18:19], 2
	s_add_u32 s8, s8, s2
	s_addc_u32 s9, s9, s3
	s_mul_i32 s2, s22, s21
	s_mul_hi_u32 s3, s22, s20
	s_add_i32 s2, s3, s2
	s_mul_i32 s3, s23, s20
	s_add_i32 s3, s2, s3
	s_mul_i32 s2, s22, s20
	s_lshl_b64 s[2:3], s[2:3], 2
	s_add_u32 s8, s8, s2
	s_mul_i32 s7, s7, s28
	s_addc_u32 s9, s9, s3
	s_lshl_b32 s16, s7, 5
	s_ashr_i32 s17, s16, 31
	s_lshl_b64 s[2:3], s[16:17], 2
	s_add_u32 s7, s8, s2
	v_lshlrev_b32_e32 v9, 1, v8
	v_mov_b32_e32 v1, 0
	s_addc_u32 s28, s9, s3
	v_mad_u64_u32 v[2:3], s[2:3], v9, s20, v[0:1]
	v_mov_b32_e32 v4, v3
	v_mad_u64_u32 v[4:5], s[2:3], v9, s21, v[4:5]
	v_mov_b32_e32 v3, v4
	v_cndmask_b32_e64 v1, 0, 1, s[10:11]
	v_cmp_ne_u32_e64 s[2:3], 1, v1
	s_andn2_b64 vcc, exec, s[10:11]
	v_lshlrev_b64 v[2:3], 2, v[2:3]
	s_barrier
	s_cbranch_vccnz .LBB134_21
; %bb.20:
	v_mov_b32_e32 v1, s28
	v_add_co_u32_e32 v6, vcc, s7, v2
	v_addc_co_u32_e32 v7, vcc, v1, v3, vcc
	s_lshl_b64 s[8:9], s[20:21], 2
	v_mov_b32_e32 v1, s9
	v_add_co_u32_e32 v10, vcc, s8, v6
	v_addc_co_u32_e32 v11, vcc, v7, v1, vcc
	global_load_dword v4, v[6:7], off
	global_load_dword v5, v[10:11], off
	v_cmp_le_i32_e64 s[8:9], s34, v8
	s_cbranch_execz .LBB134_22
	s_branch .LBB134_29
.LBB134_21:
                                        ; implicit-def: $vgpr4_vgpr5
	v_cmp_le_i32_e64 s[8:9], s34, v8
.LBB134_22:
                                        ; implicit-def: $vgpr4_vgpr5
	s_and_saveexec_b64 s[10:11], s[8:9]
	s_xor_b64 s[8:9], exec, s[10:11]
	s_cbranch_execz .LBB134_26
; %bb.23:
	s_mov_b32 s10, 0
	s_mov_b32 s11, s10
	v_cmp_eq_u32_e32 vcc, s34, v8
	s_waitcnt vmcnt(0)
	v_pk_mov_b32 v[4:5], s[10:11], s[10:11] op_sel:[0,1]
	s_and_saveexec_b64 s[10:11], vcc
	s_cbranch_execz .LBB134_25
; %bb.24:
	v_mov_b32_e32 v1, s28
	v_add_co_u32_e32 v4, vcc, s7, v2
	v_addc_co_u32_e32 v5, vcc, v1, v3, vcc
	global_load_dword v4, v[4:5], off
	v_mov_b32_e32 v5, 0
.LBB134_25:
	s_or_b64 exec, exec, s[10:11]
.LBB134_26:
	s_andn2_saveexec_b64 s[8:9], s[8:9]
	s_cbranch_execz .LBB134_28
; %bb.27:
	v_mov_b32_e32 v1, s28
	v_add_co_u32_e32 v6, vcc, s7, v2
	v_addc_co_u32_e32 v7, vcc, v1, v3, vcc
	s_lshl_b64 s[10:11], s[20:21], 2
	v_mov_b32_e32 v1, s11
	v_add_co_u32_e32 v10, vcc, s10, v6
	v_addc_co_u32_e32 v11, vcc, v7, v1, vcc
	global_load_dword v4, v[6:7], off
	global_load_dword v5, v[10:11], off
.LBB134_28:
	s_or_b64 exec, exec, s[8:9]
.LBB134_29:
	s_load_dwordx4 s[8:11], s[4:5], 0x60
	v_lshl_or_b32 v1, v8, 5, v0
	s_waitcnt lgkmcnt(0)
	s_lshl_b64 s[4:5], s[8:9], 2
	s_add_u32 s29, s14, s4
	s_addc_u32 s30, s15, s5
	s_mov_b32 s8, 0
	s_cmp_gt_i32 s25, 0
	s_cbranch_scc1 .LBB134_31
; %bb.30:
	v_lshl_or_b32 v6, v8, 5, v0
	v_or_b32_e32 v21, 16, v6
	v_mov_b32_e32 v25, s8
	v_mov_b32_e32 v22, s8
	s_cbranch_execz .LBB134_32
	s_branch .LBB134_62
.LBB134_31:
                                        ; implicit-def: $sgpr8
                                        ; implicit-def: $vgpr6
                                        ; implicit-def: $vgpr21
	v_mov_b32_e32 v25, s8
	v_mov_b32_e32 v22, s8
.LBB134_32:
	v_mad_u64_u32 v[6:7], s[4:5], v0, s12, 0
	v_mov_b32_e32 v10, v7
	v_mad_u64_u32 v[10:11], s[4:5], v0, s13, v[10:11]
	s_mul_i32 s4, s16, s13
	s_mul_hi_u32 s5, s16, s12
	s_add_i32 s4, s5, s4
	s_mul_i32 s5, s17, s12
	s_add_i32 s5, s4, s5
	s_mul_i32 s4, s16, s12
	s_lshl_b64 s[4:5], s[4:5], 2
	v_mov_b32_e32 v7, v10
	s_add_u32 s31, s31, s4
	s_addc_u32 s33, s33, s5
	v_lshlrev_b64 v[6:7], 2, v[6:7]
	v_mov_b32_e32 v11, s33
	v_add_co_u32_e32 v10, vcc, s31, v6
	v_addc_co_u32_e32 v11, vcc, v11, v7, vcc
	global_load_dword v23, v[10:11], off
	s_mul_i32 s4, s16, s11
	s_mul_hi_u32 s5, s16, s10
	s_add_i32 s4, s5, s4
	s_mul_i32 s5, s17, s10
	s_add_i32 s5, s4, s5
	s_mul_i32 s4, s16, s10
	s_lshl_b64 s[4:5], s[4:5], 2
	s_add_u32 s16, s29, s4
	v_or_b32_e32 v13, 16, v0
	s_addc_u32 s17, s30, s5
	v_mad_u64_u32 v[10:11], s[4:5], v13, s12, 0
	v_mov_b32_e32 v12, v11
	v_mad_u64_u32 v[12:13], s[4:5], v13, s13, v[12:13]
	v_mov_b32_e32 v11, v12
	v_mad_u64_u32 v[12:13], s[14:15], v20, s10, 0
	v_cmp_le_i32_e64 s[4:5], s34, v8
	v_cmp_eq_u32_e64 s[8:9], s34, v8
	v_mov_b32_e32 v8, v13
	v_mad_u64_u32 v[14:15], s[14:15], v20, s11, v[8:9]
	v_mov_b32_e32 v13, v14
	v_mov_b32_e32 v8, 0x1000
	s_lshl_b64 s[12:13], s[12:13], 7
	s_add_i32 s34, s25, -1
	v_lshlrev_b32_e32 v24, 2, v1
	v_or_b32_e32 v21, 16, v1
	s_lshl_b64 s[14:15], s[10:11], 7
	v_lshl_add_u32 v26, v9, 2, v8
	v_lshlrev_b32_e32 v27, 2, v20
	s_mov_b32 s35, 0
	v_pk_mov_b32 v[8:9], s[16:17], s[16:17] op_sel:[0,1]
	v_mov_b32_e32 v22, 0
	v_lshlrev_b64 v[10:11], 2, v[10:11]
	s_lshl_b64 s[16:17], s[20:21], 2
	v_lshlrev_b64 v[12:13], 2, v[12:13]
	v_mov_b32_e32 v25, 0
	v_mov_b32_e32 v15, 0
	;; [unrolled: 1-line block ×3, first 2 shown]
.LBB134_33:                             ; =>This Loop Header: Depth=1
                                        ;     Child Loop BB134_57 Depth 2
	v_mov_b32_e32 v17, s33
	v_add_co_u32_e32 v16, vcc, s31, v10
	v_addc_co_u32_e32 v17, vcc, v17, v11, vcc
	global_load_dword v28, v[16:17], off
	s_and_b64 vcc, exec, s[2:3]
	s_cbranch_vccnz .LBB134_35
; %bb.34:                               ;   in Loop: Header=BB134_33 Depth=1
	v_mov_b32_e32 v17, s28
	v_add_co_u32_e32 v16, vcc, s7, v2
	v_addc_co_u32_e32 v17, vcc, v17, v3, vcc
	v_mov_b32_e32 v19, s17
	v_add_co_u32_e32 v18, vcc, s16, v16
	v_addc_co_u32_e32 v19, vcc, v17, v19, vcc
	global_load_dword v29, v[16:17], off offset:64
	global_load_dword v30, v[18:19], off offset:64
	s_cbranch_execz .LBB134_36
	s_branch .LBB134_43
.LBB134_35:                             ;   in Loop: Header=BB134_33 Depth=1
                                        ; implicit-def: $vgpr30
                                        ; implicit-def: $vgpr29
.LBB134_36:                             ;   in Loop: Header=BB134_33 Depth=1
	s_and_saveexec_b64 s[18:19], s[4:5]
	s_xor_b64 s[18:19], exec, s[18:19]
	s_cbranch_execz .LBB134_40
; %bb.37:                               ;   in Loop: Header=BB134_33 Depth=1
	s_and_saveexec_b64 s[20:21], s[8:9]
	s_cbranch_execz .LBB134_39
; %bb.38:                               ;   in Loop: Header=BB134_33 Depth=1
	v_mov_b32_e32 v15, s28
	v_add_co_u32_e32 v16, vcc, s7, v2
	v_addc_co_u32_e32 v17, vcc, v15, v3, vcc
	global_load_dword v15, v[16:17], off offset:64
.LBB134_39:                             ;   in Loop: Header=BB134_33 Depth=1
	s_or_b64 exec, exec, s[20:21]
.LBB134_40:                             ;   in Loop: Header=BB134_33 Depth=1
	s_andn2_saveexec_b64 s[18:19], s[18:19]
	s_cbranch_execz .LBB134_42
; %bb.41:                               ;   in Loop: Header=BB134_33 Depth=1
	v_mov_b32_e32 v14, s28
	v_add_co_u32_e32 v16, vcc, s7, v2
	v_addc_co_u32_e32 v17, vcc, v14, v3, vcc
	v_mov_b32_e32 v14, s17
	v_add_co_u32_e32 v18, vcc, s16, v16
	v_addc_co_u32_e32 v19, vcc, v17, v14, vcc
	global_load_dword v15, v[16:17], off offset:64
	global_load_dword v14, v[18:19], off offset:64
.LBB134_42:                             ;   in Loop: Header=BB134_33 Depth=1
	s_or_b64 exec, exec, s[18:19]
	s_waitcnt vmcnt(0)
	v_mov_b32_e32 v29, v15
	v_mov_b32_e32 v30, v14
.LBB134_43:                             ;   in Loop: Header=BB134_33 Depth=1
	ds_read_b64 v[16:17], v26
	s_add_u32 s31, s31, s12
	s_addc_u32 s33, s33, s13
	s_cmp_eq_u32 s35, s34
	s_waitcnt vmcnt(1)
	v_mov_b32_e32 v31, v23
	v_pk_mov_b32 v[14:15], v[4:5], v[4:5] op_sel:[0,1]
	s_cbranch_scc1 .LBB134_55
; %bb.44:                               ;   in Loop: Header=BB134_33 Depth=1
	s_and_b64 vcc, exec, s[2:3]
	s_cbranch_vccnz .LBB134_46
; %bb.45:                               ;   in Loop: Header=BB134_33 Depth=1
	v_mov_b32_e32 v14, s28
	v_add_co_u32_e32 v18, vcc, s7, v2
	v_addc_co_u32_e32 v19, vcc, v14, v3, vcc
	v_mov_b32_e32 v14, s17
	v_add_co_u32_e32 v32, vcc, s16, v18
	v_addc_co_u32_e32 v33, vcc, v19, v14, vcc
	global_load_dword v14, v[18:19], off offset:128
	global_load_dword v15, v[32:33], off offset:128
	s_cbranch_execz .LBB134_47
	s_branch .LBB134_54
.LBB134_46:                             ;   in Loop: Header=BB134_33 Depth=1
                                        ; implicit-def: $vgpr14_vgpr15
.LBB134_47:                             ;   in Loop: Header=BB134_33 Depth=1
                                        ; implicit-def: $vgpr14_vgpr15
	s_and_saveexec_b64 s[18:19], s[4:5]
	s_xor_b64 s[18:19], exec, s[18:19]
	s_cbranch_execz .LBB134_51
; %bb.48:                               ;   in Loop: Header=BB134_33 Depth=1
	s_waitcnt vmcnt(0)
	v_pk_mov_b32 v[14:15], v[4:5], v[4:5] op_sel:[0,1]
	s_and_saveexec_b64 s[20:21], s[8:9]
	s_cbranch_execz .LBB134_50
; %bb.49:                               ;   in Loop: Header=BB134_33 Depth=1
	v_mov_b32_e32 v15, s28
	v_add_co_u32_e32 v14, vcc, s7, v2
	v_addc_co_u32_e32 v15, vcc, v15, v3, vcc
	global_load_dword v14, v[14:15], off offset:128
	v_mov_b32_e32 v15, v5
.LBB134_50:                             ;   in Loop: Header=BB134_33 Depth=1
	s_or_b64 exec, exec, s[20:21]
.LBB134_51:                             ;   in Loop: Header=BB134_33 Depth=1
	s_andn2_saveexec_b64 s[18:19], s[18:19]
	s_cbranch_execz .LBB134_53
; %bb.52:                               ;   in Loop: Header=BB134_33 Depth=1
	s_waitcnt vmcnt(0)
	v_mov_b32_e32 v14, s28
	v_add_co_u32_e32 v18, vcc, s7, v2
	v_addc_co_u32_e32 v19, vcc, v14, v3, vcc
	v_mov_b32_e32 v14, s17
	v_add_co_u32_e32 v32, vcc, s16, v18
	v_addc_co_u32_e32 v33, vcc, v19, v14, vcc
	global_load_dword v14, v[18:19], off offset:128
	global_load_dword v15, v[32:33], off offset:128
.LBB134_53:                             ;   in Loop: Header=BB134_33 Depth=1
	s_or_b64 exec, exec, s[18:19]
.LBB134_54:                             ;   in Loop: Header=BB134_33 Depth=1
	v_mov_b32_e32 v19, s33
	v_add_co_u32_e32 v18, vcc, s31, v6
	v_addc_co_u32_e32 v19, vcc, v19, v7, vcc
	global_load_dword v31, v[18:19], off
.LBB134_55:                             ;   in Loop: Header=BB134_33 Depth=1
	s_waitcnt lgkmcnt(0)
	v_fma_f32 v18, v4, v16, 0
	v_fma_f32 v16, v29, v16, 0
	v_fmac_f32_e32 v18, v5, v17
	s_waitcnt vmcnt(0)
	v_fmac_f32_e32 v16, v30, v17
	s_barrier
	ds_write2_b32 v24, v18, v16 offset1:16
	s_waitcnt lgkmcnt(0)
	s_barrier
	s_and_saveexec_b64 s[18:19], s[0:1]
	s_cbranch_execz .LBB134_59
; %bb.56:                               ;   in Loop: Header=BB134_33 Depth=1
	v_add_co_u32_e32 v16, vcc, v8, v12
	v_addc_co_u32_e32 v17, vcc, v9, v13, vcc
	global_load_dword v19, v[16:17], off
	ds_read2_b32 v[32:33], v27 offset1:32
	ds_read2_b32 v[34:35], v27 offset0:64 offset1:96
	ds_read2_b32 v[36:37], v27 offset0:128 offset1:160
	v_add_u32_e32 v38, 0x400, v27
	s_mov_b64 s[20:21], 0
	s_waitcnt lgkmcnt(2)
	v_add_f32_e32 v18, 0, v32
	v_add_f32_e32 v18, v18, v33
	ds_read2_b32 v[32:33], v27 offset0:192 offset1:224
	s_waitcnt lgkmcnt(2)
	v_add_f32_e32 v18, v18, v34
	v_add_f32_e32 v18, v18, v35
	s_waitcnt lgkmcnt(1)
	v_add_f32_e32 v18, v18, v36
	ds_read2_b32 v[34:35], v38 offset1:32
	v_add_f32_e32 v18, v18, v37
	s_waitcnt lgkmcnt(1)
	v_add_f32_e32 v18, v18, v32
	v_add_f32_e32 v18, v18, v33
	ds_read2_b32 v[32:33], v38 offset0:64 offset1:96
	ds_read2_b32 v[36:37], v38 offset0:128 offset1:160
	s_waitcnt lgkmcnt(2)
	v_add_f32_e32 v18, v18, v34
	v_add_f32_e32 v18, v18, v35
	ds_read2_b32 v[34:35], v38 offset0:192 offset1:224
	s_waitcnt lgkmcnt(2)
	v_add_f32_e32 v18, v18, v32
	v_add_f32_e32 v18, v18, v33
	s_waitcnt lgkmcnt(1)
	v_add_f32_e32 v18, v18, v36
	v_add_f32_e32 v18, v18, v37
	;; [unrolled: 3-line block ×3, first 2 shown]
	v_mul_f32_e32 v32, s24, v18
.LBB134_57:                             ;   Parent Loop BB134_33 Depth=1
                                        ; =>  This Inner Loop Header: Depth=2
	s_waitcnt vmcnt(0)
	v_add_f32_e32 v18, v19, v32
	global_atomic_cmpswap v18, v[16:17], v[18:19], off glc
	s_waitcnt vmcnt(0)
	v_cmp_eq_u32_e32 vcc, v18, v19
	s_or_b64 s[20:21], vcc, s[20:21]
	v_mov_b32_e32 v19, v18
	s_andn2_b64 exec, exec, s[20:21]
	s_cbranch_execnz .LBB134_57
; %bb.58:                               ;   in Loop: Header=BB134_33 Depth=1
	s_or_b64 exec, exec, s[20:21]
	v_mov_b32_e32 v16, s15
	v_add_co_u32_e32 v8, vcc, s14, v8
	v_addc_co_u32_e32 v9, vcc, v9, v16, vcc
.LBB134_59:                             ;   in Loop: Header=BB134_33 Depth=1
	s_or_b64 exec, exec, s[18:19]
	s_add_u32 s7, s7, 0x80
	v_fmac_f32_e32 v22, v23, v4
	v_fmac_f32_e32 v25, v23, v5
	s_addc_u32 s28, s28, 0
	s_add_i32 s35, s35, 1
	v_fmac_f32_e32 v22, v28, v29
	v_fmac_f32_e32 v25, v28, v30
	s_cmp_eq_u32 s35, s25
	s_cbranch_scc1 .LBB134_61
; %bb.60:                               ;   in Loop: Header=BB134_33 Depth=1
	v_mov_b32_e32 v23, v31
	v_pk_mov_b32 v[4:5], v[14:15], v[14:15] op_sel:[0,1]
	v_mov_b32_e32 v15, v29
	v_mov_b32_e32 v14, v30
	s_branch .LBB134_33
.LBB134_61:
	v_mov_b32_e32 v6, v1
.LBB134_62:
	v_lshlrev_b32_e32 v1, 2, v6
	ds_write_b32 v1, v22 offset:2048
	v_lshlrev_b32_e32 v1, 2, v21
	ds_write_b32 v1, v25 offset:2048
	s_waitcnt lgkmcnt(0)
	s_barrier
	s_and_saveexec_b64 s[2:3], s[0:1]
	s_cbranch_execz .LBB134_66
; %bb.63:
	s_cmp_lt_u32 s6, s26
	v_cmp_gt_i32_e32 vcc, s27, v20
	s_cselect_b64 s[0:1], -1, 0
	s_or_b64 s[0:1], vcc, s[0:1]
	s_and_b64 exec, exec, s[0:1]
	s_cbranch_execz .LBB134_66
; %bb.64:
	s_mul_i32 s0, s22, s11
	s_mul_hi_u32 s1, s22, s10
	s_add_i32 s0, s1, s0
	s_mul_i32 s1, s23, s10
	s_add_i32 s1, s0, s1
	s_mul_i32 s0, s22, s10
	s_lshl_b64 s[0:1], s[0:1], 2
	s_add_u32 s2, s29, s0
	s_waitcnt vmcnt(0)
	v_lshlrev_b32_e32 v4, 4, v20
	s_addc_u32 s3, s30, s1
	v_or_b32_e32 v5, v0, v4
	v_mad_u64_u32 v[0:1], s[0:1], v20, s10, 0
	v_mov_b32_e32 v2, v1
	v_mad_u64_u32 v[2:3], s[0:1], v20, s11, v[2:3]
	v_mov_b32_e32 v1, v2
	v_lshlrev_b64 v[0:1], 2, v[0:1]
	v_mov_b32_e32 v2, s3
	v_add_co_u32_e32 v0, vcc, s2, v0
	v_addc_co_u32_e32 v1, vcc, v2, v1, vcc
	global_load_dword v3, v[0:1], off
	v_add_u32_e32 v6, 1, v20
	v_add_u32_e32 v7, 2, v20
	;; [unrolled: 1-line block ×7, first 2 shown]
	v_and_or_b32 v6, v6, 15, v4
	v_and_or_b32 v7, v7, 15, v4
	;; [unrolled: 1-line block ×7, first 2 shown]
	v_lshlrev_b32_e32 v2, 2, v5
	v_lshlrev_b32_e32 v6, 2, v6
	;; [unrolled: 1-line block ×8, first 2 shown]
	ds_read_b32 v2, v2 offset:2048
	ds_read_b32 v6, v6 offset:2048
	;; [unrolled: 1-line block ×8, first 2 shown]
	s_waitcnt lgkmcnt(7)
	v_add_f32_e32 v2, 0, v2
	s_waitcnt lgkmcnt(6)
	v_add_f32_e32 v2, v2, v6
	;; [unrolled: 2-line block ×8, first 2 shown]
	v_add_u32_e32 v6, 9, v20
	v_add_u32_e32 v7, 10, v20
	;; [unrolled: 1-line block ×6, first 2 shown]
	v_add_u32_e32 v12, -1, v20
	v_xor_b32_e32 v5, 8, v5
	v_and_or_b32 v6, v6, 15, v4
	v_and_or_b32 v7, v7, 15, v4
	;; [unrolled: 1-line block ×7, first 2 shown]
	v_lshlrev_b32_e32 v5, 2, v5
	v_lshlrev_b32_e32 v6, 2, v6
	;; [unrolled: 1-line block ×8, first 2 shown]
	ds_read_b32 v5, v5 offset:2048
	ds_read_b32 v6, v6 offset:2048
	;; [unrolled: 1-line block ×8, first 2 shown]
	s_waitcnt lgkmcnt(7)
	v_add_f32_e32 v2, v2, v5
	s_waitcnt lgkmcnt(6)
	v_add_f32_e32 v2, v2, v6
	;; [unrolled: 2-line block ×8, first 2 shown]
	v_mul_f32_e32 v4, s24, v2
	s_mov_b64 s[0:1], 0
.LBB134_65:                             ; =>This Inner Loop Header: Depth=1
	s_waitcnt vmcnt(0)
	v_add_f32_e32 v2, v3, v4
	global_atomic_cmpswap v2, v[0:1], v[2:3], off glc
	s_waitcnt vmcnt(0)
	v_cmp_eq_u32_e32 vcc, v2, v3
	s_or_b64 s[0:1], vcc, s[0:1]
	v_mov_b32_e32 v3, v2
	s_andn2_b64 exec, exec, s[0:1]
	s_cbranch_execnz .LBB134_65
.LBB134_66:
	s_endpgm
	.section	.rodata,"a",@progbits
	.p2align	6, 0x0
	.amdhsa_kernel _ZL62rocblas_symv_kernel_upper_double_buffered_non_diagonal_genericILi32ELi8ELi2ELi1E24rocblas_internal_val_ptrIfEPKPKfPKPfEvbiT3_lT4_lllSA_lllT5_lllii
		.amdhsa_group_segment_fixed_size 4224
		.amdhsa_private_segment_fixed_size 0
		.amdhsa_kernarg_size 384
		.amdhsa_user_sgpr_count 6
		.amdhsa_user_sgpr_private_segment_buffer 1
		.amdhsa_user_sgpr_dispatch_ptr 0
		.amdhsa_user_sgpr_queue_ptr 0
		.amdhsa_user_sgpr_kernarg_segment_ptr 1
		.amdhsa_user_sgpr_dispatch_id 0
		.amdhsa_user_sgpr_flat_scratch_init 0
		.amdhsa_user_sgpr_kernarg_preload_length 0
		.amdhsa_user_sgpr_kernarg_preload_offset 0
		.amdhsa_user_sgpr_private_segment_size 0
		.amdhsa_uses_dynamic_stack 0
		.amdhsa_system_sgpr_private_segment_wavefront_offset 0
		.amdhsa_system_sgpr_workgroup_id_x 1
		.amdhsa_system_sgpr_workgroup_id_y 1
		.amdhsa_system_sgpr_workgroup_id_z 1
		.amdhsa_system_sgpr_workgroup_info 0
		.amdhsa_system_vgpr_workitem_id 1
		.amdhsa_next_free_vgpr 39
		.amdhsa_next_free_sgpr 36
		.amdhsa_accum_offset 40
		.amdhsa_reserve_vcc 1
		.amdhsa_reserve_flat_scratch 0
		.amdhsa_float_round_mode_32 0
		.amdhsa_float_round_mode_16_64 0
		.amdhsa_float_denorm_mode_32 3
		.amdhsa_float_denorm_mode_16_64 3
		.amdhsa_dx10_clamp 1
		.amdhsa_ieee_mode 1
		.amdhsa_fp16_overflow 0
		.amdhsa_tg_split 0
		.amdhsa_exception_fp_ieee_invalid_op 0
		.amdhsa_exception_fp_denorm_src 0
		.amdhsa_exception_fp_ieee_div_zero 0
		.amdhsa_exception_fp_ieee_overflow 0
		.amdhsa_exception_fp_ieee_underflow 0
		.amdhsa_exception_fp_ieee_inexact 0
		.amdhsa_exception_int_div_zero 0
	.end_amdhsa_kernel
	.section	.text._ZL62rocblas_symv_kernel_upper_double_buffered_non_diagonal_genericILi32ELi8ELi2ELi1E24rocblas_internal_val_ptrIfEPKPKfPKPfEvbiT3_lT4_lllSA_lllT5_lllii,"axG",@progbits,_ZL62rocblas_symv_kernel_upper_double_buffered_non_diagonal_genericILi32ELi8ELi2ELi1E24rocblas_internal_val_ptrIfEPKPKfPKPfEvbiT3_lT4_lllSA_lllT5_lllii,comdat
.Lfunc_end134:
	.size	_ZL62rocblas_symv_kernel_upper_double_buffered_non_diagonal_genericILi32ELi8ELi2ELi1E24rocblas_internal_val_ptrIfEPKPKfPKPfEvbiT3_lT4_lllSA_lllT5_lllii, .Lfunc_end134-_ZL62rocblas_symv_kernel_upper_double_buffered_non_diagonal_genericILi32ELi8ELi2ELi1E24rocblas_internal_val_ptrIfEPKPKfPKPfEvbiT3_lT4_lllSA_lllT5_lllii
                                        ; -- End function
	.section	.AMDGPU.csdata,"",@progbits
; Kernel info:
; codeLenInByte = 2940
; NumSgprs: 40
; NumVgprs: 39
; NumAgprs: 0
; TotalNumVgprs: 39
; ScratchSize: 0
; MemoryBound: 0
; FloatMode: 240
; IeeeMode: 1
; LDSByteSize: 4224 bytes/workgroup (compile time only)
; SGPRBlocks: 4
; VGPRBlocks: 4
; NumSGPRsForWavesPerEU: 40
; NumVGPRsForWavesPerEU: 39
; AccumOffset: 40
; Occupancy: 8
; WaveLimiterHint : 1
; COMPUTE_PGM_RSRC2:SCRATCH_EN: 0
; COMPUTE_PGM_RSRC2:USER_SGPR: 6
; COMPUTE_PGM_RSRC2:TRAP_HANDLER: 0
; COMPUTE_PGM_RSRC2:TGID_X_EN: 1
; COMPUTE_PGM_RSRC2:TGID_Y_EN: 1
; COMPUTE_PGM_RSRC2:TGID_Z_EN: 1
; COMPUTE_PGM_RSRC2:TIDIG_COMP_CNT: 1
; COMPUTE_PGM_RSRC3_GFX90A:ACCUM_OFFSET: 9
; COMPUTE_PGM_RSRC3_GFX90A:TG_SPLIT: 0
	.section	.text._ZL26rocblas_hemvn_kernel_upperILb0ELi64ELi4ELi33ELi32ELi16ElPKfPKS1_PfEviT6_lT7_lT5_lS6_lS7_lS5_lT8_i,"axG",@progbits,_ZL26rocblas_hemvn_kernel_upperILb0ELi64ELi4ELi33ELi32ELi16ElPKfPKS1_PfEviT6_lT7_lT5_lS6_lS7_lS5_lT8_i,comdat
	.globl	_ZL26rocblas_hemvn_kernel_upperILb0ELi64ELi4ELi33ELi32ELi16ElPKfPKS1_PfEviT6_lT7_lT5_lS6_lS7_lS5_lT8_i ; -- Begin function _ZL26rocblas_hemvn_kernel_upperILb0ELi64ELi4ELi33ELi32ELi16ElPKfPKS1_PfEviT6_lT7_lT5_lS6_lS7_lS5_lT8_i
	.p2align	8
	.type	_ZL26rocblas_hemvn_kernel_upperILb0ELi64ELi4ELi33ELi32ELi16ElPKfPKS1_PfEviT6_lT7_lT5_lS6_lS7_lS5_lT8_i,@function
_ZL26rocblas_hemvn_kernel_upperILb0ELi64ELi4ELi33ELi32ELi16ElPKfPKS1_PfEviT6_lT7_lT5_lS6_lS7_lS5_lT8_i: ; @_ZL26rocblas_hemvn_kernel_upperILb0ELi64ELi4ELi33ELi32ELi16ElPKfPKS1_PfEviT6_lT7_lT5_lS6_lS7_lS5_lT8_i
; %bb.0:
	s_load_dwordx2 s[0:1], s[4:5], 0x84
	s_add_u32 s18, s4, 0x78
	s_addc_u32 s19, s5, 0
	s_waitcnt lgkmcnt(0)
	s_lshr_b32 s2, s0, 16
	s_and_b32 s0, s0, 0xffff
	s_and_b32 s1, s1, 0xffff
	s_mul_i32 s0, s2, s0
	s_mul_i32 s0, s0, s1
	s_cmpk_lg_i32 s0, 0x100
	s_cbranch_scc1 .LBB135_130
; %bb.1:
	s_load_dwordx8 s[8:15], s[4:5], 0x8
	s_load_dwordx4 s[20:23], s[4:5], 0x58
	s_mov_b32 s26, s7
	s_waitcnt lgkmcnt(0)
	s_mul_i32 s1, s7, s11
	s_mul_hi_u32 s2, s7, s10
	s_mul_i32 s0, s7, s10
	s_add_i32 s1, s2, s1
	s_lshl_b64 s[0:1], s[0:1], 2
	s_add_u32 s0, s8, s0
	s_addc_u32 s1, s9, s1
	s_mul_i32 s3, s7, s23
	s_load_dword s2, s[0:1], 0x0
	s_mul_hi_u32 s0, s7, s22
	s_add_i32 s1, s0, s3
	s_mul_i32 s0, s7, s22
	s_lshl_b64 s[0:1], s[0:1], 2
	s_add_u32 s0, s20, s0
	s_addc_u32 s1, s21, s1
	s_load_dword s3, s[0:1], 0x0
	s_waitcnt lgkmcnt(0)
	v_cmp_eq_f32_e64 s[0:1], s2, 0
	v_cmp_eq_f32_e64 s[8:9], s3, 1.0
	s_and_b64 s[8:9], s[0:1], s[8:9]
	s_and_b64 vcc, exec, s[8:9]
	s_cbranch_vccnz .LBB135_130
; %bb.2:
	s_load_dwordx2 s[22:23], s[4:5], 0x28
	s_mov_b32 s27, 0
	v_cmp_neq_f32_e64 s[24:25], s2, 0
	s_mov_b64 s[20:21], 0
	s_and_b64 vcc, exec, s[0:1]
	s_mov_b64 s[2:3], 0
	s_cbranch_vccnz .LBB135_4
; %bb.3:
	s_lshl_b64 s[0:1], s[26:27], 3
	s_add_u32 s0, s12, s0
	s_addc_u32 s1, s13, s1
	s_load_dwordx2 s[0:1], s[0:1], 0x0
	s_lshl_b64 s[2:3], s[14:15], 2
	s_waitcnt lgkmcnt(0)
	s_add_u32 s2, s0, s2
	s_addc_u32 s3, s1, s3
.LBB135_4:
	s_load_dwordx4 s[8:11], s[4:5], 0x38
	s_load_dwordx2 s[16:17], s[4:5], 0x48
	v_cndmask_b32_e64 v1, 0, 1, s[24:25]
	v_cmp_ne_u32_e64 s[0:1], 1, v1
	s_andn2_b64 vcc, exec, s[24:25]
	s_cbranch_vccnz .LBB135_6
; %bb.5:
	s_lshl_b64 s[12:13], s[26:27], 3
	s_waitcnt lgkmcnt(0)
	s_add_u32 s8, s8, s12
	s_addc_u32 s9, s9, s13
	s_load_dwordx2 s[8:9], s[8:9], 0x0
	s_lshl_b64 s[10:11], s[10:11], 2
	s_waitcnt lgkmcnt(0)
	s_add_u32 s20, s8, s10
	s_addc_u32 s21, s9, s11
.LBB135_6:
	s_and_b64 vcc, exec, s[0:1]
	s_cbranch_vccnz .LBB135_130
; %bb.7:
	s_load_dword s7, s[18:19], 0x0
	s_load_dwordx2 s[28:29], s[4:5], 0x68
	s_load_dword s33, s[4:5], 0x0
	v_and_b32_e32 v50, 0x3ff, v0
	s_lshl_b32 s24, s6, 6
	v_add_u32_e32 v4, s24, v50
	s_waitcnt lgkmcnt(0)
	s_add_i32 s0, s7, -1
	s_ashr_i32 s40, s33, 31
	s_lshr_b32 s1, s40, 26
	s_add_i32 s1, s33, s1
	s_andn2_b32 s1, s1, 63
	s_sub_i32 s27, s33, s1
	v_ashrrev_i32_e32 v5, 31, v4
	v_bfe_u32 v51, v0, 10, 10
	s_cmp_eq_u32 s6, s0
	v_mul_lo_u32 v2, v5, s16
	v_mul_lo_u32 v3, v4, s17
	v_mad_u64_u32 v[0:1], s[0:1], v4, s16, 0
	v_add3_u32 v1, v1, v3, v2
	v_lshlrev_b64 v[0:1], 2, v[0:1]
	v_mov_b32_e32 v2, s21
	v_add_co_u32_e32 v8, vcc, s20, v0
	s_cselect_b32 s18, s27, 0
	v_addc_co_u32_e32 v9, vcc, v2, v1, vcc
	v_cmp_eq_u32_e64 s[0:1], 0, v51
	s_and_saveexec_b64 s[4:5], s[0:1]
	s_cbranch_execz .LBB135_11
; %bb.8:
	s_cmp_eq_u32 s18, 0
	s_cselect_b64 s[8:9], -1, 0
	v_cmp_gt_i32_e32 vcc, s18, v50
	s_or_b64 s[10:11], s[8:9], vcc
	v_mov_b32_e32 v0, 0
	s_and_saveexec_b64 s[8:9], s[10:11]
	s_cbranch_execz .LBB135_10
; %bb.9:
	flat_load_dword v0, v[8:9]
.LBB135_10:
	s_or_b64 exec, exec, s[8:9]
	v_lshlrev_b32_e32 v1, 2, v50
	s_waitcnt vmcnt(0) lgkmcnt(0)
	ds_write_b32 v1, v0 offset:4544
.LBB135_11:
	s_or_b64 exec, exec, s[4:5]
	s_ashr_i32 s25, s24, 31
	v_lshl_add_u32 v36, v51, 6, v50
	s_lshl_b64 s[4:5], s[24:25], 2
	v_and_b32_e32 v0, 31, v50
	v_lshrrev_b32_e32 v14, 5, v36
	s_add_u32 s4, s2, s4
	v_mov_b32_e32 v1, 0
	s_addc_u32 s5, s3, s5
	v_mad_u64_u32 v[2:3], s[2:3], v14, s22, v[0:1]
	v_mov_b32_e32 v6, v3
	v_mad_u64_u32 v[6:7], s[2:3], v14, s23, v[6:7]
	s_mul_i32 s2, s24, s23
	s_mul_hi_u32 s3, s24, s22
	s_add_i32 s2, s3, s2
	s_mul_i32 s3, s25, s22
	s_add_i32 s3, s2, s3
	s_mul_i32 s2, s24, s22
	s_lshl_b64 s[2:3], s[2:3], 2
	s_add_u32 s2, s2, s4
	v_mov_b32_e32 v3, v6
	s_addc_u32 s3, s3, s5
	v_lshlrev_b64 v[6:7], 2, v[2:3]
	s_cmp_eq_u32 s18, 0
	v_mov_b32_e32 v3, s3
	v_add_co_u32_e32 v2, vcc, s2, v6
	s_cselect_b64 s[20:21], -1, 0
	s_cmp_lg_u32 s18, 0
	v_addc_co_u32_e32 v3, vcc, v3, v7, vcc
	s_cselect_b64 s[34:35], -1, 0
	s_and_b64 vcc, exec, s[34:35]
	v_cmp_gt_i32_e64 s[2:3], s18, v0
	v_lshlrev_b32_e32 v15, 2, v0
	s_mul_i32 s41, s23, 0x60
	s_cbranch_vccz .LBB135_21
; %bb.12:
	v_sub_co_u32_e32 v10, vcc, v2, v15
	s_ashr_i32 s19, s18, 31
	v_subbrev_co_u32_e32 v11, vcc, 0, v3, vcc
	s_lshl_b64 s[4:5], s[18:19], 2
	v_mov_b32_e32 v12, s5
	v_add_co_u32_e32 v10, vcc, s4, v10
	v_addc_co_u32_e32 v11, vcc, v11, v12, vcc
	v_add_co_u32_e32 v10, vcc, -4, v10
	v_addc_co_u32_e32 v11, vcc, -1, v11, vcc
	v_cndmask_b32_e64 v11, v11, v3, s[2:3]
	v_cndmask_b32_e64 v10, v10, v2, s[2:3]
	v_cmp_gt_i32_e32 vcc, s18, v14
	s_and_saveexec_b64 s[8:9], vcc
	s_cbranch_execz .LBB135_14
; %bb.13:
	flat_load_dword v1, v[10:11]
.LBB135_14:
	s_or_b64 exec, exec, s[8:9]
	v_mul_u32_u24_e32 v12, 33, v14
	v_add_lshl_u32 v12, v12, v0, 2
	s_waitcnt vmcnt(0) lgkmcnt(0)
	ds_write_b32 v12, v1
	v_add_u32_e32 v1, 8, v14
	v_cmp_gt_i32_e32 vcc, s18, v1
	v_mov_b32_e32 v1, 0
	v_mov_b32_e32 v13, 0
	s_and_saveexec_b64 s[8:9], vcc
	s_cbranch_execz .LBB135_16
; %bb.15:
	s_lshl_b64 s[10:11], s[22:23], 5
	v_mov_b32_e32 v13, s11
	v_add_co_u32_e32 v16, vcc, s10, v10
	v_addc_co_u32_e32 v17, vcc, v11, v13, vcc
	flat_load_dword v13, v[16:17]
.LBB135_16:
	s_or_b64 exec, exec, s[8:9]
	s_waitcnt vmcnt(0) lgkmcnt(0)
	ds_write_b32 v12, v13 offset:1056
	v_add_u32_e32 v13, 16, v14
	v_cmp_gt_i32_e32 vcc, s18, v13
	s_and_saveexec_b64 s[8:9], vcc
	s_cbranch_execz .LBB135_18
; %bb.17:
	s_lshl_b64 s[10:11], s[22:23], 6
	v_mov_b32_e32 v1, s11
	v_add_co_u32_e32 v16, vcc, s10, v10
	v_addc_co_u32_e32 v17, vcc, v11, v1, vcc
	flat_load_dword v1, v[16:17]
.LBB135_18:
	s_or_b64 exec, exec, s[8:9]
	s_waitcnt vmcnt(0) lgkmcnt(0)
	ds_write_b32 v12, v1 offset:2112
	v_add_u32_e32 v1, 24, v14
	v_cmp_gt_i32_e32 vcc, s18, v1
	v_mov_b32_e32 v1, 0
	s_and_saveexec_b64 s[8:9], vcc
	s_cbranch_execz .LBB135_20
; %bb.19:
	v_mov_b32_e32 v1, 0x60
	v_mad_u64_u32 v[16:17], s[10:11], s22, v1, v[10:11]
	v_add_u32_e32 v17, s41, v17
	flat_load_dword v1, v[16:17]
.LBB135_20:
	s_or_b64 exec, exec, s[8:9]
	s_waitcnt vmcnt(0) lgkmcnt(0)
	ds_write_b32 v12, v1 offset:3168
	v_add_co_u32_e32 v1, vcc, v10, v15
	v_addc_co_u32_e32 v10, vcc, 0, v11, vcc
	v_mov_b32_e32 v11, s5
	v_subrev_co_u32_e32 v1, vcc, s4, v1
	v_subb_co_u32_e32 v10, vcc, v10, v11, vcc
	v_add_co_u32_e32 v1, vcc, 4, v1
	v_addc_co_u32_e32 v10, vcc, 0, v10, vcc
	v_cndmask_b32_e64 v11, v10, v3, s[2:3]
	v_cndmask_b32_e64 v10, v1, v2, s[2:3]
	v_mul_u32_u24_e32 v18, 33, v14
	s_branch .LBB135_23
.LBB135_21:
                                        ; implicit-def: $vgpr10_vgpr11
	v_mul_u32_u24_e32 v18, 33, v14
	s_cbranch_execz .LBB135_23
; %bb.22:
	flat_load_dword v1, v[2:3]
	s_lshl_b64 s[2:3], s[22:23], 5
	v_add_lshl_u32 v12, v18, v0, 2
	v_mov_b32_e32 v13, s3
	v_add_co_u32_e32 v10, vcc, s2, v2
	v_addc_co_u32_e32 v11, vcc, v3, v13, vcc
	s_waitcnt vmcnt(0) lgkmcnt(0)
	ds_write_b32 v12, v1
	flat_load_dword v1, v[10:11]
	v_add_co_u32_e32 v10, vcc, s2, v10
	v_addc_co_u32_e32 v11, vcc, v11, v13, vcc
	s_waitcnt vmcnt(0) lgkmcnt(0)
	ds_write_b32 v12, v1 offset:1056
	flat_load_dword v1, v[10:11]
	v_mov_b32_e32 v10, 0x60
	v_mad_u64_u32 v[10:11], s[2:3], s22, v10, v[2:3]
	v_add_u32_e32 v11, s41, v11
	s_waitcnt vmcnt(0) lgkmcnt(0)
	ds_write_b32 v12, v1 offset:2112
	flat_load_dword v1, v[10:11]
	v_pk_mov_b32 v[10:11], v[2:3], v[2:3] op_sel:[0,1]
	s_waitcnt vmcnt(0) lgkmcnt(0)
	ds_write_b32 v12, v1 offset:3168
.LBB135_23:
	v_lshlrev_b32_e32 v1, 2, v14
	v_mul_u32_u24_e32 v16, 33, v0
	v_cmp_gt_u32_e64 s[4:5], v1, v0
	v_add_lshl_u32 v23, v1, v16, 2
	s_waitcnt lgkmcnt(0)
	s_barrier
	s_and_saveexec_b64 s[2:3], s[4:5]
	s_cbranch_execz .LBB135_25
; %bb.24:
	v_mul_u32_u24_e32 v2, 0x84, v14
	v_add_lshl_u32 v2, v2, v0, 2
	ds_read_b32 v2, v2
	s_waitcnt lgkmcnt(0)
	ds_write_b32 v23, v2
.LBB135_25:
	s_or_b64 exec, exec, s[2:3]
	v_cmp_ge_u32_e64 s[14:15], v1, v0
	s_and_saveexec_b64 s[2:3], s[14:15]
	s_cbranch_execz .LBB135_27
; %bb.26:
	v_or_b32_e32 v2, 1, v1
	v_mul_u32_u24_e32 v2, 33, v2
	v_add_lshl_u32 v2, v2, v0, 2
	ds_read_b32 v2, v2
	s_waitcnt lgkmcnt(0)
	ds_write_b32 v23, v2 offset:4
.LBB135_27:
	s_or_b64 exec, exec, s[2:3]
	v_or_b32_e32 v2, 2, v1
	v_cmp_gt_u32_e64 s[8:9], v2, v0
	s_and_saveexec_b64 s[2:3], s[8:9]
	s_cbranch_execz .LBB135_29
; %bb.28:
	v_mul_u32_u24_e32 v2, 33, v2
	v_add_lshl_u32 v2, v2, v0, 2
	ds_read_b32 v2, v2
	s_waitcnt lgkmcnt(0)
	ds_write_b32 v23, v2 offset:8
.LBB135_29:
	s_or_b64 exec, exec, s[2:3]
	v_or_b32_e32 v2, 3, v1
	v_cmp_gt_u32_e64 s[10:11], v2, v0
	v_mad_u32_u24 v2, v2, 33, v0
	v_lshlrev_b32_e32 v20, 2, v2
	s_and_saveexec_b64 s[2:3], s[10:11]
	s_cbranch_execz .LBB135_31
; %bb.30:
	ds_read_b32 v2, v20
	s_waitcnt lgkmcnt(0)
	ds_write_b32 v23, v2 offset:12
.LBB135_31:
	s_or_b64 exec, exec, s[2:3]
	v_mul_u32_u24_e32 v2, 0x84, v14
	v_add_u32_e32 v22, 0xfffffef8, v20
	s_waitcnt lgkmcnt(0)
	s_barrier
	v_add_lshl_u32 v21, v2, v0, 2
	v_lshlrev_b32_e32 v24, 2, v1
	ds_read2_b32 v[2:3], v22 offset1:33
	ds_read_b32 v12, v21
	ds_read_b128 v[26:29], v24 offset:4544
	ds_read_b32 v31, v20
	v_add_lshl_u32 v19, v14, v16, 2
	s_waitcnt lgkmcnt(3)
	v_mov_b32_e32 v13, v2
	v_mov_b32_e32 v30, v3
	s_waitcnt lgkmcnt(1)
	v_pk_mul_f32 v[12:13], v[12:13], v[26:27]
	v_add_f32_e32 v2, 0, v12
	v_add_f32_e32 v12, v2, v13
	s_waitcnt lgkmcnt(0)
	v_pk_mul_f32 v[2:3], v[30:31], v[28:29]
	v_add_f32_e32 v2, v12, v2
	v_add_f32_e32 v2, v2, v3
	v_cmp_gt_u32_e64 s[2:3], 32, v36
	v_mov_b32_e32 v52, 0
	v_lshlrev_b32_e32 v17, 2, v16
	s_barrier
	ds_write_b32 v19, v2
	s_waitcnt lgkmcnt(0)
	s_barrier
	s_and_saveexec_b64 s[12:13], s[2:3]
	s_cbranch_execz .LBB135_33
; %bb.32:
	ds_read2_b32 v[2:3], v17 offset1:1
	ds_read2_b32 v[12:13], v17 offset0:2 offset1:3
	ds_read2_b32 v[26:27], v17 offset0:4 offset1:5
	;; [unrolled: 1-line block ×3, first 2 shown]
	s_waitcnt lgkmcnt(3)
	v_add_f32_e32 v2, v2, v3
	s_waitcnt lgkmcnt(2)
	v_add_f32_e32 v2, v2, v12
	v_add_f32_e32 v2, v2, v13
	s_waitcnt lgkmcnt(1)
	v_add_f32_e32 v2, v2, v26
	;; [unrolled: 3-line block ×3, first 2 shown]
	v_add_f32_e32 v52, v2, v29
.LBB135_33:
	s_or_b64 exec, exec, s[12:13]
	s_lshl_b64 s[12:13], s[22:23], 7
	v_mov_b32_e32 v2, s13
	v_add_co_u32_e32 v10, vcc, s12, v10
	v_addc_co_u32_e32 v11, vcc, v11, v2, vcc
	v_add_co_u32_e32 v2, vcc, 0x80, v10
	v_addc_co_u32_e32 v3, vcc, 0, v11, vcc
	s_lshl_b64 s[30:31], s[22:23], 5
	s_and_b64 vcc, exec, s[34:35]
	s_barrier
	s_cbranch_vccz .LBB135_43
; %bb.34:
	v_or_b32_e32 v12, 32, v0
	v_lshlrev_b32_e32 v13, 2, v12
	v_sub_co_u32_e32 v13, vcc, v2, v13
	s_ashr_i32 s19, s18, 31
	v_subbrev_co_u32_e32 v25, vcc, 0, v3, vcc
	s_lshl_b64 s[36:37], s[18:19], 2
	v_mov_b32_e32 v27, s37
	v_add_co_u32_e32 v13, vcc, s36, v13
	v_addc_co_u32_e32 v25, vcc, v25, v27, vcc
	v_add_co_u32_e32 v27, vcc, -4, v13
	v_addc_co_u32_e32 v13, vcc, -1, v25, vcc
	v_cmp_gt_i32_e64 s[12:13], s18, v12
	s_sub_i32 s19, s18, 32
	v_mov_b32_e32 v26, 0
	v_cndmask_b32_e64 v13, v13, v3, s[12:13]
	v_cndmask_b32_e64 v12, v27, v2, s[12:13]
	v_cmp_gt_i32_e32 vcc, s19, v14
	v_mov_b32_e32 v27, 0
	s_and_saveexec_b64 s[38:39], vcc
	s_cbranch_execz .LBB135_36
; %bb.35:
	flat_load_dword v27, v[12:13]
.LBB135_36:
	s_or_b64 exec, exec, s[38:39]
	v_add_lshl_u32 v25, v18, v0, 2
	s_waitcnt vmcnt(0) lgkmcnt(0)
	ds_write_b32 v25, v27
	v_add_u32_e32 v27, 8, v14
	v_cmp_gt_i32_e32 vcc, s19, v27
	s_and_saveexec_b64 s[38:39], vcc
	s_cbranch_execz .LBB135_38
; %bb.37:
	v_mov_b32_e32 v27, s31
	v_add_co_u32_e32 v26, vcc, s30, v12
	v_addc_co_u32_e32 v27, vcc, v13, v27, vcc
	flat_load_dword v26, v[26:27]
.LBB135_38:
	s_or_b64 exec, exec, s[38:39]
	s_waitcnt vmcnt(0) lgkmcnt(0)
	ds_write_b32 v25, v26 offset:1056
	v_add_u32_e32 v26, 16, v14
	v_cmp_gt_i32_e32 vcc, s19, v26
	v_mov_b32_e32 v26, 0
	v_mov_b32_e32 v27, 0
	s_and_saveexec_b64 s[38:39], vcc
	s_cbranch_execz .LBB135_40
; %bb.39:
	s_lshl_b64 s[42:43], s[22:23], 6
	v_mov_b32_e32 v27, s43
	v_add_co_u32_e32 v28, vcc, s42, v12
	v_addc_co_u32_e32 v29, vcc, v13, v27, vcc
	flat_load_dword v27, v[28:29]
.LBB135_40:
	s_or_b64 exec, exec, s[38:39]
	s_waitcnt vmcnt(0) lgkmcnt(0)
	ds_write_b32 v25, v27 offset:2112
	v_add_u32_e32 v27, 24, v14
	v_cmp_gt_i32_e32 vcc, s19, v27
	s_and_saveexec_b64 s[38:39], vcc
	s_cbranch_execz .LBB135_42
; %bb.41:
	v_mov_b32_e32 v26, 0x60
	v_mad_u64_u32 v[26:27], s[42:43], s22, v26, v[12:13]
	v_add_u32_e32 v27, s41, v27
	flat_load_dword v26, v[26:27]
.LBB135_42:
	s_or_b64 exec, exec, s[38:39]
	v_add_co_u32_e32 v12, vcc, v12, v15
	v_addc_co_u32_e32 v13, vcc, 0, v13, vcc
	s_waitcnt vmcnt(0) lgkmcnt(0)
	ds_write_b32 v25, v26 offset:3168
	v_mov_b32_e32 v25, s37
	v_subrev_co_u32_e32 v12, vcc, s36, v12
	v_subb_co_u32_e32 v13, vcc, v13, v25, vcc
	v_add_co_u32_e32 v12, vcc, 0x84, v12
	v_addc_co_u32_e32 v13, vcc, 0, v13, vcc
	v_cndmask_b32_e64 v13, v13, v3, s[12:13]
	v_cndmask_b32_e64 v12, v12, v2, s[12:13]
	s_branch .LBB135_45
.LBB135_43:
                                        ; implicit-def: $vgpr12_vgpr13
	s_cbranch_execz .LBB135_45
; %bb.44:
	flat_load_dword v25, v[10:11] offset:128
	v_add_lshl_u32 v26, v18, v0, 2
	v_mov_b32_e32 v27, s31
	v_add_co_u32_e32 v12, vcc, s30, v10
	v_addc_co_u32_e32 v13, vcc, v11, v27, vcc
	s_waitcnt vmcnt(0) lgkmcnt(0)
	ds_write_b32 v26, v25
	flat_load_dword v25, v[12:13] offset:128
	v_add_co_u32_e32 v12, vcc, s30, v12
	v_addc_co_u32_e32 v13, vcc, v13, v27, vcc
	s_waitcnt vmcnt(0) lgkmcnt(0)
	ds_write_b32 v26, v25 offset:1056
	flat_load_dword v12, v[12:13] offset:128
	v_mov_b32_e32 v13, 0x60
	v_mad_u64_u32 v[10:11], s[12:13], s22, v13, v[10:11]
	v_add_u32_e32 v11, s41, v11
	s_waitcnt vmcnt(0) lgkmcnt(0)
	ds_write_b32 v26, v12 offset:2112
	flat_load_dword v10, v[10:11] offset:128
	v_pk_mov_b32 v[12:13], v[2:3], v[2:3] op_sel:[0,1]
	s_waitcnt vmcnt(0) lgkmcnt(0)
	ds_write_b32 v26, v10 offset:3168
.LBB135_45:
	s_waitcnt lgkmcnt(0)
	s_barrier
	s_and_saveexec_b64 s[12:13], s[4:5]
	s_cbranch_execnz .LBB135_62
; %bb.46:
	s_or_b64 exec, exec, s[12:13]
	s_and_saveexec_b64 s[4:5], s[14:15]
	s_cbranch_execnz .LBB135_63
.LBB135_47:
	s_or_b64 exec, exec, s[4:5]
	s_and_saveexec_b64 s[4:5], s[8:9]
	s_cbranch_execnz .LBB135_64
.LBB135_48:
	s_or_b64 exec, exec, s[4:5]
	v_add_u32_e32 v24, 0x11c0, v24
	s_and_saveexec_b64 s[4:5], s[10:11]
	s_cbranch_execz .LBB135_50
.LBB135_49:
	ds_read_b32 v2, v20
	s_waitcnt lgkmcnt(0)
	ds_write_b32 v23, v2 offset:12
.LBB135_50:
	s_or_b64 exec, exec, s[4:5]
	s_waitcnt lgkmcnt(0)
	s_barrier
	ds_read_b32 v10, v21
	ds_read_b128 v[26:29], v24 offset:128
	ds_read2_b32 v[2:3], v22 offset1:33
	ds_read_b32 v11, v20
	v_cmp_eq_u32_e64 s[4:5], 1, v14
	s_waitcnt lgkmcnt(0)
	v_fma_f32 v10, v10, v26, 0
	v_fmac_f32_e32 v10, v2, v27
	v_fmac_f32_e32 v10, v3, v28
	;; [unrolled: 1-line block ×3, first 2 shown]
	s_barrier
	ds_write_b32 v19, v10
	s_waitcnt lgkmcnt(0)
	s_barrier
	s_and_saveexec_b64 s[8:9], s[4:5]
	s_cbranch_execz .LBB135_52
; %bb.51:
	ds_read2_b32 v[2:3], v17 offset1:1
	ds_read2_b32 v[10:11], v17 offset0:2 offset1:3
	ds_read2_b32 v[26:27], v17 offset0:4 offset1:5
	;; [unrolled: 1-line block ×3, first 2 shown]
	s_waitcnt lgkmcnt(3)
	v_add_f32_e32 v2, v2, v3
	s_waitcnt lgkmcnt(2)
	v_add_f32_e32 v2, v2, v10
	v_add_f32_e32 v2, v2, v11
	s_waitcnt lgkmcnt(1)
	v_add_f32_e32 v2, v2, v26
	;; [unrolled: 3-line block ×3, first 2 shown]
	v_add_f32_e32 v52, v2, v29
.LBB135_52:
	s_or_b64 exec, exec, s[8:9]
	v_add_co_u32_e32 v2, vcc, 0xffffff80, v12
	v_addc_co_u32_e32 v3, vcc, -1, v13, vcc
	s_and_b64 vcc, exec, s[34:35]
	s_barrier
	s_cbranch_vccz .LBB135_65
; %bb.53:
	v_sub_co_u32_e32 v10, vcc, v2, v15
	s_ashr_i32 s19, s18, 31
	v_subbrev_co_u32_e32 v11, vcc, 0, v3, vcc
	s_lshl_b64 s[10:11], s[18:19], 2
	v_mov_b32_e32 v12, s11
	v_add_co_u32_e32 v10, vcc, s10, v10
	v_addc_co_u32_e32 v11, vcc, v11, v12, vcc
	v_add_co_u32_e32 v10, vcc, -4, v10
	v_addc_co_u32_e32 v11, vcc, -1, v11, vcc
	v_cmp_gt_i32_e32 vcc, s18, v0
	s_sub_i32 s14, s18, 32
	v_mov_b32_e32 v13, 0
	v_cndmask_b32_e32 v11, v11, v3, vcc
	v_cndmask_b32_e32 v10, v10, v2, vcc
	v_cmp_gt_i32_e64 s[8:9], s14, v14
	v_mov_b32_e32 v12, 0
	s_and_saveexec_b64 s[12:13], s[8:9]
	s_cbranch_execz .LBB135_55
; %bb.54:
	flat_load_dword v12, v[10:11]
.LBB135_55:
	s_or_b64 exec, exec, s[12:13]
	v_add_lshl_u32 v25, v18, v0, 2
	s_waitcnt vmcnt(0) lgkmcnt(0)
	ds_write_b32 v25, v12
	v_add_u32_e32 v12, 8, v14
	v_cmp_gt_i32_e64 s[8:9], s14, v12
	s_and_saveexec_b64 s[12:13], s[8:9]
	s_cbranch_execz .LBB135_57
; %bb.56:
	v_mov_b32_e32 v13, s31
	v_add_co_u32_e64 v26, s[8:9], s30, v10
	v_addc_co_u32_e64 v27, s[8:9], v11, v13, s[8:9]
	flat_load_dword v13, v[26:27]
.LBB135_57:
	s_or_b64 exec, exec, s[12:13]
	s_waitcnt vmcnt(0) lgkmcnt(0)
	ds_write_b32 v25, v13 offset:1056
	v_add_u32_e32 v13, 16, v14
	v_cmp_gt_i32_e64 s[8:9], s14, v13
	v_mov_b32_e32 v26, 0
	v_mov_b32_e32 v23, 0
	s_and_saveexec_b64 s[12:13], s[8:9]
	s_cbranch_execz .LBB135_59
; %bb.58:
	s_lshl_b64 s[8:9], s[22:23], 6
	v_mov_b32_e32 v23, s9
	v_add_co_u32_e64 v28, s[8:9], s8, v10
	v_addc_co_u32_e64 v29, s[8:9], v11, v23, s[8:9]
	flat_load_dword v23, v[28:29]
.LBB135_59:
	s_or_b64 exec, exec, s[12:13]
	s_waitcnt vmcnt(0) lgkmcnt(0)
	ds_write_b32 v25, v23 offset:2112
	v_add_u32_e32 v23, 24, v14
	v_cmp_gt_i32_e64 s[8:9], s14, v23
	s_and_saveexec_b64 s[12:13], s[8:9]
	s_cbranch_execz .LBB135_61
; %bb.60:
	v_mov_b32_e32 v26, 0x60
	v_mad_u64_u32 v[26:27], s[8:9], s22, v26, v[10:11]
	v_add_u32_e32 v27, s41, v27
	flat_load_dword v26, v[26:27]
.LBB135_61:
	s_or_b64 exec, exec, s[12:13]
	v_add_co_u32_e64 v10, s[8:9], v10, v15
	v_addc_co_u32_e64 v11, s[8:9], 0, v11, s[8:9]
	v_mov_b32_e32 v15, s11
	v_subrev_co_u32_e64 v10, s[8:9], s10, v10
	v_subb_co_u32_e64 v11, s[8:9], v11, v15, s[8:9]
	v_add_co_u32_e64 v10, s[8:9], 4, v10
	v_addc_co_u32_e64 v11, s[8:9], 0, v11, s[8:9]
	s_waitcnt vmcnt(0) lgkmcnt(0)
	ds_write_b32 v25, v26 offset:3168
	v_cndmask_b32_e32 v35, v11, v3, vcc
	v_cndmask_b32_e32 v34, v10, v2, vcc
	s_branch .LBB135_67
.LBB135_62:
	ds_read_b32 v2, v21
	s_waitcnt lgkmcnt(0)
	ds_write_b32 v23, v2
	s_or_b64 exec, exec, s[12:13]
	s_and_saveexec_b64 s[4:5], s[14:15]
	s_cbranch_execz .LBB135_47
.LBB135_63:
	ds_read_b32 v2, v22
	s_waitcnt lgkmcnt(0)
	ds_write_b32 v23, v2 offset:4
	s_or_b64 exec, exec, s[4:5]
	s_and_saveexec_b64 s[4:5], s[8:9]
	s_cbranch_execz .LBB135_48
.LBB135_64:
	ds_read_b32 v2, v22 offset:132
	s_waitcnt lgkmcnt(0)
	ds_write_b32 v23, v2 offset:8
	s_or_b64 exec, exec, s[4:5]
	v_add_u32_e32 v24, 0x11c0, v24
	s_and_saveexec_b64 s[4:5], s[10:11]
	s_cbranch_execnz .LBB135_49
	s_branch .LBB135_50
.LBB135_65:
                                        ; implicit-def: $vgpr34_vgpr35
                                        ; implicit-def: $vgpr12
                                        ; implicit-def: $vgpr13
                                        ; implicit-def: $vgpr23
	s_cbranch_execz .LBB135_67
; %bb.66:
	flat_load_dword v12, v[2:3]
	v_add_lshl_u32 v0, v18, v0, 2
	v_mov_b32_e32 v13, s31
	v_add_co_u32_e32 v10, vcc, s30, v2
	v_addc_co_u32_e32 v11, vcc, v3, v13, vcc
	v_add_u32_e32 v23, 24, v14
	v_pk_mov_b32 v[34:35], v[2:3], v[2:3] op_sel:[0,1]
	s_waitcnt vmcnt(0) lgkmcnt(0)
	ds_write_b32 v0, v12
	flat_load_dword v12, v[10:11]
	v_add_co_u32_e32 v10, vcc, s30, v10
	v_addc_co_u32_e32 v11, vcc, v11, v13, vcc
	v_add_u32_e32 v13, 16, v14
	s_waitcnt vmcnt(0) lgkmcnt(0)
	ds_write_b32 v0, v12 offset:1056
	flat_load_dword v12, v[10:11]
	v_mov_b32_e32 v10, 0x60
	v_mad_u64_u32 v[10:11], s[8:9], s22, v10, v[2:3]
	v_add_u32_e32 v11, s41, v11
	s_waitcnt vmcnt(0) lgkmcnt(0)
	ds_write_b32 v0, v12 offset:2112
	flat_load_dword v10, v[10:11]
	v_add_u32_e32 v12, 8, v14
	s_waitcnt vmcnt(0) lgkmcnt(0)
	ds_write_b32 v0, v10 offset:3168
.LBB135_67:
	v_add_lshl_u32 v14, v12, v16, 2
	v_lshlrev_b32_e32 v15, 2, v12
	v_add_lshl_u32 v18, v13, v16, 2
	v_lshlrev_b32_e32 v13, 2, v13
	;; [unrolled: 2-line block ×3, first 2 shown]
	s_waitcnt lgkmcnt(0)
	s_barrier
	ds_read_b32 v25, v1 offset:4544
	ds_read_b32 v12, v21
	ds_read_b32 v21, v19
	ds_read_b128 v[0:3], v24 offset:128
	ds_read2_b32 v[10:11], v22 offset1:33
	ds_read_b32 v14, v14
	ds_read_b32 v15, v15 offset:4544
	ds_read_b32 v18, v18
	ds_read_b32 v22, v13 offset:4544
	;; [unrolled: 2-line block ×3, first 2 shown]
	ds_read_b32 v13, v20
	s_waitcnt lgkmcnt(9)
	v_fma_f32 v20, v21, v25, 0
	s_waitcnt lgkmcnt(5)
	v_fmac_f32_e32 v20, v14, v15
	s_waitcnt lgkmcnt(3)
	v_fmac_f32_e32 v20, v18, v22
	;; [unrolled: 2-line block ×3, first 2 shown]
	s_waitcnt lgkmcnt(0)
	s_barrier
	ds_write_b32 v19, v20
	s_waitcnt lgkmcnt(0)
	s_barrier
	s_and_saveexec_b64 s[8:9], s[4:5]
	s_cbranch_execz .LBB135_69
; %bb.68:
	ds_read2_b32 v[14:15], v17 offset1:1
	ds_read2_b32 v[20:21], v17 offset0:2 offset1:3
	ds_read2_b32 v[22:23], v17 offset0:4 offset1:5
	;; [unrolled: 1-line block ×3, first 2 shown]
	s_waitcnt lgkmcnt(3)
	v_add_f32_e32 v14, v52, v14
	v_add_f32_e32 v14, v14, v15
	s_waitcnt lgkmcnt(2)
	v_add_f32_e32 v14, v14, v20
	v_add_f32_e32 v14, v14, v21
	;; [unrolled: 3-line block ×4, first 2 shown]
.LBB135_69:
	s_or_b64 exec, exec, s[8:9]
	v_fma_f32 v0, v12, v0, 0
	v_fmac_f32_e32 v0, v10, v1
	v_fmac_f32_e32 v0, v11, v2
	;; [unrolled: 1-line block ×3, first 2 shown]
	s_barrier
	ds_write_b32 v19, v0
	s_waitcnt lgkmcnt(0)
	s_barrier
	s_and_saveexec_b64 s[4:5], s[2:3]
	s_cbranch_execz .LBB135_71
; %bb.70:
	ds_read2_b32 v[0:1], v17 offset1:1
	ds_read2_b32 v[2:3], v17 offset0:2 offset1:3
	ds_read2_b32 v[10:11], v17 offset0:4 offset1:5
	;; [unrolled: 1-line block ×3, first 2 shown]
	s_waitcnt lgkmcnt(3)
	v_add_f32_e32 v0, v52, v0
	v_add_f32_e32 v0, v0, v1
	s_waitcnt lgkmcnt(2)
	v_add_f32_e32 v0, v0, v2
	v_add_f32_e32 v0, v0, v3
	;; [unrolled: 3-line block ×4, first 2 shown]
.LBB135_71:
	s_or_b64 exec, exec, s[4:5]
	s_mul_hi_u32 s2, s33, s26
	s_mul_i32 s40, s40, s26
	s_add_i32 s2, s2, s40
	s_mul_i32 s4, s33, s26
	s_mul_i32 s2, s2, s7
	s_mul_hi_u32 s3, s4, s7
	s_add_i32 s3, s3, s2
	s_mul_i32 s2, s4, s7
	s_lshl_b64 s[2:3], s[2:3], 2
	s_add_u32 s4, s28, s2
	s_addc_u32 s5, s29, s3
	s_mul_hi_i32 s3, s33, s6
	s_mul_i32 s2, s33, s6
	s_lshl_b64 s[2:3], s[2:3], 2
	s_add_u32 s14, s4, s2
	s_addc_u32 s15, s5, s3
	s_add_i32 s2, s6, 1
	s_cmp_ge_u32 s2, s7
	v_lshlrev_b32_e32 v0, 2, v50
	s_barrier
	s_cbranch_scc1 .LBB135_128
; %bb.72:
	s_mul_i32 s2, s24, s17
	s_mul_hi_u32 s3, s24, s16
	s_add_i32 s2, s3, s2
	s_mul_i32 s3, s25, s16
	s_add_i32 s3, s2, s3
	s_mul_i32 s2, s24, s16
	s_lshl_b64 s[2:3], s[2:3], 2
	v_mov_b32_e32 v1, s3
	v_subrev_co_u32_e32 v54, vcc, s2, v8
	v_subb_co_u32_e32 v55, vcc, v9, v1, vcc
	s_lshl_b64 s[2:3], s[30:31], 2
	v_mov_b32_e32 v1, s3
	v_add_co_u32_e32 v2, vcc, s2, v34
	v_lshlrev_b32_e32 v53, 2, v51
	v_addc_co_u32_e32 v1, vcc, v35, v1, vcc
	v_sub_co_u32_e32 v11, vcc, v2, v6
	v_mad_u64_u32 v[2:3], s[2:3], v53, s22, 0
	v_mov_b32_e32 v8, v3
	v_mad_u64_u32 v[8:9], s[2:3], v53, s23, v[8:9]
	v_mov_b32_e32 v3, v8
	v_subb_co_u32_e32 v1, vcc, v1, v7, vcc
	v_lshlrev_b64 v[2:3], 2, v[2:3]
	v_add_co_u32_e32 v2, vcc, v11, v2
	v_addc_co_u32_e32 v1, vcc, v1, v3, vcc
	v_and_b32_e32 v3, 48, v50
	v_and_b32_e32 v10, 15, v50
	v_lshlrev_b32_e32 v8, 2, v3
	s_movk_i32 s2, 0x10c
	v_mad_u32_u24 v56, v10, s2, v8
	v_or_b32_e32 v8, 60, v0
	v_lshlrev_b32_e32 v37, 4, v51
	v_mad_u32_u24 v57, v10, s2, v8
	v_and_b32_e32 v8, 0x1fff0, v36
	v_or_b32_e32 v59, v3, v10
	v_add_u32_e32 v3, 0x8c, v37
	v_mad_u32_u24 v58, v10, s2, v8
	v_mad_u64_u32 v[8:9], s[2:3], s22, v3, 0
	v_mov_b32_e32 v10, v9
	v_mad_u64_u32 v[10:11], s[2:3], s23, v3, v[10:11]
	v_mov_b32_e32 v3, v10
	v_sub_co_u32_e32 v8, vcc, v8, v6
	v_add_u32_e32 v9, 0x88, v37
	v_subb_co_u32_e32 v3, vcc, v3, v7, vcc
	v_mad_u64_u32 v[10:11], s[2:3], s22, v9, 0
	v_add_co_u32_e32 v8, vcc, v34, v8
	v_mov_b32_e32 v12, v11
	v_addc_co_u32_e32 v3, vcc, v35, v3, vcc
	v_mad_u64_u32 v[12:13], s[2:3], s23, v9, v[12:13]
	v_mov_b32_e32 v9, v12
	v_sub_co_u32_e32 v10, vcc, v10, v6
	v_add_u32_e32 v11, 0x84, v37
	v_subb_co_u32_e32 v9, vcc, v9, v7, vcc
	v_mad_u64_u32 v[12:13], s[2:3], s22, v11, 0
	v_add_co_u32_e32 v10, vcc, v34, v10
	v_mov_b32_e32 v14, v13
	v_addc_co_u32_e32 v9, vcc, v35, v9, vcc
	;; [unrolled: 9-line block ×3, first 2 shown]
	v_mad_u64_u32 v[16:17], s[2:3], s23, v13, v[16:17]
	v_mov_b32_e32 v13, v16
	v_sub_co_u32_e32 v18, vcc, v14, v6
	v_subb_co_u32_e32 v19, vcc, v13, v7, vcc
	v_add_u32_e32 v13, 0xc8, v37
	v_mad_u64_u32 v[14:15], s[2:3], s22, v13, 0
	v_mov_b32_e32 v16, v15
	v_mad_u64_u32 v[16:17], s[2:3], s23, v13, v[16:17]
	v_mov_b32_e32 v13, v16
	v_sub_co_u32_e32 v20, vcc, v14, v6
	v_subb_co_u32_e32 v21, vcc, v13, v7, vcc
	v_add_u32_e32 v13, 0xc4, v37
	v_mad_u64_u32 v[14:15], s[2:3], s22, v13, 0
	v_mov_b32_e32 v16, v15
	;; [unrolled: 7-line block ×11, first 2 shown]
	v_mad_u64_u32 v[14:15], s[2:3], s23, v13, v[14:15]
	v_mov_b32_e32 v15, v14
	v_add_co_u32_e32 v14, vcc, v34, v18
	v_addc_co_u32_e32 v13, vcc, v35, v19, vcc
	v_sub_co_u32_e32 v44, vcc, v16, v6
	v_subb_co_u32_e32 v45, vcc, v15, v7, vcc
	v_add_co_u32_e32 v6, vcc, v34, v20
	v_addc_co_u32_e32 v7, vcc, v35, v21, vcc
	v_add_co_u32_e32 v16, vcc, v34, v22
	v_addc_co_u32_e32 v15, vcc, v35, v23, vcc
	;; [unrolled: 2-line block ×10, first 2 shown]
	v_cmp_gt_u32_e64 s[2:3], 64, v36
	v_lshrrev_b32_e32 v36, 4, v36
	v_add_co_u32_e32 v34, vcc, v34, v44
	s_movk_i32 s4, 0x430
	v_mul_i32_i24_e32 v36, -12, v36
	v_addc_co_u32_e32 v33, vcc, v35, v45, vcc
	s_add_i32 s19, s7, -2
	v_add_u32_e32 v35, 0x10c0, v37
	s_add_i32 s24, s24, 64
	s_lshl_b64 s[10:11], s[22:23], 8
	v_add_u32_e32 v60, v58, v36
	v_add_u32_e32 v61, 0x10c0, v0
	;; [unrolled: 1-line block ×3, first 2 shown]
	v_or_b32_e32 v63, 1, v53
	v_or_b32_e32 v64, 2, v53
	;; [unrolled: 1-line block ×3, first 2 shown]
	v_mad_u32_u24 v66, v51, s4, v0
	v_add_u32_e32 v67, 16, v53
	v_add_u32_e32 v68, 17, v53
	;; [unrolled: 1-line block ×12, first 2 shown]
	s_cmp_eq_u32 s19, s6
	s_cselect_b32 s22, s27, 0
	s_and_saveexec_b64 s[4:5], s[0:1]
	s_cbranch_execz .LBB135_76
.LBB135_73:
	s_cmp_eq_u32 s22, 0
	s_cselect_b64 s[8:9], -1, 0
	v_cmp_gt_i32_e32 vcc, s22, v50
	s_or_b64 s[12:13], s[8:9], vcc
	v_mov_b32_e32 v36, 0
	s_and_saveexec_b64 s[8:9], s[12:13]
	s_cbranch_execz .LBB135_75
; %bb.74:
	s_ashr_i32 s12, s24, 31
	s_mul_i32 s13, s24, s17
	s_mul_hi_u32 s23, s24, s16
	s_add_i32 s13, s23, s13
	s_mul_i32 s12, s12, s16
	s_add_i32 s13, s13, s12
	s_mul_i32 s12, s24, s16
	s_lshl_b64 s[12:13], s[12:13], 2
	v_mov_b32_e32 v37, s13
	v_add_co_u32_e32 v36, vcc, s12, v54
	v_addc_co_u32_e32 v37, vcc, v55, v37, vcc
	flat_load_dword v36, v[36:37]
.LBB135_75:
	s_or_b64 exec, exec, s[8:9]
	s_waitcnt vmcnt(0) lgkmcnt(0)
	ds_write_b32 v61, v36
.LBB135_76:                             ; =>This Inner Loop Header: Depth=1
	s_or_b64 exec, exec, s[4:5]
	s_cmp_eq_u32 s22, 0
	v_add_co_u32_e32 v36, vcc, v2, v0
	s_cselect_b64 s[12:13], -1, 0
	s_cmp_lg_u32 s22, 0
	v_addc_co_u32_e32 v37, vcc, 0, v1, vcc
	s_cselect_b64 s[8:9], -1, 0
	s_and_b64 vcc, exec, s[8:9]
	s_waitcnt lgkmcnt(0)
	s_barrier
	s_cbranch_vccz .LBB135_124
; %bb.77:                               ;   in Loop: Header=BB135_76 Depth=1
	v_cmp_gt_i32_e32 vcc, s22, v53
	v_mov_b32_e32 v80, 0
	v_mov_b32_e32 v79, 0
	s_and_saveexec_b64 s[4:5], vcc
	s_cbranch_execz .LBB135_79
; %bb.78:                               ;   in Loop: Header=BB135_76 Depth=1
	flat_load_dword v79, v[36:37]
.LBB135_79:                             ;   in Loop: Header=BB135_76 Depth=1
	s_or_b64 exec, exec, s[4:5]
	v_cmp_gt_i32_e32 vcc, s22, v63
	s_and_saveexec_b64 s[4:5], vcc
	s_cbranch_execz .LBB135_81
; %bb.80:                               ;   in Loop: Header=BB135_76 Depth=1
	v_add_co_u32_e32 v38, vcc, v12, v0
	v_addc_co_u32_e32 v39, vcc, 0, v11, vcc
	flat_load_dword v80, v[38:39]
.LBB135_81:                             ;   in Loop: Header=BB135_76 Depth=1
	s_or_b64 exec, exec, s[4:5]
	v_cmp_gt_i32_e32 vcc, s22, v64
	v_mov_b32_e32 v82, 0
	v_mov_b32_e32 v81, 0
	s_and_saveexec_b64 s[4:5], vcc
	s_cbranch_execz .LBB135_83
; %bb.82:                               ;   in Loop: Header=BB135_76 Depth=1
	v_add_co_u32_e32 v38, vcc, v10, v0
	v_addc_co_u32_e32 v39, vcc, 0, v9, vcc
	flat_load_dword v81, v[38:39]
.LBB135_83:                             ;   in Loop: Header=BB135_76 Depth=1
	s_or_b64 exec, exec, s[4:5]
	v_cmp_gt_i32_e32 vcc, s22, v65
	s_and_saveexec_b64 s[4:5], vcc
	s_cbranch_execz .LBB135_85
; %bb.84:                               ;   in Loop: Header=BB135_76 Depth=1
	v_add_co_u32_e32 v38, vcc, v8, v0
	v_addc_co_u32_e32 v39, vcc, 0, v3, vcc
	flat_load_dword v82, v[38:39]
.LBB135_85:                             ;   in Loop: Header=BB135_76 Depth=1
	s_or_b64 exec, exec, s[4:5]
	s_branch .LBB135_87
.LBB135_86:                             ;   in Loop: Header=BB135_76 Depth=1
	s_waitcnt vmcnt(0) lgkmcnt(0)
	flat_load_dword v79, v[36:37]
	v_add_co_u32_e32 v36, vcc, v12, v0
	v_addc_co_u32_e32 v37, vcc, 0, v11, vcc
	flat_load_dword v80, v[36:37]
	v_add_co_u32_e32 v36, vcc, v10, v0
	v_addc_co_u32_e32 v37, vcc, 0, v9, vcc
	flat_load_dword v81, v[36:37]
	v_add_co_u32_e32 v36, vcc, v8, v0
	v_addc_co_u32_e32 v37, vcc, 0, v3, vcc
	flat_load_dword v82, v[36:37]
.LBB135_87:                             ;   in Loop: Header=BB135_76 Depth=1
	ds_read_b32 v36, v62
	ds_read_b32 v83, v35
	v_cndmask_b32_e64 v40, 0, 1, s[8:9]
	v_cmp_ne_u32_e64 s[4:5], 1, v40
	s_andn2_b64 vcc, exec, s[8:9]
	s_waitcnt vmcnt(0) lgkmcnt(0)
	v_mul_f32_e32 v37, v79, v36
	v_mul_f32_e32 v38, v80, v36
	ds_write_b32 v66, v37
	v_mul_f32_e32 v39, v81, v36
	ds_read_b32 v84, v35 offset:4
	ds_write_b32 v66, v38 offset:268
	ds_read_b32 v85, v35 offset:8
	ds_write_b32 v66, v39 offset:536
	v_mul_f32_e32 v36, v82, v36
	ds_read_b32 v86, v35 offset:12
	ds_write_b32 v66, v36 offset:804
	s_waitcnt lgkmcnt(0)
	s_barrier
	ds_read2_b32 v[38:39], v58 offset1:1
	ds_read2_b32 v[36:37], v58 offset0:2 offset1:3
	v_add_co_u32_e64 v40, s[8:9], v18, v0
	v_addc_co_u32_e64 v41, s[8:9], 0, v17, s[8:9]
	s_waitcnt lgkmcnt(0)
	s_barrier
	s_cbranch_vccnz .LBB135_125
; %bb.88:                               ;   in Loop: Header=BB135_76 Depth=1
	v_cmp_gt_i32_e32 vcc, s22, v67
	v_mov_b32_e32 v88, 0
	v_mov_b32_e32 v87, 0
	s_and_saveexec_b64 s[8:9], vcc
	s_cbranch_execz .LBB135_90
; %bb.89:                               ;   in Loop: Header=BB135_76 Depth=1
	flat_load_dword v87, v[40:41]
.LBB135_90:                             ;   in Loop: Header=BB135_76 Depth=1
	s_or_b64 exec, exec, s[8:9]
	v_cmp_gt_i32_e32 vcc, s22, v68
	s_and_saveexec_b64 s[8:9], vcc
	s_cbranch_execz .LBB135_92
; %bb.91:                               ;   in Loop: Header=BB135_76 Depth=1
	v_add_co_u32_e32 v42, vcc, v16, v0
	v_addc_co_u32_e32 v43, vcc, 0, v15, vcc
	flat_load_dword v88, v[42:43]
.LBB135_92:                             ;   in Loop: Header=BB135_76 Depth=1
	s_or_b64 exec, exec, s[8:9]
	v_cmp_gt_i32_e32 vcc, s22, v69
	v_mov_b32_e32 v90, 0
	v_mov_b32_e32 v89, 0
	s_and_saveexec_b64 s[8:9], vcc
	s_cbranch_execz .LBB135_94
; %bb.93:                               ;   in Loop: Header=BB135_76 Depth=1
	v_add_co_u32_e32 v42, vcc, v6, v0
	v_addc_co_u32_e32 v43, vcc, 0, v7, vcc
	flat_load_dword v89, v[42:43]
.LBB135_94:                             ;   in Loop: Header=BB135_76 Depth=1
	s_or_b64 exec, exec, s[8:9]
	v_cmp_gt_i32_e32 vcc, s22, v70
	s_and_saveexec_b64 s[8:9], vcc
	s_cbranch_execz .LBB135_96
; %bb.95:                               ;   in Loop: Header=BB135_76 Depth=1
	v_add_co_u32_e32 v42, vcc, v14, v0
	v_addc_co_u32_e32 v43, vcc, 0, v13, vcc
	flat_load_dword v90, v[42:43]
.LBB135_96:                             ;   in Loop: Header=BB135_76 Depth=1
	s_or_b64 exec, exec, s[8:9]
	s_branch .LBB135_98
.LBB135_97:                             ;   in Loop: Header=BB135_76 Depth=1
	s_waitcnt vmcnt(0) lgkmcnt(0)
	flat_load_dword v87, v[40:41]
	v_add_co_u32_e32 v40, vcc, v16, v0
	v_addc_co_u32_e32 v41, vcc, 0, v15, vcc
	flat_load_dword v88, v[40:41]
	v_add_co_u32_e32 v40, vcc, v6, v0
	v_addc_co_u32_e32 v41, vcc, 0, v7, vcc
	;; [unrolled: 3-line block ×3, first 2 shown]
	flat_load_dword v90, v[40:41]
.LBB135_98:                             ;   in Loop: Header=BB135_76 Depth=1
	ds_read_b32 v40, v62
	ds_read_b32 v91, v35 offset:64
	v_add_co_u32_e64 v44, s[8:9], v26, v0
	s_and_b64 vcc, exec, s[4:5]
	s_waitcnt vmcnt(0) lgkmcnt(0)
	v_mul_f32_e32 v41, v87, v40
	v_mul_f32_e32 v42, v88, v40
	ds_write_b32 v66, v41
	v_mul_f32_e32 v43, v89, v40
	ds_read_b32 v92, v35 offset:68
	ds_write_b32 v66, v42 offset:268
	ds_read_b32 v93, v35 offset:72
	ds_write_b32 v66, v43 offset:536
	v_mul_f32_e32 v40, v90, v40
	ds_read_b32 v94, v35 offset:76
	ds_write_b32 v66, v40 offset:804
	s_waitcnt lgkmcnt(0)
	s_barrier
	ds_read2_b32 v[42:43], v58 offset1:1
	ds_read2_b32 v[40:41], v58 offset0:2 offset1:3
	v_addc_co_u32_e64 v45, s[8:9], 0, v25, s[8:9]
	s_waitcnt lgkmcnt(0)
	s_barrier
	s_cbranch_vccnz .LBB135_126
; %bb.99:                               ;   in Loop: Header=BB135_76 Depth=1
	v_cmp_gt_i32_e32 vcc, s22, v71
	v_mov_b32_e32 v96, 0
	v_mov_b32_e32 v95, 0
	s_and_saveexec_b64 s[8:9], vcc
	s_cbranch_execz .LBB135_101
; %bb.100:                              ;   in Loop: Header=BB135_76 Depth=1
	flat_load_dword v95, v[44:45]
.LBB135_101:                            ;   in Loop: Header=BB135_76 Depth=1
	s_or_b64 exec, exec, s[8:9]
	v_cmp_gt_i32_e32 vcc, s22, v72
	s_and_saveexec_b64 s[8:9], vcc
	s_cbranch_execz .LBB135_103
; %bb.102:                              ;   in Loop: Header=BB135_76 Depth=1
	v_add_co_u32_e32 v46, vcc, v24, v0
	v_addc_co_u32_e32 v47, vcc, 0, v23, vcc
	flat_load_dword v96, v[46:47]
.LBB135_103:                            ;   in Loop: Header=BB135_76 Depth=1
	s_or_b64 exec, exec, s[8:9]
	v_cmp_gt_i32_e32 vcc, s22, v73
	v_mov_b32_e32 v98, 0
	v_mov_b32_e32 v97, 0
	s_and_saveexec_b64 s[8:9], vcc
	s_cbranch_execz .LBB135_105
; %bb.104:                              ;   in Loop: Header=BB135_76 Depth=1
	v_add_co_u32_e32 v46, vcc, v22, v0
	v_addc_co_u32_e32 v47, vcc, 0, v21, vcc
	flat_load_dword v97, v[46:47]
.LBB135_105:                            ;   in Loop: Header=BB135_76 Depth=1
	s_or_b64 exec, exec, s[8:9]
	v_cmp_gt_i32_e32 vcc, s22, v74
	s_and_saveexec_b64 s[8:9], vcc
	s_cbranch_execz .LBB135_107
; %bb.106:                              ;   in Loop: Header=BB135_76 Depth=1
	v_add_co_u32_e32 v46, vcc, v20, v0
	v_addc_co_u32_e32 v47, vcc, 0, v19, vcc
	flat_load_dword v98, v[46:47]
.LBB135_107:                            ;   in Loop: Header=BB135_76 Depth=1
	s_or_b64 exec, exec, s[8:9]
	s_branch .LBB135_109
.LBB135_108:                            ;   in Loop: Header=BB135_76 Depth=1
	s_waitcnt vmcnt(0) lgkmcnt(0)
	flat_load_dword v95, v[44:45]
	v_add_co_u32_e32 v44, vcc, v24, v0
	v_addc_co_u32_e32 v45, vcc, 0, v23, vcc
	flat_load_dword v96, v[44:45]
	v_add_co_u32_e32 v44, vcc, v22, v0
	v_addc_co_u32_e32 v45, vcc, 0, v21, vcc
	;; [unrolled: 3-line block ×3, first 2 shown]
	flat_load_dword v98, v[44:45]
.LBB135_109:                            ;   in Loop: Header=BB135_76 Depth=1
	ds_read_b32 v44, v62
	ds_read_b32 v99, v35 offset:128
	s_and_b64 vcc, exec, s[4:5]
	v_add_co_u32_e64 v48, s[4:5], v34, v0
	s_waitcnt vmcnt(0) lgkmcnt(0)
	v_mul_f32_e32 v45, v95, v44
	v_mul_f32_e32 v46, v96, v44
	ds_write_b32 v66, v45
	v_mul_f32_e32 v47, v97, v44
	ds_read_b32 v100, v35 offset:132
	ds_write_b32 v66, v46 offset:268
	ds_read_b32 v101, v35 offset:136
	ds_write_b32 v66, v47 offset:536
	v_mul_f32_e32 v44, v98, v44
	ds_read_b32 v102, v35 offset:140
	ds_write_b32 v66, v44 offset:804
	s_waitcnt lgkmcnt(0)
	s_barrier
	ds_read2_b32 v[46:47], v58 offset1:1
	ds_read2_b32 v[44:45], v58 offset0:2 offset1:3
	v_addc_co_u32_e64 v49, s[4:5], 0, v33, s[4:5]
	s_waitcnt lgkmcnt(0)
	s_barrier
	s_cbranch_vccnz .LBB135_127
; %bb.110:                              ;   in Loop: Header=BB135_76 Depth=1
	v_cmp_gt_i32_e32 vcc, s22, v75
	v_mov_b32_e32 v104, 0
	v_mov_b32_e32 v103, 0
	s_and_saveexec_b64 s[4:5], vcc
	s_cbranch_execz .LBB135_112
; %bb.111:                              ;   in Loop: Header=BB135_76 Depth=1
	flat_load_dword v103, v[48:49]
.LBB135_112:                            ;   in Loop: Header=BB135_76 Depth=1
	s_or_b64 exec, exec, s[4:5]
	v_cmp_gt_i32_e32 vcc, s22, v76
	s_and_saveexec_b64 s[4:5], vcc
	s_cbranch_execz .LBB135_114
; %bb.113:                              ;   in Loop: Header=BB135_76 Depth=1
	v_add_co_u32_e32 v104, vcc, v32, v0
	v_addc_co_u32_e32 v105, vcc, 0, v31, vcc
	flat_load_dword v104, v[104:105]
.LBB135_114:                            ;   in Loop: Header=BB135_76 Depth=1
	s_or_b64 exec, exec, s[4:5]
	v_cmp_gt_i32_e32 vcc, s22, v77
	v_mov_b32_e32 v106, 0
	v_mov_b32_e32 v105, 0
	s_and_saveexec_b64 s[4:5], vcc
	s_cbranch_execz .LBB135_116
; %bb.115:                              ;   in Loop: Header=BB135_76 Depth=1
	v_add_co_u32_e32 v108, vcc, v30, v0
	v_addc_co_u32_e32 v109, vcc, 0, v29, vcc
	flat_load_dword v105, v[108:109]
.LBB135_116:                            ;   in Loop: Header=BB135_76 Depth=1
	s_or_b64 exec, exec, s[4:5]
	v_cmp_gt_i32_e32 vcc, s22, v78
	s_and_saveexec_b64 s[4:5], vcc
	s_cbranch_execz .LBB135_118
; %bb.117:                              ;   in Loop: Header=BB135_76 Depth=1
	v_add_co_u32_e32 v106, vcc, v28, v0
	v_addc_co_u32_e32 v107, vcc, 0, v27, vcc
	flat_load_dword v106, v[106:107]
.LBB135_118:                            ;   in Loop: Header=BB135_76 Depth=1
	s_or_b64 exec, exec, s[4:5]
	s_branch .LBB135_120
.LBB135_119:                            ;   in Loop: Header=BB135_76 Depth=1
	s_waitcnt vmcnt(0) lgkmcnt(0)
	flat_load_dword v103, v[48:49]
	v_add_co_u32_e32 v48, vcc, v32, v0
	v_addc_co_u32_e32 v49, vcc, 0, v31, vcc
	flat_load_dword v104, v[48:49]
	v_add_co_u32_e32 v48, vcc, v30, v0
	v_addc_co_u32_e32 v49, vcc, 0, v29, vcc
	;; [unrolled: 3-line block ×3, first 2 shown]
	flat_load_dword v106, v[48:49]
.LBB135_120:                            ;   in Loop: Header=BB135_76 Depth=1
	v_add_f32_e32 v42, 0, v42
	v_add_f32_e32 v42, v42, v43
	ds_read_b32 v43, v62
	v_add_f32_e32 v46, 0, v46
	v_add_f32_e32 v46, v46, v47
	;; [unrolled: 1-line block ×6, first 2 shown]
	ds_read_b32 v38, v35 offset:192
	s_waitcnt vmcnt(0) lgkmcnt(0)
	v_mul_f32_e32 v40, v103, v43
	ds_write_b32 v66, v40
	v_mul_f32_e32 v41, v104, v43
	ds_read_b32 v40, v35 offset:196
	ds_write_b32 v66, v41 offset:268
	v_mul_f32_e32 v42, v105, v43
	ds_read_b32 v41, v35 offset:200
	ds_write_b32 v66, v42 offset:536
	v_mul_f32_e32 v43, v106, v43
	v_add_f32_e32 v48, v44, v45
	ds_read_b32 v42, v35 offset:204
	ds_write_b32 v66, v43 offset:804
	s_waitcnt lgkmcnt(0)
	s_barrier
	ds_read2_b32 v[44:45], v58 offset1:1
	v_add_f32_e32 v39, v46, v39
	ds_read2_b32 v[46:47], v58 offset0:2 offset1:3
	v_add_f32_e32 v36, v39, v36
	v_add_f32_e32 v36, v36, v37
	s_waitcnt lgkmcnt(1)
	v_add_f32_e32 v37, 0, v44
	v_cmp_gt_i32_e32 vcc, s22, v50
	v_add_f32_e32 v37, v37, v45
	s_or_b64 s[4:5], s[12:13], vcc
	s_waitcnt lgkmcnt(0)
	v_add_f32_e32 v37, v37, v46
	s_and_b64 s[8:9], s[2:3], s[4:5]
	v_add_f32_e32 v37, v37, v47
	s_barrier
	ds_write2_b32 v60, v36, v49 offset1:16
	ds_write2_b32 v60, v48, v37 offset0:32 offset1:48
	s_waitcnt lgkmcnt(0)
	s_barrier
	s_and_saveexec_b64 s[4:5], s[8:9]
	s_cbranch_execz .LBB135_122
; %bb.121:                              ;   in Loop: Header=BB135_76 Depth=1
	ds_read2_b32 v[36:37], v56 offset1:1
	ds_read2_b32 v[44:45], v56 offset0:2 offset1:3
	ds_read2_b32 v[46:47], v56 offset0:4 offset1:5
	;; [unrolled: 1-line block ×3, first 2 shown]
	s_waitcnt lgkmcnt(3)
	v_add_f32_e32 v36, v36, v37
	s_waitcnt lgkmcnt(2)
	v_add_f32_e32 v36, v36, v44
	v_add_f32_e32 v36, v36, v45
	s_waitcnt lgkmcnt(1)
	v_add_f32_e32 v36, v36, v46
	;; [unrolled: 3-line block ×3, first 2 shown]
	ds_read2_b32 v[36:37], v56 offset0:8 offset1:9
	v_add_f32_e32 v39, v39, v49
	ds_read2_b32 v[44:45], v56 offset0:10 offset1:11
	ds_read2_b32 v[46:47], v56 offset0:12 offset1:13
	ds_read_b32 v43, v56 offset:56
	s_waitcnt lgkmcnt(3)
	v_add_f32_e32 v36, v39, v36
	v_add_f32_e32 v36, v36, v37
	s_waitcnt lgkmcnt(2)
	v_add_f32_e32 v36, v36, v44
	ds_read_b32 v37, v57
	v_add_f32_e32 v36, v36, v45
	s_waitcnt lgkmcnt(2)
	v_add_f32_e32 v36, v36, v46
	v_add_f32_e32 v36, v36, v47
	s_waitcnt lgkmcnt(1)
	v_add_f32_e32 v36, v36, v43
	s_waitcnt lgkmcnt(0)
	v_add_f32_e32 v39, v36, v37
	v_add_u32_e32 v36, s24, v59
	v_ashrrev_i32_e32 v37, 31, v36
	v_lshlrev_b64 v[36:37], 2, v[36:37]
	v_mov_b32_e32 v43, s15
	v_add_co_u32_e32 v36, vcc, s14, v36
	v_addc_co_u32_e32 v37, vcc, v43, v37, vcc
	global_store_dword v[36:37], v39, off
.LBB135_122:                            ;   in Loop: Header=BB135_76 Depth=1
	s_or_b64 exec, exec, s[4:5]
	v_mov_b32_e32 v36, s11
	v_add_co_u32_e32 v8, vcc, s10, v8
	v_addc_co_u32_e32 v3, vcc, v3, v36, vcc
	v_add_co_u32_e32 v10, vcc, s10, v10
	v_addc_co_u32_e32 v9, vcc, v9, v36, vcc
	;; [unrolled: 2-line block ×8, first 2 shown]
	v_fmac_f32_e32 v52, v79, v83
	v_add_co_u32_e32 v20, vcc, s10, v20
	v_fmac_f32_e32 v52, v80, v84
	v_addc_co_u32_e32 v19, vcc, v19, v36, vcc
	v_fmac_f32_e32 v52, v81, v85
	v_add_co_u32_e32 v22, vcc, s10, v22
	v_fmac_f32_e32 v52, v82, v86
	v_addc_co_u32_e32 v21, vcc, v21, v36, vcc
	v_fmac_f32_e32 v52, v87, v91
	v_add_co_u32_e32 v24, vcc, s10, v24
	v_fmac_f32_e32 v52, v88, v92
	v_addc_co_u32_e32 v23, vcc, v23, v36, vcc
	v_fmac_f32_e32 v52, v89, v93
	v_add_co_u32_e32 v26, vcc, s10, v26
	v_fmac_f32_e32 v52, v90, v94
	v_addc_co_u32_e32 v25, vcc, v25, v36, vcc
	v_fmac_f32_e32 v52, v95, v99
	v_add_co_u32_e32 v28, vcc, s10, v28
	v_fmac_f32_e32 v52, v96, v100
	v_addc_co_u32_e32 v27, vcc, v27, v36, vcc
	v_fmac_f32_e32 v52, v97, v101
	v_add_co_u32_e32 v30, vcc, s10, v30
	v_fmac_f32_e32 v52, v98, v102
	v_addc_co_u32_e32 v29, vcc, v29, v36, vcc
	v_fmac_f32_e32 v52, v103, v38
	v_add_co_u32_e32 v32, vcc, s10, v32
	v_fmac_f32_e32 v52, v104, v40
	v_addc_co_u32_e32 v31, vcc, v31, v36, vcc
	v_fmac_f32_e32 v52, v105, v41
	s_add_i32 s4, s6, 1
	s_add_i32 s24, s24, 64
	;; [unrolled: 1-line block ×3, first 2 shown]
	v_add_co_u32_e32 v34, vcc, s10, v34
	v_fmac_f32_e32 v52, v106, v42
	s_cmp_ge_u32 s5, s7
	v_addc_co_u32_e32 v33, vcc, v33, v36, vcc
	s_barrier
	s_cbranch_scc1 .LBB135_128
; %bb.123:                              ;   in Loop: Header=BB135_76 Depth=1
	s_mov_b32 s6, s4
	s_cmp_eq_u32 s19, s6
	s_cselect_b32 s22, s27, 0
	s_and_saveexec_b64 s[4:5], s[0:1]
	s_cbranch_execnz .LBB135_73
	s_branch .LBB135_76
.LBB135_124:                            ;   in Loop: Header=BB135_76 Depth=1
                                        ; implicit-def: $vgpr82
                                        ; implicit-def: $vgpr81
                                        ; implicit-def: $vgpr80
                                        ; implicit-def: $vgpr79
	s_cbranch_execnz .LBB135_86
	s_branch .LBB135_87
.LBB135_125:                            ;   in Loop: Header=BB135_76 Depth=1
                                        ; implicit-def: $vgpr90
                                        ; implicit-def: $vgpr89
                                        ; implicit-def: $vgpr88
                                        ; implicit-def: $vgpr87
	s_cbranch_execnz .LBB135_97
	s_branch .LBB135_98
.LBB135_126:                            ;   in Loop: Header=BB135_76 Depth=1
                                        ; implicit-def: $vgpr98
                                        ; implicit-def: $vgpr97
                                        ; implicit-def: $vgpr96
                                        ; implicit-def: $vgpr95
	s_cbranch_execnz .LBB135_108
	s_branch .LBB135_109
.LBB135_127:                            ;   in Loop: Header=BB135_76 Depth=1
                                        ; implicit-def: $vgpr106
                                        ; implicit-def: $vgpr105
                                        ; implicit-def: $vgpr104
                                        ; implicit-def: $vgpr103
	s_cbranch_execnz .LBB135_119
	s_branch .LBB135_120
.LBB135_128:
	s_movk_i32 s2, 0x10c
	v_cmp_gt_i32_e32 vcc, s18, v50
	v_mad_u32_u24 v1, v51, s2, v0
	s_or_b64 s[2:3], s[20:21], vcc
	s_and_b64 s[0:1], s[0:1], s[2:3]
	ds_write_b32 v1, v52
	s_waitcnt lgkmcnt(0)
	s_barrier
	s_and_saveexec_b64 s[2:3], s[0:1]
	s_cbranch_execz .LBB135_130
; %bb.129:
	ds_read2_b32 v[2:3], v0 offset1:67
	ds_read2_b32 v[0:1], v0 offset0:134 offset1:201
	v_lshlrev_b64 v[4:5], 2, v[4:5]
	v_mov_b32_e32 v6, s15
	s_waitcnt lgkmcnt(1)
	v_add_f32_e32 v2, v2, v3
	s_waitcnt lgkmcnt(0)
	v_add_f32_e32 v0, v2, v0
	v_add_f32_e32 v2, v0, v1
	v_add_co_u32_e32 v0, vcc, s14, v4
	v_addc_co_u32_e32 v1, vcc, v6, v5, vcc
	global_store_dword v[0:1], v2, off
.LBB135_130:
	s_endpgm
	.section	.rodata,"a",@progbits
	.p2align	6, 0x0
	.amdhsa_kernel _ZL26rocblas_hemvn_kernel_upperILb0ELi64ELi4ELi33ELi32ELi16ElPKfPKS1_PfEviT6_lT7_lT5_lS6_lS7_lS5_lT8_i
		.amdhsa_group_segment_fixed_size 4800
		.amdhsa_private_segment_fixed_size 0
		.amdhsa_kernarg_size 376
		.amdhsa_user_sgpr_count 6
		.amdhsa_user_sgpr_private_segment_buffer 1
		.amdhsa_user_sgpr_dispatch_ptr 0
		.amdhsa_user_sgpr_queue_ptr 0
		.amdhsa_user_sgpr_kernarg_segment_ptr 1
		.amdhsa_user_sgpr_dispatch_id 0
		.amdhsa_user_sgpr_flat_scratch_init 0
		.amdhsa_user_sgpr_kernarg_preload_length 0
		.amdhsa_user_sgpr_kernarg_preload_offset 0
		.amdhsa_user_sgpr_private_segment_size 0
		.amdhsa_uses_dynamic_stack 0
		.amdhsa_system_sgpr_private_segment_wavefront_offset 0
		.amdhsa_system_sgpr_workgroup_id_x 1
		.amdhsa_system_sgpr_workgroup_id_y 0
		.amdhsa_system_sgpr_workgroup_id_z 1
		.amdhsa_system_sgpr_workgroup_info 0
		.amdhsa_system_vgpr_workitem_id 1
		.amdhsa_next_free_vgpr 110
		.amdhsa_next_free_sgpr 44
		.amdhsa_accum_offset 112
		.amdhsa_reserve_vcc 1
		.amdhsa_reserve_flat_scratch 0
		.amdhsa_float_round_mode_32 0
		.amdhsa_float_round_mode_16_64 0
		.amdhsa_float_denorm_mode_32 3
		.amdhsa_float_denorm_mode_16_64 3
		.amdhsa_dx10_clamp 1
		.amdhsa_ieee_mode 1
		.amdhsa_fp16_overflow 0
		.amdhsa_tg_split 0
		.amdhsa_exception_fp_ieee_invalid_op 0
		.amdhsa_exception_fp_denorm_src 0
		.amdhsa_exception_fp_ieee_div_zero 0
		.amdhsa_exception_fp_ieee_overflow 0
		.amdhsa_exception_fp_ieee_underflow 0
		.amdhsa_exception_fp_ieee_inexact 0
		.amdhsa_exception_int_div_zero 0
	.end_amdhsa_kernel
	.section	.text._ZL26rocblas_hemvn_kernel_upperILb0ELi64ELi4ELi33ELi32ELi16ElPKfPKS1_PfEviT6_lT7_lT5_lS6_lS7_lS5_lT8_i,"axG",@progbits,_ZL26rocblas_hemvn_kernel_upperILb0ELi64ELi4ELi33ELi32ELi16ElPKfPKS1_PfEviT6_lT7_lT5_lS6_lS7_lS5_lT8_i,comdat
.Lfunc_end135:
	.size	_ZL26rocblas_hemvn_kernel_upperILb0ELi64ELi4ELi33ELi32ELi16ElPKfPKS1_PfEviT6_lT7_lT5_lS6_lS7_lS5_lT8_i, .Lfunc_end135-_ZL26rocblas_hemvn_kernel_upperILb0ELi64ELi4ELi33ELi32ELi16ElPKfPKS1_PfEviT6_lT7_lT5_lS6_lS7_lS5_lT8_i
                                        ; -- End function
	.section	.AMDGPU.csdata,"",@progbits
; Kernel info:
; codeLenInByte = 6944
; NumSgprs: 48
; NumVgprs: 110
; NumAgprs: 0
; TotalNumVgprs: 110
; ScratchSize: 0
; MemoryBound: 0
; FloatMode: 240
; IeeeMode: 1
; LDSByteSize: 4800 bytes/workgroup (compile time only)
; SGPRBlocks: 5
; VGPRBlocks: 13
; NumSGPRsForWavesPerEU: 48
; NumVGPRsForWavesPerEU: 110
; AccumOffset: 112
; Occupancy: 4
; WaveLimiterHint : 1
; COMPUTE_PGM_RSRC2:SCRATCH_EN: 0
; COMPUTE_PGM_RSRC2:USER_SGPR: 6
; COMPUTE_PGM_RSRC2:TRAP_HANDLER: 0
; COMPUTE_PGM_RSRC2:TGID_X_EN: 1
; COMPUTE_PGM_RSRC2:TGID_Y_EN: 0
; COMPUTE_PGM_RSRC2:TGID_Z_EN: 1
; COMPUTE_PGM_RSRC2:TIDIG_COMP_CNT: 1
; COMPUTE_PGM_RSRC3_GFX90A:ACCUM_OFFSET: 27
; COMPUTE_PGM_RSRC3_GFX90A:TG_SPLIT: 0
	.section	.text._ZL36rocblas_hemvn_kernel_upper_block_sumILi64ElPKfPKPffEviT1_lS5_lT2_lT0_lPT3_i,"axG",@progbits,_ZL36rocblas_hemvn_kernel_upper_block_sumILi64ElPKfPKPffEviT1_lS5_lT2_lT0_lPT3_i,comdat
	.globl	_ZL36rocblas_hemvn_kernel_upper_block_sumILi64ElPKfPKPffEviT1_lS5_lT2_lT0_lPT3_i ; -- Begin function _ZL36rocblas_hemvn_kernel_upper_block_sumILi64ElPKfPKPffEviT1_lS5_lT2_lT0_lPT3_i
	.p2align	8
	.type	_ZL36rocblas_hemvn_kernel_upper_block_sumILi64ElPKfPKPffEviT1_lS5_lT2_lT0_lPT3_i,@function
_ZL36rocblas_hemvn_kernel_upper_block_sumILi64ElPKfPKPffEviT1_lS5_lT2_lT0_lPT3_i: ; @_ZL36rocblas_hemvn_kernel_upper_block_sumILi64ElPKfPKPffEviT1_lS5_lT2_lT0_lPT3_i
; %bb.0:
	s_load_dwordx8 s[12:19], s[4:5], 0x8
	s_mov_b32 s10, s7
	s_waitcnt lgkmcnt(0)
	s_mul_i32 s0, s7, s15
	s_mul_hi_u32 s1, s7, s14
	s_add_i32 s1, s1, s0
	s_mul_i32 s0, s7, s14
	s_lshl_b64 s[0:1], s[0:1], 2
	s_add_u32 s0, s12, s0
	s_addc_u32 s1, s13, s1
	s_load_dword s7, s[0:1], 0x0
	s_mul_i32 s0, s10, s19
	s_mul_hi_u32 s1, s10, s18
	s_add_i32 s1, s1, s0
	s_mul_i32 s0, s10, s18
	s_lshl_b64 s[0:1], s[0:1], 2
	s_add_u32 s0, s16, s0
	s_addc_u32 s1, s17, s1
	s_load_dword s19, s[0:1], 0x0
	s_waitcnt lgkmcnt(0)
	v_cmp_eq_f32_e64 s[0:1], s7, 0
	v_cmp_eq_f32_e64 s[2:3], s19, 1.0
	s_and_b64 s[0:1], s[0:1], s[2:3]
	s_and_b64 vcc, exec, s[0:1]
	s_cbranch_vccnz .LBB136_19
; %bb.1:
	s_load_dwordx2 s[8:9], s[4:5], 0x28
	s_mov_b32 s11, 0
	s_lshl_b64 s[14:15], s[10:11], 3
	s_load_dword s12, s[4:5], 0x0
	s_load_dwordx4 s[0:3], s[4:5], 0x30
	v_lshl_or_b32 v0, s6, 6, v0
	s_waitcnt lgkmcnt(0)
	s_add_u32 s8, s8, s14
	s_addc_u32 s9, s9, s15
	s_load_dwordx2 s[8:9], s[8:9], 0x0
	s_lshl_b64 s[0:1], s[0:1], 2
	v_cmp_neq_f32_e64 s[14:15], s7, 0
	s_waitcnt lgkmcnt(0)
	s_add_u32 s11, s8, s0
	s_addc_u32 s18, s9, s1
	s_and_b64 vcc, exec, s[14:15]
	v_cmp_gt_i32_e64 s[0:1], s12, v0
	s_cbranch_vccnz .LBB136_6
; %bb.2:
	s_mov_b64 s[14:15], 0
	s_mov_b64 s[8:9], 0
                                        ; implicit-def: $vgpr1
                                        ; implicit-def: $vgpr2_vgpr3
	s_and_saveexec_b64 s[16:17], s[0:1]
	s_cbranch_execz .LBB136_7
; %bb.3:
	v_ashrrev_i32_e32 v2, 31, v0
	v_cmp_eq_f32_e64 s[0:1], s19, 0
	v_mul_lo_u32 v4, v0, s3
	v_mul_lo_u32 v5, v2, s2
	v_mad_u64_u32 v[2:3], s[8:9], v0, s2, 0
	v_mov_b32_e32 v1, 0
	v_add3_u32 v3, v3, v4, v5
	s_and_b64 vcc, exec, s[0:1]
	s_cbranch_vccnz .LBB136_5
; %bb.4:
	v_lshlrev_b64 v[4:5], 2, v[2:3]
	v_mov_b32_e32 v1, s18
	v_add_co_u32_e32 v4, vcc, s11, v4
	v_addc_co_u32_e32 v5, vcc, v1, v5, vcc
	global_load_dword v1, v[4:5], off
	s_waitcnt vmcnt(0)
	v_mul_f32_e32 v1, s19, v1
.LBB136_5:
	s_mov_b64 s[8:9], exec
	s_or_b64 exec, exec, s[16:17]
	s_and_b64 vcc, exec, s[14:15]
	s_cbranch_vccnz .LBB136_8
	s_branch .LBB136_17
.LBB136_6:
	s_mov_b64 s[8:9], 0
                                        ; implicit-def: $vgpr1
                                        ; implicit-def: $vgpr2_vgpr3
	s_cbranch_execnz .LBB136_8
	s_branch .LBB136_17
.LBB136_7:
	s_or_b64 exec, exec, s[16:17]
	s_and_b64 vcc, exec, s[14:15]
	s_cbranch_vccz .LBB136_17
.LBB136_8:
	v_cmp_gt_i32_e32 vcc, s12, v0
                                        ; implicit-def: $vgpr1
                                        ; implicit-def: $vgpr2_vgpr3
	s_and_saveexec_b64 s[0:1], vcc
	s_cbranch_execz .LBB136_16
; %bb.9:
	v_ashrrev_i32_e32 v1, 31, v0
	s_cmp_lt_i32 s6, 0
	v_mov_b32_e32 v4, 0
	s_cbranch_scc1 .LBB136_12
; %bb.10:
	s_load_dwordx2 s[14:15], s[4:5], 0x48
	s_load_dword s16, s[4:5], 0x58
	s_ashr_i32 s13, s12, 31
	s_mul_hi_u32 s4, s12, s10
	s_mul_i32 s5, s13, s10
	s_add_i32 s4, s4, s5
	s_mul_i32 s10, s12, s10
	s_waitcnt lgkmcnt(0)
	s_mul_i32 s4, s4, s16
	s_mul_hi_u32 s5, s10, s16
	s_add_i32 s5, s5, s4
	s_mul_i32 s4, s10, s16
	s_lshl_b64 s[4:5], s[4:5], 2
	s_add_u32 s4, s14, s4
	s_addc_u32 s5, s15, s5
	v_lshlrev_b64 v[2:3], 2, v[0:1]
	v_mov_b32_e32 v4, s5
	v_add_co_u32_e32 v2, vcc, s4, v2
	s_lshl_b64 s[4:5], s[12:13], 2
	v_addc_co_u32_e32 v3, vcc, v4, v3, vcc
	s_add_i32 s6, s6, 1
	v_mov_b32_e32 v4, 0
	v_mov_b32_e32 v5, s5
.LBB136_11:                             ; =>This Inner Loop Header: Depth=1
	global_load_dword v6, v[2:3], off
	s_add_i32 s6, s6, -1
	v_add_co_u32_e32 v2, vcc, s4, v2
	v_addc_co_u32_e32 v3, vcc, v3, v5, vcc
	s_cmp_eq_u32 s6, 0
	s_waitcnt vmcnt(0)
	v_add_f32_e32 v4, v4, v6
	s_cbranch_scc0 .LBB136_11
.LBB136_12:
	v_cmp_eq_f32_e64 s[4:5], s19, 0
	s_and_b64 vcc, exec, s[4:5]
	v_mul_lo_u32 v5, v1, s2
	v_mul_lo_u32 v6, v0, s3
	s_cbranch_vccz .LBB136_20
; %bb.13:
	v_mad_u64_u32 v[2:3], s[4:5], v0, s2, 0
	v_mul_f32_e32 v1, s7, v4
	v_add3_u32 v3, v3, v6, v5
	s_cbranch_execnz .LBB136_15
.LBB136_14:
	v_mad_u64_u32 v[2:3], s[2:3], v0, s2, 0
	v_add3_u32 v3, v3, v6, v5
	v_lshlrev_b64 v[0:1], 2, v[2:3]
	v_mov_b32_e32 v5, s18
	v_add_co_u32_e32 v0, vcc, s11, v0
	v_addc_co_u32_e32 v1, vcc, v5, v1, vcc
	global_load_dword v0, v[0:1], off
	s_waitcnt vmcnt(0)
	v_mul_f32_e32 v1, s19, v0
	v_fmac_f32_e32 v1, s7, v4
.LBB136_15:
	s_or_b64 s[8:9], s[8:9], exec
.LBB136_16:
	s_or_b64 exec, exec, s[0:1]
.LBB136_17:
	s_and_saveexec_b64 s[0:1], s[8:9]
	s_cbranch_execz .LBB136_19
; %bb.18:
	v_lshlrev_b64 v[2:3], 2, v[2:3]
	v_mov_b32_e32 v0, s18
	v_add_co_u32_e32 v2, vcc, s11, v2
	v_addc_co_u32_e32 v3, vcc, v0, v3, vcc
	global_store_dword v[2:3], v1, off
.LBB136_19:
	s_endpgm
.LBB136_20:
                                        ; implicit-def: $vgpr1
                                        ; implicit-def: $vgpr2_vgpr3
	s_branch .LBB136_14
	.section	.rodata,"a",@progbits
	.p2align	6, 0x0
	.amdhsa_kernel _ZL36rocblas_hemvn_kernel_upper_block_sumILi64ElPKfPKPffEviT1_lS5_lT2_lT0_lPT3_i
		.amdhsa_group_segment_fixed_size 0
		.amdhsa_private_segment_fixed_size 0
		.amdhsa_kernarg_size 344
		.amdhsa_user_sgpr_count 6
		.amdhsa_user_sgpr_private_segment_buffer 1
		.amdhsa_user_sgpr_dispatch_ptr 0
		.amdhsa_user_sgpr_queue_ptr 0
		.amdhsa_user_sgpr_kernarg_segment_ptr 1
		.amdhsa_user_sgpr_dispatch_id 0
		.amdhsa_user_sgpr_flat_scratch_init 0
		.amdhsa_user_sgpr_kernarg_preload_length 0
		.amdhsa_user_sgpr_kernarg_preload_offset 0
		.amdhsa_user_sgpr_private_segment_size 0
		.amdhsa_uses_dynamic_stack 0
		.amdhsa_system_sgpr_private_segment_wavefront_offset 0
		.amdhsa_system_sgpr_workgroup_id_x 1
		.amdhsa_system_sgpr_workgroup_id_y 0
		.amdhsa_system_sgpr_workgroup_id_z 1
		.amdhsa_system_sgpr_workgroup_info 0
		.amdhsa_system_vgpr_workitem_id 0
		.amdhsa_next_free_vgpr 7
		.amdhsa_next_free_sgpr 20
		.amdhsa_accum_offset 8
		.amdhsa_reserve_vcc 1
		.amdhsa_reserve_flat_scratch 0
		.amdhsa_float_round_mode_32 0
		.amdhsa_float_round_mode_16_64 0
		.amdhsa_float_denorm_mode_32 3
		.amdhsa_float_denorm_mode_16_64 3
		.amdhsa_dx10_clamp 1
		.amdhsa_ieee_mode 1
		.amdhsa_fp16_overflow 0
		.amdhsa_tg_split 0
		.amdhsa_exception_fp_ieee_invalid_op 0
		.amdhsa_exception_fp_denorm_src 0
		.amdhsa_exception_fp_ieee_div_zero 0
		.amdhsa_exception_fp_ieee_overflow 0
		.amdhsa_exception_fp_ieee_underflow 0
		.amdhsa_exception_fp_ieee_inexact 0
		.amdhsa_exception_int_div_zero 0
	.end_amdhsa_kernel
	.section	.text._ZL36rocblas_hemvn_kernel_upper_block_sumILi64ElPKfPKPffEviT1_lS5_lT2_lT0_lPT3_i,"axG",@progbits,_ZL36rocblas_hemvn_kernel_upper_block_sumILi64ElPKfPKPffEviT1_lS5_lT2_lT0_lPT3_i,comdat
.Lfunc_end136:
	.size	_ZL36rocblas_hemvn_kernel_upper_block_sumILi64ElPKfPKPffEviT1_lS5_lT2_lT0_lPT3_i, .Lfunc_end136-_ZL36rocblas_hemvn_kernel_upper_block_sumILi64ElPKfPKPffEviT1_lS5_lT2_lT0_lPT3_i
                                        ; -- End function
	.section	.AMDGPU.csdata,"",@progbits
; Kernel info:
; codeLenInByte = 704
; NumSgprs: 24
; NumVgprs: 7
; NumAgprs: 0
; TotalNumVgprs: 7
; ScratchSize: 0
; MemoryBound: 0
; FloatMode: 240
; IeeeMode: 1
; LDSByteSize: 0 bytes/workgroup (compile time only)
; SGPRBlocks: 2
; VGPRBlocks: 0
; NumSGPRsForWavesPerEU: 24
; NumVGPRsForWavesPerEU: 7
; AccumOffset: 8
; Occupancy: 8
; WaveLimiterHint : 1
; COMPUTE_PGM_RSRC2:SCRATCH_EN: 0
; COMPUTE_PGM_RSRC2:USER_SGPR: 6
; COMPUTE_PGM_RSRC2:TRAP_HANDLER: 0
; COMPUTE_PGM_RSRC2:TGID_X_EN: 1
; COMPUTE_PGM_RSRC2:TGID_Y_EN: 0
; COMPUTE_PGM_RSRC2:TGID_Z_EN: 1
; COMPUTE_PGM_RSRC2:TIDIG_COMP_CNT: 0
; COMPUTE_PGM_RSRC3_GFX90A:ACCUM_OFFSET: 1
; COMPUTE_PGM_RSRC3_GFX90A:TG_SPLIT: 0
	.section	.text._ZL26rocblas_hemvn_kernel_upperILb0ELi64ELi4ELi33ELi32ELi16EiPKfPKS1_PfEviT6_lT7_lT5_lS6_lS7_lS5_lT8_i,"axG",@progbits,_ZL26rocblas_hemvn_kernel_upperILb0ELi64ELi4ELi33ELi32ELi16EiPKfPKS1_PfEviT6_lT7_lT5_lS6_lS7_lS5_lT8_i,comdat
	.globl	_ZL26rocblas_hemvn_kernel_upperILb0ELi64ELi4ELi33ELi32ELi16EiPKfPKS1_PfEviT6_lT7_lT5_lS6_lS7_lS5_lT8_i ; -- Begin function _ZL26rocblas_hemvn_kernel_upperILb0ELi64ELi4ELi33ELi32ELi16EiPKfPKS1_PfEviT6_lT7_lT5_lS6_lS7_lS5_lT8_i
	.p2align	8
	.type	_ZL26rocblas_hemvn_kernel_upperILb0ELi64ELi4ELi33ELi32ELi16EiPKfPKS1_PfEviT6_lT7_lT5_lS6_lS7_lS5_lT8_i,@function
_ZL26rocblas_hemvn_kernel_upperILb0ELi64ELi4ELi33ELi32ELi16EiPKfPKS1_PfEviT6_lT7_lT5_lS6_lS7_lS5_lT8_i: ; @_ZL26rocblas_hemvn_kernel_upperILb0ELi64ELi4ELi33ELi32ELi16EiPKfPKS1_PfEviT6_lT7_lT5_lS6_lS7_lS5_lT8_i
; %bb.0:
	s_load_dwordx2 s[0:1], s[4:5], 0x84
	s_add_u32 s2, s4, 0x78
	s_mov_b32 s24, s7
	s_addc_u32 s3, s5, 0
	s_waitcnt lgkmcnt(0)
	s_lshr_b32 s7, s0, 16
	s_and_b32 s0, s0, 0xffff
	s_and_b32 s1, s1, 0xffff
	s_mul_i32 s0, s7, s0
	s_mul_i32 s0, s0, s1
	s_cmpk_lg_i32 s0, 0x100
	s_cbranch_scc1 .LBB137_130
; %bb.1:
	s_load_dwordx8 s[8:15], s[4:5], 0x8
	s_load_dwordx4 s[16:19], s[4:5], 0x58
	s_waitcnt lgkmcnt(0)
	s_mul_i32 s1, s24, s11
	s_mul_hi_u32 s7, s24, s10
	s_mul_i32 s0, s24, s10
	s_add_i32 s1, s7, s1
	s_lshl_b64 s[0:1], s[0:1], 2
	s_add_u32 s0, s8, s0
	s_addc_u32 s1, s9, s1
	s_mul_i32 s10, s24, s19
	s_load_dword s7, s[0:1], 0x0
	s_mul_hi_u32 s0, s24, s18
	s_add_i32 s1, s0, s10
	s_mul_i32 s0, s24, s18
	s_lshl_b64 s[0:1], s[0:1], 2
	s_add_u32 s0, s16, s0
	s_addc_u32 s1, s17, s1
	s_load_dword s8, s[0:1], 0x0
	s_waitcnt lgkmcnt(0)
	v_cmp_eq_f32_e64 s[0:1], s7, 0
	v_cmp_eq_f32_e64 s[8:9], s8, 1.0
	s_and_b64 s[8:9], s[0:1], s[8:9]
	s_and_b64 vcc, exec, s[8:9]
	s_cbranch_vccnz .LBB137_130
; %bb.2:
	s_mov_b32 s25, 0
	v_cmp_neq_f32_e64 s[16:17], s7, 0
	s_mov_b64 s[10:11], 0
	s_and_b64 vcc, exec, s[0:1]
	s_mov_b64 s[8:9], 0
	s_cbranch_vccnz .LBB137_4
; %bb.3:
	s_lshl_b64 s[0:1], s[24:25], 3
	s_add_u32 s0, s12, s0
	s_addc_u32 s1, s13, s1
	s_load_dwordx2 s[0:1], s[0:1], 0x0
	s_lshl_b64 s[8:9], s[14:15], 2
	s_waitcnt lgkmcnt(0)
	s_add_u32 s8, s0, s8
	s_addc_u32 s9, s1, s9
.LBB137_4:
	v_cndmask_b32_e64 v1, 0, 1, s[16:17]
	v_cmp_ne_u32_e64 s[0:1], 1, v1
	s_andn2_b64 vcc, exec, s[16:17]
	s_cbranch_vccnz .LBB137_6
; %bb.5:
	s_load_dwordx4 s[12:15], s[4:5], 0x38
	s_lshl_b64 s[10:11], s[24:25], 3
	s_waitcnt lgkmcnt(0)
	s_add_u32 s10, s12, s10
	s_addc_u32 s11, s13, s11
	s_load_dwordx2 s[10:11], s[10:11], 0x0
	s_lshl_b64 s[12:13], s[14:15], 2
	s_waitcnt lgkmcnt(0)
	s_add_u32 s10, s10, s12
	s_addc_u32 s11, s11, s13
.LBB137_6:
	s_and_b64 vcc, exec, s[0:1]
	s_cbranch_vccnz .LBB137_130
; %bb.7:
	s_load_dword s7, s[2:3], 0x0
	s_load_dword s40, s[4:5], 0x0
	s_load_dwordx2 s[26:27], s[4:5], 0x68
	s_load_dword s25, s[4:5], 0x48
	v_and_b32_e32 v6, 0x3ff, v0
	s_lshl_b32 s20, s6, 6
	s_waitcnt lgkmcnt(0)
	s_ashr_i32 s41, s40, 31
	s_lshr_b32 s1, s41, 26
	v_add_u32_e32 v4, s20, v6
	v_bfe_u32 v51, v0, 10, 10
	s_add_i32 s1, s40, s1
	v_mul_lo_u32 v0, v4, s25
	s_andn2_b32 s1, s1, 63
	v_ashrrev_i32_e32 v1, 31, v0
	s_add_i32 s0, s7, -1
	s_sub_i32 s33, s40, s1
	v_lshlrev_b64 v[0:1], 2, v[0:1]
	s_cmp_eq_u32 s6, s0
	v_mov_b32_e32 v2, s11
	v_add_co_u32_e32 v12, vcc, s10, v0
	s_cselect_b32 s16, s33, 0
	v_addc_co_u32_e32 v13, vcc, v2, v1, vcc
	v_cmp_eq_u32_e64 s[0:1], 0, v51
	s_and_saveexec_b64 s[2:3], s[0:1]
	s_cbranch_execz .LBB137_11
; %bb.8:
	s_cmp_eq_u32 s16, 0
	s_cselect_b64 s[10:11], -1, 0
	v_cmp_gt_i32_e32 vcc, s16, v6
	s_or_b64 s[12:13], s[10:11], vcc
	v_mov_b32_e32 v0, 0
	s_and_saveexec_b64 s[10:11], s[12:13]
	s_cbranch_execz .LBB137_10
; %bb.9:
	flat_load_dword v0, v[12:13]
.LBB137_10:
	s_or_b64 exec, exec, s[10:11]
	v_lshlrev_b32_e32 v1, 2, v6
	s_waitcnt vmcnt(0) lgkmcnt(0)
	ds_write_b32 v1, v0 offset:4544
.LBB137_11:
	s_or_b64 exec, exec, s[2:3]
	s_load_dword s22, s[4:5], 0x28
	s_ashr_i32 s21, s20, 31
	v_lshl_add_u32 v54, v51, 6, v6
	s_lshl_b64 s[2:3], s[20:21], 2
	v_and_b32_e32 v0, 31, v6
	v_lshrrev_b32_e32 v1, 5, v54
	s_add_u32 s4, s8, s2
	s_addc_u32 s5, s9, s3
	s_waitcnt lgkmcnt(0)
	v_mad_u64_u32 v[8:9], s[2:3], v1, s22, v[0:1]
	s_mul_i32 s2, s20, s22
	s_ashr_i32 s3, s2, 31
	s_lshl_b64 s[2:3], s[2:3], 2
	s_add_u32 s2, s2, s4
	v_ashrrev_i32_e32 v9, 31, v8
	s_addc_u32 s3, s3, s5
	v_lshlrev_b64 v[10:11], 2, v[8:9]
	s_cmp_eq_u32 s16, 0
	v_mov_b32_e32 v3, s3
	v_add_co_u32_e32 v2, vcc, s2, v10
	s_cselect_b64 s[18:19], -1, 0
	s_cmp_lg_u32 s16, 0
	v_addc_co_u32_e32 v3, vcc, v3, v11, vcc
	s_cselect_b64 s[34:35], -1, 0
	s_and_b64 vcc, exec, s[34:35]
	v_cmp_gt_i32_e64 s[2:3], s16, v0
	v_lshlrev_b32_e32 v5, 2, v0
	s_cbranch_vccz .LBB137_21
; %bb.12:
	v_sub_co_u32_e32 v7, vcc, v2, v5
	s_ashr_i32 s17, s16, 31
	v_subbrev_co_u32_e32 v9, vcc, 0, v3, vcc
	s_lshl_b64 s[4:5], s[16:17], 2
	v_mov_b32_e32 v14, s5
	v_add_co_u32_e32 v7, vcc, s4, v7
	v_addc_co_u32_e32 v9, vcc, v9, v14, vcc
	v_add_co_u32_e32 v7, vcc, -4, v7
	v_addc_co_u32_e32 v9, vcc, -1, v9, vcc
	v_cndmask_b32_e64 v15, v9, v3, s[2:3]
	v_cndmask_b32_e64 v14, v7, v2, s[2:3]
	v_cmp_gt_i32_e32 vcc, s16, v1
	v_mov_b32_e32 v9, 0
	v_mov_b32_e32 v16, 0
	s_and_saveexec_b64 s[8:9], vcc
	s_cbranch_execz .LBB137_14
; %bb.13:
	flat_load_dword v16, v[14:15]
.LBB137_14:
	s_or_b64 exec, exec, s[8:9]
	v_mul_u32_u24_e32 v7, 33, v1
	v_add_lshl_u32 v7, v7, v0, 2
	s_waitcnt vmcnt(0) lgkmcnt(0)
	ds_write_b32 v7, v16
	v_add_u32_e32 v16, 8, v1
	v_cmp_gt_i32_e32 vcc, s16, v16
	s_and_saveexec_b64 s[8:9], vcc
	s_cbranch_execz .LBB137_16
; %bb.15:
	s_lshl_b32 s10, s22, 3
	s_ashr_i32 s11, s10, 31
	s_lshl_b64 s[10:11], s[10:11], 2
	v_mov_b32_e32 v9, s11
	v_add_co_u32_e32 v16, vcc, s10, v14
	v_addc_co_u32_e32 v17, vcc, v15, v9, vcc
	flat_load_dword v9, v[16:17]
.LBB137_16:
	s_or_b64 exec, exec, s[8:9]
	s_waitcnt vmcnt(0) lgkmcnt(0)
	ds_write_b32 v7, v9 offset:1056
	v_add_u32_e32 v9, 16, v1
	v_cmp_gt_i32_e32 vcc, s16, v9
	v_mov_b32_e32 v9, 0
	v_mov_b32_e32 v16, 0
	s_and_saveexec_b64 s[8:9], vcc
	s_cbranch_execz .LBB137_18
; %bb.17:
	s_lshl_b32 s10, s22, 4
	s_ashr_i32 s11, s10, 31
	s_lshl_b64 s[10:11], s[10:11], 2
	v_mov_b32_e32 v17, s11
	v_add_co_u32_e32 v16, vcc, s10, v14
	v_addc_co_u32_e32 v17, vcc, v15, v17, vcc
	flat_load_dword v16, v[16:17]
.LBB137_18:
	s_or_b64 exec, exec, s[8:9]
	s_waitcnt vmcnt(0) lgkmcnt(0)
	ds_write_b32 v7, v16 offset:2112
	v_add_u32_e32 v16, 24, v1
	v_cmp_gt_i32_e32 vcc, s16, v16
	s_and_saveexec_b64 s[8:9], vcc
	s_cbranch_execz .LBB137_20
; %bb.19:
	s_mul_i32 s10, s22, 24
	s_ashr_i32 s11, s10, 31
	s_lshl_b64 s[10:11], s[10:11], 2
	v_mov_b32_e32 v9, s11
	v_add_co_u32_e32 v16, vcc, s10, v14
	v_addc_co_u32_e32 v17, vcc, v15, v9, vcc
	flat_load_dword v9, v[16:17]
.LBB137_20:
	s_or_b64 exec, exec, s[8:9]
	s_waitcnt vmcnt(0) lgkmcnt(0)
	ds_write_b32 v7, v9 offset:3168
	v_add_co_u32_e32 v7, vcc, v14, v5
	v_addc_co_u32_e32 v9, vcc, 0, v15, vcc
	v_mov_b32_e32 v14, s5
	v_subrev_co_u32_e32 v7, vcc, s4, v7
	v_subb_co_u32_e32 v9, vcc, v9, v14, vcc
	v_add_co_u32_e32 v7, vcc, 4, v7
	v_addc_co_u32_e32 v9, vcc, 0, v9, vcc
	v_cndmask_b32_e64 v15, v9, v3, s[2:3]
	v_cndmask_b32_e64 v14, v7, v2, s[2:3]
	v_mul_u32_u24_e32 v19, 33, v1
	s_branch .LBB137_23
.LBB137_21:
                                        ; implicit-def: $vgpr14_vgpr15
	v_mul_u32_u24_e32 v19, 33, v1
	s_cbranch_execz .LBB137_23
; %bb.22:
	flat_load_dword v7, v[2:3]
	s_lshl_b32 s2, s22, 3
	s_ashr_i32 s3, s2, 31
	s_lshl_b64 s[2:3], s[2:3], 2
	v_add_lshl_u32 v9, v19, v0, 2
	v_mov_b32_e32 v15, s3
	v_add_co_u32_e32 v14, vcc, s2, v2
	v_addc_co_u32_e32 v15, vcc, v3, v15, vcc
	s_ashr_i32 s23, s22, 31
	s_lshl_b64 s[2:3], s[22:23], 5
	v_mov_b32_e32 v16, s3
	s_waitcnt vmcnt(0) lgkmcnt(0)
	ds_write_b32 v9, v7
	flat_load_dword v7, v[14:15]
	v_add_co_u32_e32 v14, vcc, s2, v14
	v_addc_co_u32_e32 v15, vcc, v15, v16, vcc
	s_waitcnt vmcnt(0) lgkmcnt(0)
	ds_write_b32 v9, v7 offset:1056
	flat_load_dword v7, v[14:15]
	v_add_co_u32_e32 v14, vcc, s2, v14
	v_addc_co_u32_e32 v15, vcc, v15, v16, vcc
	s_waitcnt vmcnt(0) lgkmcnt(0)
	ds_write_b32 v9, v7 offset:2112
	flat_load_dword v7, v[14:15]
	v_pk_mov_b32 v[14:15], v[2:3], v[2:3] op_sel:[0,1]
	s_waitcnt vmcnt(0) lgkmcnt(0)
	ds_write_b32 v9, v7 offset:3168
.LBB137_23:
	v_lshlrev_b32_e32 v7, 2, v1
	v_mul_u32_u24_e32 v9, 33, v0
	v_cmp_gt_u32_e64 s[4:5], v7, v0
	v_add_lshl_u32 v24, v7, v9, 2
	s_waitcnt lgkmcnt(0)
	s_barrier
	s_and_saveexec_b64 s[2:3], s[4:5]
	s_cbranch_execz .LBB137_25
; %bb.24:
	v_mul_u32_u24_e32 v2, 0x84, v1
	v_add_lshl_u32 v2, v2, v0, 2
	ds_read_b32 v2, v2
	s_waitcnt lgkmcnt(0)
	ds_write_b32 v24, v2
.LBB137_25:
	s_or_b64 exec, exec, s[2:3]
	v_cmp_ge_u32_e64 s[14:15], v7, v0
	s_and_saveexec_b64 s[2:3], s[14:15]
	s_cbranch_execz .LBB137_27
; %bb.26:
	v_or_b32_e32 v2, 1, v7
	v_mul_u32_u24_e32 v2, 33, v2
	v_add_lshl_u32 v2, v2, v0, 2
	ds_read_b32 v2, v2
	s_waitcnt lgkmcnt(0)
	ds_write_b32 v24, v2 offset:4
.LBB137_27:
	s_or_b64 exec, exec, s[2:3]
	v_or_b32_e32 v2, 2, v7
	v_cmp_gt_u32_e64 s[8:9], v2, v0
	s_and_saveexec_b64 s[2:3], s[8:9]
	s_cbranch_execz .LBB137_29
; %bb.28:
	v_mul_u32_u24_e32 v2, 33, v2
	v_add_lshl_u32 v2, v2, v0, 2
	ds_read_b32 v2, v2
	s_waitcnt lgkmcnt(0)
	ds_write_b32 v24, v2 offset:8
.LBB137_29:
	s_or_b64 exec, exec, s[2:3]
	v_or_b32_e32 v2, 3, v7
	v_cmp_gt_u32_e64 s[10:11], v2, v0
	v_mad_u32_u24 v2, v2, 33, v0
	v_lshlrev_b32_e32 v21, 2, v2
	s_and_saveexec_b64 s[2:3], s[10:11]
	s_cbranch_execz .LBB137_31
; %bb.30:
	ds_read_b32 v2, v21
	s_waitcnt lgkmcnt(0)
	ds_write_b32 v24, v2 offset:12
.LBB137_31:
	s_or_b64 exec, exec, s[2:3]
	v_mul_u32_u24_e32 v2, 0x84, v1
	v_add_u32_e32 v23, 0xfffffef8, v21
	s_waitcnt lgkmcnt(0)
	s_barrier
	v_add_lshl_u32 v22, v2, v0, 2
	v_lshlrev_b32_e32 v25, 2, v7
	ds_read2_b32 v[2:3], v23 offset1:33
	ds_read_b32 v16, v22
	ds_read_b128 v[26:29], v25 offset:4544
	ds_read_b32 v31, v21
	v_add_lshl_u32 v20, v1, v9, 2
	s_waitcnt lgkmcnt(3)
	v_mov_b32_e32 v17, v2
	v_mov_b32_e32 v30, v3
	s_waitcnt lgkmcnt(1)
	v_pk_mul_f32 v[16:17], v[16:17], v[26:27]
	v_add_f32_e32 v2, 0, v16
	v_add_f32_e32 v16, v2, v17
	s_waitcnt lgkmcnt(0)
	v_pk_mul_f32 v[2:3], v[30:31], v[28:29]
	v_add_f32_e32 v2, v16, v2
	v_add_f32_e32 v2, v2, v3
	v_cmp_gt_u32_e64 s[2:3], 32, v54
	v_mov_b32_e32 v70, 0
	v_lshlrev_b32_e32 v18, 2, v9
	s_barrier
	ds_write_b32 v20, v2
	s_waitcnt lgkmcnt(0)
	s_barrier
	s_and_saveexec_b64 s[12:13], s[2:3]
	s_cbranch_execz .LBB137_33
; %bb.32:
	ds_read2_b32 v[2:3], v18 offset1:1
	ds_read2_b32 v[16:17], v18 offset0:2 offset1:3
	ds_read2_b32 v[26:27], v18 offset0:4 offset1:5
	;; [unrolled: 1-line block ×3, first 2 shown]
	s_waitcnt lgkmcnt(3)
	v_add_f32_e32 v2, v2, v3
	s_waitcnt lgkmcnt(2)
	v_add_f32_e32 v2, v2, v16
	v_add_f32_e32 v2, v2, v17
	s_waitcnt lgkmcnt(1)
	v_add_f32_e32 v2, v2, v26
	;; [unrolled: 3-line block ×3, first 2 shown]
	v_add_f32_e32 v70, v2, v29
.LBB137_33:
	s_or_b64 exec, exec, s[12:13]
	s_lshl_b32 s30, s22, 5
	s_ashr_i32 s31, s30, 31
	s_lshl_b64 s[28:29], s[30:31], 2
	v_mov_b32_e32 v2, s29
	v_add_co_u32_e32 v14, vcc, s28, v14
	v_addc_co_u32_e32 v15, vcc, v15, v2, vcc
	v_add_co_u32_e32 v2, vcc, 0x80, v14
	v_addc_co_u32_e32 v3, vcc, 0, v15, vcc
	s_and_b64 vcc, exec, s[34:35]
	s_barrier
	s_cbranch_vccz .LBB137_43
; %bb.34:
	v_or_b32_e32 v16, 32, v0
	v_lshlrev_b32_e32 v17, 2, v16
	v_sub_co_u32_e32 v17, vcc, v2, v17
	s_ashr_i32 s17, s16, 31
	v_subbrev_co_u32_e32 v26, vcc, 0, v3, vcc
	s_lshl_b64 s[36:37], s[16:17], 2
	v_mov_b32_e32 v28, s37
	v_add_co_u32_e32 v17, vcc, s36, v17
	v_addc_co_u32_e32 v26, vcc, v26, v28, vcc
	v_add_co_u32_e32 v28, vcc, -4, v17
	v_addc_co_u32_e32 v17, vcc, -1, v26, vcc
	v_cmp_gt_i32_e64 s[12:13], s16, v16
	s_sub_i32 s17, s16, 32
	v_mov_b32_e32 v27, 0
	v_cndmask_b32_e64 v17, v17, v3, s[12:13]
	v_cndmask_b32_e64 v16, v28, v2, s[12:13]
	v_cmp_gt_i32_e32 vcc, s17, v1
	v_mov_b32_e32 v28, 0
	s_and_saveexec_b64 s[38:39], vcc
	s_cbranch_execz .LBB137_36
; %bb.35:
	flat_load_dword v28, v[16:17]
.LBB137_36:
	s_or_b64 exec, exec, s[38:39]
	v_add_lshl_u32 v26, v19, v0, 2
	s_waitcnt vmcnt(0) lgkmcnt(0)
	ds_write_b32 v26, v28
	v_add_u32_e32 v28, 8, v1
	v_cmp_gt_i32_e32 vcc, s17, v28
	s_and_saveexec_b64 s[38:39], vcc
	s_cbranch_execz .LBB137_38
; %bb.37:
	s_lshl_b32 s42, s22, 3
	s_ashr_i32 s43, s42, 31
	s_lshl_b64 s[42:43], s[42:43], 2
	v_mov_b32_e32 v27, s43
	v_add_co_u32_e32 v28, vcc, s42, v16
	v_addc_co_u32_e32 v29, vcc, v17, v27, vcc
	flat_load_dword v27, v[28:29]
.LBB137_38:
	s_or_b64 exec, exec, s[38:39]
	s_waitcnt vmcnt(0) lgkmcnt(0)
	ds_write_b32 v26, v27 offset:1056
	v_add_u32_e32 v27, 16, v1
	v_cmp_gt_i32_e32 vcc, s17, v27
	v_mov_b32_e32 v27, 0
	v_mov_b32_e32 v28, 0
	s_and_saveexec_b64 s[38:39], vcc
	s_cbranch_execz .LBB137_40
; %bb.39:
	s_lshl_b32 s42, s22, 4
	s_ashr_i32 s43, s42, 31
	s_lshl_b64 s[42:43], s[42:43], 2
	v_mov_b32_e32 v29, s43
	v_add_co_u32_e32 v28, vcc, s42, v16
	v_addc_co_u32_e32 v29, vcc, v17, v29, vcc
	flat_load_dword v28, v[28:29]
.LBB137_40:
	s_or_b64 exec, exec, s[38:39]
	s_waitcnt vmcnt(0) lgkmcnt(0)
	ds_write_b32 v26, v28 offset:2112
	v_add_u32_e32 v28, 24, v1
	v_cmp_gt_i32_e32 vcc, s17, v28
	s_and_saveexec_b64 s[38:39], vcc
	s_cbranch_execz .LBB137_42
; %bb.41:
	s_mul_i32 s42, s22, 24
	s_ashr_i32 s43, s42, 31
	s_lshl_b64 s[42:43], s[42:43], 2
	v_mov_b32_e32 v27, s43
	v_add_co_u32_e32 v28, vcc, s42, v16
	v_addc_co_u32_e32 v29, vcc, v17, v27, vcc
	flat_load_dword v27, v[28:29]
.LBB137_42:
	s_or_b64 exec, exec, s[38:39]
	v_add_co_u32_e32 v16, vcc, v16, v5
	v_addc_co_u32_e32 v17, vcc, 0, v17, vcc
	s_waitcnt vmcnt(0) lgkmcnt(0)
	ds_write_b32 v26, v27 offset:3168
	v_mov_b32_e32 v26, s37
	v_subrev_co_u32_e32 v16, vcc, s36, v16
	v_subb_co_u32_e32 v17, vcc, v17, v26, vcc
	v_add_co_u32_e32 v16, vcc, 0x84, v16
	v_addc_co_u32_e32 v17, vcc, 0, v17, vcc
	v_cndmask_b32_e64 v17, v17, v3, s[12:13]
	v_cndmask_b32_e64 v16, v16, v2, s[12:13]
	s_branch .LBB137_45
.LBB137_43:
                                        ; implicit-def: $vgpr16_vgpr17
	s_cbranch_execz .LBB137_45
; %bb.44:
	flat_load_dword v16, v[14:15] offset:128
	s_lshl_b32 s12, s22, 3
	s_ashr_i32 s13, s12, 31
	s_lshl_b64 s[12:13], s[12:13], 2
	v_add_lshl_u32 v17, v19, v0, 2
	v_mov_b32_e32 v26, s13
	v_add_co_u32_e32 v14, vcc, s12, v14
	v_addc_co_u32_e32 v15, vcc, v15, v26, vcc
	s_ashr_i32 s23, s22, 31
	s_lshl_b64 s[12:13], s[22:23], 5
	v_mov_b32_e32 v26, s13
	s_waitcnt vmcnt(0) lgkmcnt(0)
	ds_write_b32 v17, v16
	flat_load_dword v16, v[14:15] offset:128
	v_add_co_u32_e32 v14, vcc, s12, v14
	v_addc_co_u32_e32 v15, vcc, v15, v26, vcc
	s_waitcnt vmcnt(0) lgkmcnt(0)
	ds_write_b32 v17, v16 offset:1056
	flat_load_dword v16, v[14:15] offset:128
	v_add_co_u32_e32 v14, vcc, s12, v14
	v_addc_co_u32_e32 v15, vcc, v15, v26, vcc
	s_waitcnt vmcnt(0) lgkmcnt(0)
	ds_write_b32 v17, v16 offset:2112
	flat_load_dword v14, v[14:15] offset:128
	s_waitcnt vmcnt(0) lgkmcnt(0)
	ds_write_b32 v17, v14 offset:3168
	v_pk_mov_b32 v[16:17], v[2:3], v[2:3] op_sel:[0,1]
.LBB137_45:
	s_waitcnt lgkmcnt(0)
	s_barrier
	s_and_saveexec_b64 s[12:13], s[4:5]
	s_cbranch_execnz .LBB137_62
; %bb.46:
	s_or_b64 exec, exec, s[12:13]
	s_and_saveexec_b64 s[4:5], s[14:15]
	s_cbranch_execnz .LBB137_63
.LBB137_47:
	s_or_b64 exec, exec, s[4:5]
	s_and_saveexec_b64 s[4:5], s[8:9]
	s_cbranch_execnz .LBB137_64
.LBB137_48:
	s_or_b64 exec, exec, s[4:5]
	v_add_u32_e32 v25, 0x11c0, v25
	s_and_saveexec_b64 s[4:5], s[10:11]
	s_cbranch_execz .LBB137_50
.LBB137_49:
	ds_read_b32 v2, v21
	s_waitcnt lgkmcnt(0)
	ds_write_b32 v24, v2 offset:12
.LBB137_50:
	s_or_b64 exec, exec, s[4:5]
	s_waitcnt lgkmcnt(0)
	s_barrier
	ds_read_b32 v14, v22
	ds_read_b128 v[26:29], v25 offset:128
	ds_read2_b32 v[2:3], v23 offset1:33
	ds_read_b32 v15, v21
	v_cmp_eq_u32_e64 s[4:5], 1, v1
	s_waitcnt lgkmcnt(0)
	v_fma_f32 v14, v14, v26, 0
	v_fmac_f32_e32 v14, v2, v27
	v_fmac_f32_e32 v14, v3, v28
	;; [unrolled: 1-line block ×3, first 2 shown]
	s_barrier
	ds_write_b32 v20, v14
	s_waitcnt lgkmcnt(0)
	s_barrier
	s_and_saveexec_b64 s[8:9], s[4:5]
	s_cbranch_execz .LBB137_52
; %bb.51:
	ds_read2_b32 v[2:3], v18 offset1:1
	ds_read2_b32 v[14:15], v18 offset0:2 offset1:3
	ds_read2_b32 v[26:27], v18 offset0:4 offset1:5
	;; [unrolled: 1-line block ×3, first 2 shown]
	s_waitcnt lgkmcnt(3)
	v_add_f32_e32 v2, v2, v3
	s_waitcnt lgkmcnt(2)
	v_add_f32_e32 v2, v2, v14
	v_add_f32_e32 v2, v2, v15
	s_waitcnt lgkmcnt(1)
	v_add_f32_e32 v2, v2, v26
	;; [unrolled: 3-line block ×3, first 2 shown]
	v_add_f32_e32 v70, v2, v29
.LBB137_52:
	s_or_b64 exec, exec, s[8:9]
	v_add_co_u32_e32 v2, vcc, 0xffffff80, v16
	v_addc_co_u32_e32 v3, vcc, -1, v17, vcc
	s_and_b64 vcc, exec, s[34:35]
	s_barrier
	s_cbranch_vccz .LBB137_65
; %bb.53:
	v_sub_co_u32_e32 v14, vcc, v2, v5
	s_ashr_i32 s17, s16, 31
	v_subbrev_co_u32_e32 v15, vcc, 0, v3, vcc
	s_lshl_b64 s[10:11], s[16:17], 2
	v_mov_b32_e32 v16, s11
	v_add_co_u32_e32 v14, vcc, s10, v14
	v_addc_co_u32_e32 v15, vcc, v15, v16, vcc
	v_add_co_u32_e32 v14, vcc, -4, v14
	v_addc_co_u32_e32 v15, vcc, -1, v15, vcc
	v_cmp_gt_i32_e32 vcc, s16, v0
	s_sub_i32 s14, s16, 32
	v_cndmask_b32_e32 v15, v15, v3, vcc
	v_cndmask_b32_e32 v14, v14, v2, vcc
	v_cmp_gt_i32_e64 s[8:9], s14, v1
	v_mov_b32_e32 v17, 0
	v_mov_b32_e32 v16, 0
	s_and_saveexec_b64 s[12:13], s[8:9]
	s_cbranch_execz .LBB137_55
; %bb.54:
	flat_load_dword v16, v[14:15]
.LBB137_55:
	s_or_b64 exec, exec, s[12:13]
	v_add_lshl_u32 v26, v19, v0, 2
	s_waitcnt vmcnt(0) lgkmcnt(0)
	ds_write_b32 v26, v16
	v_add_u32_e32 v16, 8, v1
	v_cmp_gt_i32_e64 s[8:9], s14, v16
	s_and_saveexec_b64 s[12:13], s[8:9]
	s_cbranch_execz .LBB137_57
; %bb.56:
	s_lshl_b32 s8, s22, 3
	s_ashr_i32 s9, s8, 31
	s_lshl_b64 s[8:9], s[8:9], 2
	v_mov_b32_e32 v17, s9
	v_add_co_u32_e64 v28, s[8:9], s8, v14
	v_addc_co_u32_e64 v29, s[8:9], v15, v17, s[8:9]
	flat_load_dword v17, v[28:29]
.LBB137_57:
	s_or_b64 exec, exec, s[12:13]
	s_waitcnt vmcnt(0) lgkmcnt(0)
	ds_write_b32 v26, v17 offset:1056
	v_add_u32_e32 v17, 16, v1
	v_cmp_gt_i32_e64 s[8:9], s14, v17
	v_mov_b32_e32 v27, 0
	v_mov_b32_e32 v24, 0
	s_and_saveexec_b64 s[12:13], s[8:9]
	s_cbranch_execz .LBB137_59
; %bb.58:
	s_lshl_b32 s8, s22, 4
	s_ashr_i32 s9, s8, 31
	s_lshl_b64 s[8:9], s[8:9], 2
	v_mov_b32_e32 v24, s9
	v_add_co_u32_e64 v28, s[8:9], s8, v14
	v_addc_co_u32_e64 v29, s[8:9], v15, v24, s[8:9]
	flat_load_dword v24, v[28:29]
.LBB137_59:
	s_or_b64 exec, exec, s[12:13]
	s_waitcnt vmcnt(0) lgkmcnt(0)
	ds_write_b32 v26, v24 offset:2112
	v_add_u32_e32 v24, 24, v1
	v_cmp_gt_i32_e64 s[8:9], s14, v24
	s_and_saveexec_b64 s[12:13], s[8:9]
	s_cbranch_execz .LBB137_61
; %bb.60:
	s_mul_i32 s8, s22, 24
	s_ashr_i32 s9, s8, 31
	s_lshl_b64 s[8:9], s[8:9], 2
	v_mov_b32_e32 v27, s9
	v_add_co_u32_e64 v28, s[8:9], s8, v14
	v_addc_co_u32_e64 v29, s[8:9], v15, v27, s[8:9]
	flat_load_dword v27, v[28:29]
.LBB137_61:
	s_or_b64 exec, exec, s[12:13]
	v_add_co_u32_e64 v5, s[8:9], v14, v5
	v_addc_co_u32_e64 v14, s[8:9], 0, v15, s[8:9]
	v_mov_b32_e32 v15, s11
	v_subrev_co_u32_e64 v5, s[8:9], s10, v5
	v_subb_co_u32_e64 v14, s[8:9], v14, v15, s[8:9]
	v_add_co_u32_e64 v5, s[8:9], 4, v5
	v_addc_co_u32_e64 v14, s[8:9], 0, v14, s[8:9]
	s_waitcnt vmcnt(0) lgkmcnt(0)
	ds_write_b32 v26, v27 offset:3168
	v_cndmask_b32_e32 v53, v14, v3, vcc
	v_cndmask_b32_e32 v52, v5, v2, vcc
	s_branch .LBB137_67
.LBB137_62:
	ds_read_b32 v2, v22
	s_waitcnt lgkmcnt(0)
	ds_write_b32 v24, v2
	s_or_b64 exec, exec, s[12:13]
	s_and_saveexec_b64 s[4:5], s[14:15]
	s_cbranch_execz .LBB137_47
.LBB137_63:
	ds_read_b32 v2, v23
	s_waitcnt lgkmcnt(0)
	ds_write_b32 v24, v2 offset:4
	s_or_b64 exec, exec, s[4:5]
	s_and_saveexec_b64 s[4:5], s[8:9]
	s_cbranch_execz .LBB137_48
.LBB137_64:
	ds_read_b32 v2, v23 offset:132
	s_waitcnt lgkmcnt(0)
	ds_write_b32 v24, v2 offset:8
	s_or_b64 exec, exec, s[4:5]
	v_add_u32_e32 v25, 0x11c0, v25
	s_and_saveexec_b64 s[4:5], s[10:11]
	s_cbranch_execnz .LBB137_49
	s_branch .LBB137_50
.LBB137_65:
                                        ; implicit-def: $vgpr52_vgpr53
                                        ; implicit-def: $vgpr16
                                        ; implicit-def: $vgpr17
                                        ; implicit-def: $vgpr24
	s_cbranch_execz .LBB137_67
; %bb.66:
	flat_load_dword v5, v[2:3]
	s_lshl_b32 s8, s22, 3
	s_ashr_i32 s9, s8, 31
	s_lshl_b64 s[8:9], s[8:9], 2
	v_add_lshl_u32 v0, v19, v0, 2
	v_mov_b32_e32 v15, s9
	v_add_co_u32_e32 v14, vcc, s8, v2
	v_addc_co_u32_e32 v15, vcc, v3, v15, vcc
	s_ashr_i32 s23, s22, 31
	s_lshl_b64 s[8:9], s[22:23], 5
	v_mov_b32_e32 v16, s9
	v_add_u32_e32 v17, 16, v1
	v_add_u32_e32 v24, 24, v1
	v_pk_mov_b32 v[52:53], v[2:3], v[2:3] op_sel:[0,1]
	s_waitcnt vmcnt(0) lgkmcnt(0)
	ds_write_b32 v0, v5
	flat_load_dword v5, v[14:15]
	v_add_co_u32_e32 v14, vcc, s8, v14
	v_addc_co_u32_e32 v15, vcc, v15, v16, vcc
	s_waitcnt vmcnt(0) lgkmcnt(0)
	ds_write_b32 v0, v5 offset:1056
	flat_load_dword v5, v[14:15]
	v_add_co_u32_e32 v14, vcc, s8, v14
	v_addc_co_u32_e32 v15, vcc, v15, v16, vcc
	v_add_u32_e32 v16, 8, v1
	s_waitcnt vmcnt(0) lgkmcnt(0)
	ds_write_b32 v0, v5 offset:2112
	flat_load_dword v5, v[14:15]
	s_waitcnt vmcnt(0) lgkmcnt(0)
	ds_write_b32 v0, v5 offset:3168
.LBB137_67:
	v_add_lshl_u32 v19, v16, v9, 2
	v_lshlrev_b32_e32 v16, 2, v16
	v_add_lshl_u32 v26, v17, v9, 2
	v_lshlrev_b32_e32 v17, 2, v17
	;; [unrolled: 2-line block ×3, first 2 shown]
	s_waitcnt lgkmcnt(0)
	s_barrier
	ds_read_b32 v27, v7 offset:4544
	ds_read_b32 v5, v22
	ds_read_b32 v22, v20
	ds_read_b128 v[0:3], v25 offset:128
	ds_read2_b32 v[14:15], v23 offset1:33
	ds_read_b32 v19, v19
	ds_read_b32 v16, v16 offset:4544
	ds_read_b32 v23, v26
	ds_read_b32 v17, v17 offset:4544
	;; [unrolled: 2-line block ×3, first 2 shown]
	ds_read_b32 v7, v21
	s_waitcnt lgkmcnt(9)
	v_fma_f32 v21, v22, v27, 0
	s_waitcnt lgkmcnt(5)
	v_fmac_f32_e32 v21, v19, v16
	s_waitcnt lgkmcnt(3)
	v_fmac_f32_e32 v21, v23, v17
	;; [unrolled: 2-line block ×3, first 2 shown]
	s_waitcnt lgkmcnt(0)
	s_barrier
	ds_write_b32 v20, v21
	s_waitcnt lgkmcnt(0)
	s_barrier
	s_and_saveexec_b64 s[8:9], s[4:5]
	s_cbranch_execz .LBB137_69
; %bb.68:
	ds_read2_b32 v[16:17], v18 offset1:1
	ds_read2_b32 v[22:23], v18 offset0:2 offset1:3
	ds_read2_b32 v[24:25], v18 offset0:4 offset1:5
	;; [unrolled: 1-line block ×3, first 2 shown]
	s_waitcnt lgkmcnt(3)
	v_add_f32_e32 v9, v70, v16
	v_add_f32_e32 v9, v9, v17
	s_waitcnt lgkmcnt(2)
	v_add_f32_e32 v9, v9, v22
	v_add_f32_e32 v9, v9, v23
	;; [unrolled: 3-line block ×4, first 2 shown]
.LBB137_69:
	s_or_b64 exec, exec, s[8:9]
	v_fma_f32 v0, v5, v0, 0
	v_fmac_f32_e32 v0, v14, v1
	v_fmac_f32_e32 v0, v15, v2
	;; [unrolled: 1-line block ×3, first 2 shown]
	s_barrier
	ds_write_b32 v20, v0
	s_waitcnt lgkmcnt(0)
	s_barrier
	s_and_saveexec_b64 s[4:5], s[2:3]
	s_cbranch_execz .LBB137_71
; %bb.70:
	ds_read2_b32 v[0:1], v18 offset1:1
	ds_read2_b32 v[2:3], v18 offset0:2 offset1:3
	ds_read2_b32 v[14:15], v18 offset0:4 offset1:5
	;; [unrolled: 1-line block ×3, first 2 shown]
	s_waitcnt lgkmcnt(3)
	v_add_f32_e32 v0, v70, v0
	v_add_f32_e32 v0, v0, v1
	s_waitcnt lgkmcnt(2)
	v_add_f32_e32 v0, v0, v2
	v_add_f32_e32 v0, v0, v3
	;; [unrolled: 3-line block ×4, first 2 shown]
.LBB137_71:
	s_or_b64 exec, exec, s[4:5]
	s_mul_hi_u32 s2, s40, s24
	s_mul_i32 s41, s41, s24
	s_add_i32 s2, s2, s41
	s_mul_i32 s4, s40, s24
	s_mul_i32 s2, s2, s7
	s_mul_hi_u32 s3, s4, s7
	s_add_i32 s3, s3, s2
	s_mul_i32 s2, s4, s7
	s_lshl_b64 s[2:3], s[2:3], 2
	s_add_u32 s4, s26, s2
	s_addc_u32 s5, s27, s3
	s_mul_hi_i32 s3, s40, s6
	s_mul_i32 s2, s40, s6
	s_lshl_b64 s[2:3], s[2:3], 2
	s_add_u32 s17, s4, s2
	s_addc_u32 s21, s5, s3
	s_add_i32 s8, s6, 1
	s_cmp_ge_u32 s8, s7
	v_lshlrev_b32_e32 v71, 2, v6
	s_barrier
	s_cbranch_scc1 .LBB137_128
; %bb.72:
	s_mul_i32 s2, s20, s25
	s_ashr_i32 s3, s2, 31
	s_lshl_b64 s[2:3], s[2:3], 2
	v_lshlrev_b32_e32 v72, 2, v51
	v_mov_b32_e32 v0, s3
	v_subrev_co_u32_e32 v73, vcc, s2, v12
	v_subb_co_u32_e32 v74, vcc, v13, v0, vcc
	v_mad_u64_u32 v[18:19], s[2:3], v72, s22, v[6:7]
	v_mov_b32_e32 v1, s29
	v_add_co_u32_e32 v0, vcc, s28, v52
	s_lshl_b32 s27, s25, 6
	s_lshl_b32 s2, s22, 4
	s_ashr_i32 s23, s22, 31
	s_lshl_b32 s14, s22, 1
	s_mul_i32 s34, s22, 3
	s_mul_i32 s25, s25, s8
	v_addc_co_u32_e32 v1, vcc, v53, v1, vcc
	s_add_i32 s26, s7, -2
	s_ashr_i32 s3, s2, 31
	s_ashr_i32 s15, s14, 31
	;; [unrolled: 1-line block ×3, first 2 shown]
	s_lshl_b64 s[4:5], s[22:23], 2
	s_lshl_b32 s10, s25, 6
	s_lshl_b64 s[24:25], s[22:23], 3
	v_sub_co_u32_e32 v75, vcc, 0, v10
	s_add_u32 s11, s24, s28
	v_subb_co_u32_e32 v76, vcc, 0, v11, vcc
	s_addc_u32 s36, s25, s29
	v_mov_b32_e32 v3, s36
	v_add_co_u32_e32 v2, vcc, s11, v52
	v_addc_co_u32_e32 v3, vcc, v53, v3, vcc
	v_ashrrev_i32_e32 v19, 31, v18
	v_mov_b32_e32 v5, s31
	v_add_co_u32_e32 v10, vcc, s30, v18
	v_addc_co_u32_e32 v11, vcc, v5, v19, vcc
	v_lshlrev_b64 v[22:23], 2, v[10:11]
	v_lshlrev_b64 v[12:13], 2, v[18:19]
	s_lshl_b64 s[12:13], s[2:3], 4
	v_mad_i64_i32 v[10:11], s[8:9], s22, 12, v[22:23]
	v_mad_i64_i32 v[8:9], s[8:9], v8, -4, v[12:13]
	v_add_co_u32_e32 v10, vcc, v52, v10
	s_add_u32 s39, s4, s28
	v_addc_co_u32_e32 v5, vcc, v53, v11, vcc
	s_addc_u32 s40, s5, s29
	s_lshl_b64 s[8:9], s[14:15], 2
	v_mov_b32_e32 v7, s40
	v_add_co_u32_e32 v12, vcc, s39, v52
	s_add_u32 s14, s28, s8
	v_addc_co_u32_e32 v7, vcc, v53, v7, vcc
	s_addc_u32 s15, s29, s9
	v_mov_b32_e32 v11, s15
	v_add_co_u32_e32 v14, vcc, s14, v52
	s_lshl_b64 s[14:15], s[34:35], 2
	s_add_u32 s34, s28, s14
	v_addc_co_u32_e32 v11, vcc, v53, v11, vcc
	s_addc_u32 s35, s29, s15
	v_mov_b32_e32 v13, s35
	v_add_co_u32_e32 v16, vcc, s34, v52
	s_lshl_b64 s[34:35], s[2:3], 2
	s_add_u32 s41, s11, s34
	s_addc_u32 s42, s36, s35
	s_add_u32 s30, s30, s2
	s_addc_u32 s31, s31, s3
	;; [unrolled: 2-line block ×3, first 2 shown]
	v_addc_co_u32_e32 v13, vcc, v53, v13, vcc
	s_add_u32 s34, s28, s34
	v_mov_b32_e32 v15, s31
	v_add_co_u32_e32 v18, vcc, s30, v18
	s_addc_u32 s35, s29, s35
	v_addc_co_u32_e32 v19, vcc, v15, v19, vcc
	s_add_u32 s43, s34, s8
	v_lshlrev_b64 v[18:19], 2, v[18:19]
	s_addc_u32 s44, s35, s9
	v_mad_i64_i32 v[18:19], s[30:31], s22, 12, v[18:19]
	s_add_u32 s45, s34, s14
	s_addc_u32 s46, s35, s15
	s_lshl_b64 s[30:31], s[2:3], 3
	s_add_u32 s11, s11, s30
	s_mul_i32 s38, s22, 12
	s_addc_u32 s36, s36, s31
	s_mul_hi_i32 s37, s22, 12
	s_add_u32 s38, s38, s30
	s_addc_u32 s37, s37, s31
	s_add_u32 s28, s30, s28
	s_addc_u32 s29, s31, s29
	s_add_u32 s30, s28, s4
	v_add_co_u32_e32 v18, vcc, v52, v18
	s_addc_u32 s31, s29, s5
	v_addc_co_u32_e32 v15, vcc, v53, v19, vcc
	v_mov_b32_e32 v17, s37
	s_add_u32 s37, s28, s8
	v_add_co_u32_e32 v33, vcc, s38, v22
	s_addc_u32 s38, s29, s9
	s_add_u32 s47, s28, s14
	s_addc_u32 s48, s29, s15
	s_mul_i32 s49, s22, 0xc0
	s_mul_hi_i32 s50, s2, 12
	s_add_u32 s24, s49, s24
	s_addc_u32 s25, s50, s25
	s_add_u32 s22, s22, s2
	v_addc_co_u32_e32 v35, vcc, v17, v23, vcc
	s_addc_u32 s3, s23, s3
	v_mad_u64_u32 v[20:21], s[22:23], s22, 12, v[22:23]
	v_mov_b32_e32 v17, s25
	v_add_co_u32_e32 v43, vcc, s24, v22
	v_mov_b32_e32 v24, v21
	v_addc_co_u32_e32 v45, vcc, v17, v23, vcc
	v_mad_u64_u32 v[24:25], s[22:23], s3, 12, v[24:25]
	v_mov_b32_e32 v17, v24
	v_add_co_u32_e32 v20, vcc, v52, v20
	v_addc_co_u32_e32 v17, vcc, v53, v17, vcc
	v_mad_i64_i32 v[22:23], s[2:3], s2, 12, v[22:23]
	v_mov_b32_e32 v19, s5
	v_add_co_u32_e32 v47, vcc, s4, v22
	v_addc_co_u32_e32 v49, vcc, v23, v19, vcc
	v_mov_b32_e32 v19, s9
	v_add_co_u32_e32 v50, vcc, s8, v22
	v_addc_co_u32_e32 v55, vcc, v23, v19, vcc
	;; [unrolled: 3-line block ×3, first 2 shown]
	v_add_co_u32_e32 v22, vcc, v52, v22
	v_addc_co_u32_e32 v19, vcc, v53, v23, vcc
	v_mov_b32_e32 v21, s42
	v_add_co_u32_e32 v24, vcc, s41, v52
	v_addc_co_u32_e32 v21, vcc, v53, v21, vcc
	v_mov_b32_e32 v23, s40
	;; [unrolled: 3-line block ×6, first 2 shown]
	v_add_co_u32_e32 v34, vcc, s11, v52
	v_addc_co_u32_e32 v31, vcc, v53, v31, vcc
	v_add_co_u32_e32 v36, vcc, v52, v33
	v_addc_co_u32_e32 v33, vcc, v53, v35, vcc
	v_mov_b32_e32 v35, s31
	v_add_co_u32_e32 v38, vcc, s30, v52
	v_addc_co_u32_e32 v35, vcc, v53, v35, vcc
	v_mov_b32_e32 v37, s29
	;; [unrolled: 3-line block ×4, first 2 shown]
	v_add_co_u32_e32 v44, vcc, s47, v52
	v_addc_co_u32_e32 v41, vcc, v53, v41, vcc
	v_add_co_u32_e32 v46, vcc, v52, v43
	v_addc_co_u32_e32 v43, vcc, v53, v45, vcc
	;; [unrolled: 2-line block ×5, first 2 shown]
	s_movk_i32 s4, 0x10c
	v_and_b32_e32 v55, 15, v6
	v_or_b32_e32 v57, 60, v71
	v_cmp_gt_u32_e64 s[2:3], 64, v54
	v_and_b32_e32 v56, 48, v6
	v_mad_u32_u24 v77, v55, s4, v57
	v_lshrrev_b32_e32 v57, 4, v54
	v_and_b32_e32 v54, 0x1fff0, v54
	v_lshlrev_b32_e32 v53, 2, v56
	v_mad_u32_u24 v78, v55, s4, v54
	v_mov_b32_e32 v54, 0x10c0
	v_mad_u32_u24 v53, v55, s4, v53
	v_lshl_add_u32 v79, v51, 4, v54
	s_movk_i32 s4, 0x430
	v_mul_i32_i24_e32 v57, -12, v57
	v_add_u32_e32 v54, s20, v56
	v_add3_u32 v54, v54, v55, 64
	v_add_u32_e32 v80, v78, v57
	v_add_u32_e32 v81, 0x10c0, v71
	;; [unrolled: 1-line block ×3, first 2 shown]
	v_or_b32_e32 v83, 1, v72
	v_or_b32_e32 v84, 2, v72
	v_or_b32_e32 v85, 3, v72
	v_mad_u32_u24 v86, v51, s4, v71
	v_add_u32_e32 v87, 16, v72
	v_add_u32_e32 v88, 17, v72
	;; [unrolled: 1-line block ×12, first 2 shown]
	s_cmp_eq_u32 s26, s6
	s_cselect_b32 s20, s33, 0
	s_and_saveexec_b64 s[4:5], s[0:1]
	s_cbranch_execz .LBB137_76
.LBB137_73:
	s_cmp_eq_u32 s20, 0
	s_cselect_b64 s[8:9], -1, 0
	v_cmp_gt_i32_e32 vcc, s20, v6
	s_or_b64 s[14:15], s[8:9], vcc
	v_mov_b32_e32 v55, 0
	s_and_saveexec_b64 s[8:9], s[14:15]
	s_cbranch_execz .LBB137_75
; %bb.74:
	s_ashr_i32 s11, s10, 31
	s_lshl_b64 s[14:15], s[10:11], 2
	v_mov_b32_e32 v55, s15
	v_add_co_u32_e32 v56, vcc, s14, v73
	v_addc_co_u32_e32 v57, vcc, v74, v55, vcc
	flat_load_dword v55, v[56:57]
.LBB137_75:
	s_or_b64 exec, exec, s[8:9]
	s_waitcnt vmcnt(0) lgkmcnt(0)
	ds_write_b32 v81, v55
.LBB137_76:                             ; =>This Inner Loop Header: Depth=1
	s_or_b64 exec, exec, s[4:5]
	s_cmp_eq_u32 s20, 0
	v_add_co_u32_e32 v56, vcc, v0, v8
	s_cselect_b64 s[14:15], -1, 0
	s_cmp_lg_u32 s20, 0
	v_addc_co_u32_e32 v57, vcc, v1, v9, vcc
	s_cselect_b64 s[8:9], -1, 0
	s_and_b64 vcc, exec, s[8:9]
	s_waitcnt lgkmcnt(0)
	s_barrier
	s_cbranch_vccz .LBB137_124
; %bb.77:                               ;   in Loop: Header=BB137_76 Depth=1
	v_cmp_gt_i32_e32 vcc, s20, v72
	v_mov_b32_e32 v100, 0
	v_mov_b32_e32 v99, 0
	s_and_saveexec_b64 s[4:5], vcc
	s_cbranch_execz .LBB137_79
; %bb.78:                               ;   in Loop: Header=BB137_76 Depth=1
	flat_load_dword v99, v[56:57]
.LBB137_79:                             ;   in Loop: Header=BB137_76 Depth=1
	s_or_b64 exec, exec, s[4:5]
	v_cmp_gt_i32_e32 vcc, s20, v83
	s_and_saveexec_b64 s[4:5], vcc
	s_cbranch_execz .LBB137_81
; %bb.80:                               ;   in Loop: Header=BB137_76 Depth=1
	v_add_co_u32_e32 v58, vcc, v12, v8
	v_addc_co_u32_e32 v59, vcc, v7, v9, vcc
	flat_load_dword v100, v[58:59]
.LBB137_81:                             ;   in Loop: Header=BB137_76 Depth=1
	s_or_b64 exec, exec, s[4:5]
	v_cmp_gt_i32_e32 vcc, s20, v84
	v_mov_b32_e32 v102, 0
	v_mov_b32_e32 v101, 0
	s_and_saveexec_b64 s[4:5], vcc
	s_cbranch_execz .LBB137_83
; %bb.82:                               ;   in Loop: Header=BB137_76 Depth=1
	v_add_co_u32_e32 v58, vcc, v14, v8
	v_addc_co_u32_e32 v59, vcc, v11, v9, vcc
	flat_load_dword v101, v[58:59]
.LBB137_83:                             ;   in Loop: Header=BB137_76 Depth=1
	s_or_b64 exec, exec, s[4:5]
	v_cmp_gt_i32_e32 vcc, s20, v85
	s_and_saveexec_b64 s[4:5], vcc
	s_cbranch_execz .LBB137_85
; %bb.84:                               ;   in Loop: Header=BB137_76 Depth=1
	v_add_co_u32_e32 v58, vcc, v16, v8
	v_addc_co_u32_e32 v59, vcc, v13, v9, vcc
	flat_load_dword v102, v[58:59]
.LBB137_85:                             ;   in Loop: Header=BB137_76 Depth=1
	s_or_b64 exec, exec, s[4:5]
	s_branch .LBB137_87
.LBB137_86:                             ;   in Loop: Header=BB137_76 Depth=1
	s_waitcnt vmcnt(0) lgkmcnt(0)
	flat_load_dword v99, v[56:57]
	v_add_co_u32_e32 v56, vcc, v12, v8
	v_addc_co_u32_e32 v57, vcc, v7, v9, vcc
	flat_load_dword v100, v[56:57]
	v_add_co_u32_e32 v56, vcc, v2, v8
	v_addc_co_u32_e32 v57, vcc, v3, v9, vcc
	;; [unrolled: 3-line block ×3, first 2 shown]
	flat_load_dword v102, v[56:57]
.LBB137_87:                             ;   in Loop: Header=BB137_76 Depth=1
	ds_read_b32 v55, v82
	ds_read_b32 v103, v79
	s_andn2_b64 vcc, exec, s[8:9]
	s_waitcnt vmcnt(0) lgkmcnt(0)
	v_mul_f32_e32 v56, v99, v55
	v_mul_f32_e32 v57, v100, v55
	ds_write_b32 v86, v56
	v_mul_f32_e32 v58, v101, v55
	ds_read_b32 v104, v79 offset:4
	ds_write_b32 v86, v57 offset:268
	ds_read_b32 v105, v79 offset:8
	ds_write_b32 v86, v58 offset:536
	v_mul_f32_e32 v55, v102, v55
	ds_read_b32 v106, v79 offset:12
	ds_write_b32 v86, v55 offset:804
	s_waitcnt lgkmcnt(0)
	s_barrier
	ds_read2_b32 v[58:59], v78 offset1:1
	ds_read2_b32 v[56:57], v78 offset0:2 offset1:3
	v_cndmask_b32_e64 v55, 0, 1, s[8:9]
	v_add_co_u32_e64 v60, s[8:9], v28, v8
	v_cmp_ne_u32_e64 s[4:5], 1, v55
	v_addc_co_u32_e64 v61, s[8:9], v25, v9, s[8:9]
	s_waitcnt lgkmcnt(0)
	s_barrier
	s_cbranch_vccnz .LBB137_125
; %bb.88:                               ;   in Loop: Header=BB137_76 Depth=1
	v_cmp_gt_i32_e32 vcc, s20, v87
	v_mov_b32_e32 v108, 0
	v_mov_b32_e32 v107, 0
	s_and_saveexec_b64 s[8:9], vcc
	s_cbranch_execz .LBB137_90
; %bb.89:                               ;   in Loop: Header=BB137_76 Depth=1
	flat_load_dword v107, v[60:61]
.LBB137_90:                             ;   in Loop: Header=BB137_76 Depth=1
	s_or_b64 exec, exec, s[8:9]
	v_cmp_gt_i32_e32 vcc, s20, v88
	s_and_saveexec_b64 s[8:9], vcc
	s_cbranch_execz .LBB137_92
; %bb.91:                               ;   in Loop: Header=BB137_76 Depth=1
	v_add_co_u32_e32 v62, vcc, v26, v8
	v_addc_co_u32_e32 v63, vcc, v23, v9, vcc
	flat_load_dword v108, v[62:63]
.LBB137_92:                             ;   in Loop: Header=BB137_76 Depth=1
	s_or_b64 exec, exec, s[8:9]
	v_cmp_gt_i32_e32 vcc, s20, v89
	v_mov_b32_e32 v110, 0
	v_mov_b32_e32 v109, 0
	s_and_saveexec_b64 s[8:9], vcc
	s_cbranch_execz .LBB137_94
; %bb.93:                               ;   in Loop: Header=BB137_76 Depth=1
	v_add_co_u32_e32 v62, vcc, v30, v8
	v_addc_co_u32_e32 v63, vcc, v27, v9, vcc
	flat_load_dword v109, v[62:63]
.LBB137_94:                             ;   in Loop: Header=BB137_76 Depth=1
	s_or_b64 exec, exec, s[8:9]
	v_cmp_gt_i32_e32 vcc, s20, v90
	s_and_saveexec_b64 s[8:9], vcc
	s_cbranch_execz .LBB137_96
; %bb.95:                               ;   in Loop: Header=BB137_76 Depth=1
	v_add_co_u32_e32 v62, vcc, v32, v8
	v_addc_co_u32_e32 v63, vcc, v29, v9, vcc
	flat_load_dword v110, v[62:63]
.LBB137_96:                             ;   in Loop: Header=BB137_76 Depth=1
	s_or_b64 exec, exec, s[8:9]
	s_branch .LBB137_98
.LBB137_97:                             ;   in Loop: Header=BB137_76 Depth=1
	s_waitcnt vmcnt(0) lgkmcnt(0)
	flat_load_dword v107, v[60:61]
	v_add_co_u32_e32 v60, vcc, v26, v8
	v_addc_co_u32_e32 v61, vcc, v23, v9, vcc
	flat_load_dword v108, v[60:61]
	v_add_co_u32_e32 v60, vcc, v24, v8
	v_addc_co_u32_e32 v61, vcc, v21, v9, vcc
	;; [unrolled: 3-line block ×3, first 2 shown]
	flat_load_dword v110, v[60:61]
.LBB137_98:                             ;   in Loop: Header=BB137_76 Depth=1
	ds_read_b32 v55, v82
	ds_read_b32 v111, v79 offset:64
	v_add_co_u32_e64 v64, s[8:9], v40, v8
	s_and_b64 vcc, exec, s[4:5]
	s_waitcnt vmcnt(0) lgkmcnt(0)
	v_mul_f32_e32 v60, v107, v55
	v_mul_f32_e32 v61, v108, v55
	ds_write_b32 v86, v60
	v_mul_f32_e32 v62, v109, v55
	ds_read_b32 v112, v79 offset:68
	ds_write_b32 v86, v61 offset:268
	ds_read_b32 v113, v79 offset:72
	ds_write_b32 v86, v62 offset:536
	v_mul_f32_e32 v55, v110, v55
	ds_read_b32 v114, v79 offset:76
	ds_write_b32 v86, v55 offset:804
	s_waitcnt lgkmcnt(0)
	s_barrier
	ds_read2_b32 v[62:63], v78 offset1:1
	ds_read2_b32 v[60:61], v78 offset0:2 offset1:3
	v_addc_co_u32_e64 v65, s[8:9], v37, v9, s[8:9]
	s_waitcnt lgkmcnt(0)
	s_barrier
	s_cbranch_vccnz .LBB137_126
; %bb.99:                               ;   in Loop: Header=BB137_76 Depth=1
	v_cmp_gt_i32_e32 vcc, s20, v91
	v_mov_b32_e32 v116, 0
	v_mov_b32_e32 v115, 0
	s_and_saveexec_b64 s[8:9], vcc
	s_cbranch_execz .LBB137_101
; %bb.100:                              ;   in Loop: Header=BB137_76 Depth=1
	flat_load_dword v115, v[64:65]
.LBB137_101:                            ;   in Loop: Header=BB137_76 Depth=1
	s_or_b64 exec, exec, s[8:9]
	v_cmp_gt_i32_e32 vcc, s20, v92
	s_and_saveexec_b64 s[8:9], vcc
	s_cbranch_execz .LBB137_103
; %bb.102:                              ;   in Loop: Header=BB137_76 Depth=1
	v_add_co_u32_e32 v66, vcc, v38, v8
	v_addc_co_u32_e32 v67, vcc, v35, v9, vcc
	flat_load_dword v116, v[66:67]
.LBB137_103:                            ;   in Loop: Header=BB137_76 Depth=1
	s_or_b64 exec, exec, s[8:9]
	v_cmp_gt_i32_e32 vcc, s20, v93
	v_mov_b32_e32 v118, 0
	v_mov_b32_e32 v117, 0
	s_and_saveexec_b64 s[8:9], vcc
	s_cbranch_execz .LBB137_105
; %bb.104:                              ;   in Loop: Header=BB137_76 Depth=1
	v_add_co_u32_e32 v66, vcc, v42, v8
	v_addc_co_u32_e32 v67, vcc, v39, v9, vcc
	flat_load_dword v117, v[66:67]
.LBB137_105:                            ;   in Loop: Header=BB137_76 Depth=1
	s_or_b64 exec, exec, s[8:9]
	v_cmp_gt_i32_e32 vcc, s20, v94
	s_and_saveexec_b64 s[8:9], vcc
	s_cbranch_execz .LBB137_107
; %bb.106:                              ;   in Loop: Header=BB137_76 Depth=1
	v_add_co_u32_e32 v66, vcc, v44, v8
	v_addc_co_u32_e32 v67, vcc, v41, v9, vcc
	flat_load_dword v118, v[66:67]
.LBB137_107:                            ;   in Loop: Header=BB137_76 Depth=1
	s_or_b64 exec, exec, s[8:9]
	s_branch .LBB137_109
.LBB137_108:                            ;   in Loop: Header=BB137_76 Depth=1
	s_waitcnt vmcnt(0) lgkmcnt(0)
	flat_load_dword v115, v[64:65]
	v_add_co_u32_e32 v64, vcc, v38, v8
	v_addc_co_u32_e32 v65, vcc, v35, v9, vcc
	flat_load_dword v116, v[64:65]
	v_add_co_u32_e32 v64, vcc, v34, v8
	v_addc_co_u32_e32 v65, vcc, v31, v9, vcc
	;; [unrolled: 3-line block ×3, first 2 shown]
	flat_load_dword v118, v[64:65]
.LBB137_109:                            ;   in Loop: Header=BB137_76 Depth=1
	ds_read_b32 v55, v82
	ds_read_b32 v119, v79 offset:128
	s_and_b64 vcc, exec, s[4:5]
	v_add_co_u32_e64 v68, s[4:5], v22, v75
	s_waitcnt vmcnt(0) lgkmcnt(0)
	v_mul_f32_e32 v64, v115, v55
	v_mul_f32_e32 v65, v116, v55
	ds_write_b32 v86, v64
	v_mul_f32_e32 v66, v117, v55
	ds_read_b32 v120, v79 offset:132
	ds_write_b32 v86, v65 offset:268
	ds_read_b32 v121, v79 offset:136
	ds_write_b32 v86, v66 offset:536
	v_mul_f32_e32 v55, v118, v55
	ds_read_b32 v122, v79 offset:140
	ds_write_b32 v86, v55 offset:804
	s_waitcnt lgkmcnt(0)
	s_barrier
	ds_read2_b32 v[66:67], v78 offset1:1
	ds_read2_b32 v[64:65], v78 offset0:2 offset1:3
	v_addc_co_u32_e64 v69, s[4:5], v19, v76, s[4:5]
	s_waitcnt lgkmcnt(0)
	s_barrier
	s_cbranch_vccnz .LBB137_127
; %bb.110:                              ;   in Loop: Header=BB137_76 Depth=1
	v_cmp_gt_i32_e32 vcc, s20, v95
	v_mov_b32_e32 v124, 0
	v_mov_b32_e32 v123, 0
	s_and_saveexec_b64 s[4:5], vcc
	s_cbranch_execz .LBB137_112
; %bb.111:                              ;   in Loop: Header=BB137_76 Depth=1
	flat_load_dword v123, v[68:69]
.LBB137_112:                            ;   in Loop: Header=BB137_76 Depth=1
	s_or_b64 exec, exec, s[4:5]
	v_cmp_gt_i32_e32 vcc, s20, v96
	s_and_saveexec_b64 s[4:5], vcc
	s_cbranch_execz .LBB137_114
; %bb.113:                              ;   in Loop: Header=BB137_76 Depth=1
	v_add_co_u32_e32 v124, vcc, v48, v75
	v_addc_co_u32_e32 v125, vcc, v45, v76, vcc
	flat_load_dword v124, v[124:125]
.LBB137_114:                            ;   in Loop: Header=BB137_76 Depth=1
	s_or_b64 exec, exec, s[4:5]
	v_cmp_gt_i32_e32 vcc, s20, v97
	v_mov_b32_e32 v126, 0
	v_mov_b32_e32 v125, 0
	s_and_saveexec_b64 s[4:5], vcc
	s_cbranch_execz .LBB137_116
; %bb.115:                              ;   in Loop: Header=BB137_76 Depth=1
	v_add_co_u32_e32 v128, vcc, v50, v75
	v_addc_co_u32_e32 v129, vcc, v47, v76, vcc
	flat_load_dword v125, v[128:129]
.LBB137_116:                            ;   in Loop: Header=BB137_76 Depth=1
	s_or_b64 exec, exec, s[4:5]
	v_cmp_gt_i32_e32 vcc, s20, v98
	s_and_saveexec_b64 s[4:5], vcc
	s_cbranch_execz .LBB137_118
; %bb.117:                              ;   in Loop: Header=BB137_76 Depth=1
	v_add_co_u32_e32 v126, vcc, v52, v75
	v_addc_co_u32_e32 v127, vcc, v49, v76, vcc
	flat_load_dword v126, v[126:127]
.LBB137_118:                            ;   in Loop: Header=BB137_76 Depth=1
	s_or_b64 exec, exec, s[4:5]
	s_branch .LBB137_120
.LBB137_119:                            ;   in Loop: Header=BB137_76 Depth=1
	s_waitcnt vmcnt(0) lgkmcnt(0)
	flat_load_dword v123, v[68:69]
	v_add_co_u32_e32 v68, vcc, v48, v75
	v_addc_co_u32_e32 v69, vcc, v45, v76, vcc
	flat_load_dword v124, v[68:69]
	v_add_co_u32_e32 v68, vcc, v46, v75
	v_addc_co_u32_e32 v69, vcc, v43, v76, vcc
	;; [unrolled: 3-line block ×3, first 2 shown]
	flat_load_dword v126, v[68:69]
.LBB137_120:                            ;   in Loop: Header=BB137_76 Depth=1
	v_add_f32_e32 v62, 0, v62
	v_add_f32_e32 v62, v62, v63
	ds_read_b32 v63, v82
	v_add_f32_e32 v60, v62, v60
	v_add_f32_e32 v55, 0, v66
	v_add_f32_e32 v68, v60, v61
	v_add_f32_e32 v66, 0, v58
	ds_read_b32 v58, v79 offset:192
	s_waitcnt vmcnt(0) lgkmcnt(0)
	v_mul_f32_e32 v60, v123, v63
	ds_write_b32 v86, v60
	v_mul_f32_e32 v61, v124, v63
	v_add_f32_e32 v55, v55, v67
	ds_read_b32 v60, v79 offset:196
	ds_write_b32 v86, v61 offset:268
	v_mul_f32_e32 v62, v125, v63
	v_add_f32_e32 v55, v55, v64
	ds_read_b32 v61, v79 offset:200
	ds_write_b32 v86, v62 offset:536
	;; [unrolled: 4-line block ×3, first 2 shown]
	s_waitcnt lgkmcnt(0)
	s_barrier
	ds_read2_b32 v[64:65], v78 offset1:1
	v_add_f32_e32 v59, v66, v59
	ds_read2_b32 v[66:67], v78 offset0:2 offset1:3
	v_add_f32_e32 v56, v59, v56
	v_add_f32_e32 v56, v56, v57
	s_waitcnt lgkmcnt(1)
	v_add_f32_e32 v57, 0, v64
	v_cmp_gt_i32_e32 vcc, s20, v6
	v_add_f32_e32 v57, v57, v65
	s_or_b64 s[4:5], s[14:15], vcc
	s_waitcnt lgkmcnt(0)
	v_add_f32_e32 v57, v57, v66
	s_and_b64 s[8:9], s[2:3], s[4:5]
	v_add_f32_e32 v57, v57, v67
	s_barrier
	ds_write2_b32 v80, v56, v68 offset1:16
	ds_write2_b32 v80, v55, v57 offset0:32 offset1:48
	s_waitcnt lgkmcnt(0)
	s_barrier
	s_and_saveexec_b64 s[4:5], s[8:9]
	s_cbranch_execz .LBB137_122
; %bb.121:                              ;   in Loop: Header=BB137_76 Depth=1
	ds_read2_b32 v[56:57], v53 offset1:1
	ds_read2_b32 v[64:65], v53 offset0:2 offset1:3
	ds_read2_b32 v[66:67], v53 offset0:4 offset1:5
	;; [unrolled: 1-line block ×3, first 2 shown]
	s_waitcnt lgkmcnt(3)
	v_add_f32_e32 v55, v56, v57
	s_waitcnt lgkmcnt(2)
	v_add_f32_e32 v55, v55, v64
	v_add_f32_e32 v55, v55, v65
	ds_read2_b32 v[56:57], v53 offset0:8 offset1:9
	s_waitcnt lgkmcnt(2)
	v_add_f32_e32 v55, v55, v66
	v_add_f32_e32 v55, v55, v67
	s_waitcnt lgkmcnt(1)
	v_add_f32_e32 v55, v55, v68
	v_add_f32_e32 v55, v55, v69
	ds_read2_b32 v[64:65], v53 offset0:10 offset1:11
	ds_read2_b32 v[66:67], v53 offset0:12 offset1:13
	ds_read_b32 v59, v53 offset:56
	s_waitcnt lgkmcnt(3)
	v_add_f32_e32 v55, v55, v56
	v_add_f32_e32 v55, v55, v57
	s_waitcnt lgkmcnt(2)
	v_add_f32_e32 v55, v55, v64
	ds_read_b32 v56, v77
	v_add_f32_e32 v55, v55, v65
	s_waitcnt lgkmcnt(2)
	v_add_f32_e32 v55, v55, v66
	v_add_f32_e32 v55, v55, v67
	s_waitcnt lgkmcnt(1)
	v_add_f32_e32 v55, v55, v59
	s_waitcnt lgkmcnt(0)
	v_add_f32_e32 v59, v55, v56
	v_ashrrev_i32_e32 v55, 31, v54
	v_lshlrev_b64 v[56:57], 2, v[54:55]
	v_mov_b32_e32 v55, s21
	v_add_co_u32_e32 v56, vcc, s17, v56
	v_addc_co_u32_e32 v57, vcc, v55, v57, vcc
	global_store_dword v[56:57], v59, off
.LBB137_122:                            ;   in Loop: Header=BB137_76 Depth=1
	s_or_b64 exec, exec, s[4:5]
	v_mov_b32_e32 v55, s13
	v_add_co_u32_e32 v2, vcc, s12, v2
	v_addc_co_u32_e32 v3, vcc, v3, v55, vcc
	v_add_co_u32_e32 v10, vcc, s12, v10
	v_addc_co_u32_e32 v5, vcc, v5, v55, vcc
	;; [unrolled: 2-line block ×16, first 2 shown]
	v_fmac_f32_e32 v70, v99, v103
	v_add_co_u32_e32 v42, vcc, s12, v42
	v_fmac_f32_e32 v70, v100, v104
	v_addc_co_u32_e32 v39, vcc, v39, v55, vcc
	v_fmac_f32_e32 v70, v101, v105
	v_add_co_u32_e32 v44, vcc, s12, v44
	v_fmac_f32_e32 v70, v102, v106
	v_addc_co_u32_e32 v41, vcc, v41, v55, vcc
	;; [unrolled: 4-line block ×7, first 2 shown]
	v_fmac_f32_e32 v70, v125, v61
	s_add_i32 s4, s6, 1
	s_add_i32 s10, s10, s27
	;; [unrolled: 1-line block ×3, first 2 shown]
	v_add_co_u32_e32 v52, vcc, s12, v52
	v_fmac_f32_e32 v70, v126, v62
	v_add_u32_e32 v54, 64, v54
	s_cmp_ge_u32 s5, s7
	v_addc_co_u32_e32 v49, vcc, v49, v55, vcc
	s_barrier
	s_cbranch_scc1 .LBB137_128
; %bb.123:                              ;   in Loop: Header=BB137_76 Depth=1
	s_mov_b32 s6, s4
	s_cmp_eq_u32 s26, s6
	s_cselect_b32 s20, s33, 0
	s_and_saveexec_b64 s[4:5], s[0:1]
	s_cbranch_execnz .LBB137_73
	s_branch .LBB137_76
.LBB137_124:                            ;   in Loop: Header=BB137_76 Depth=1
                                        ; implicit-def: $vgpr102
                                        ; implicit-def: $vgpr101
                                        ; implicit-def: $vgpr100
                                        ; implicit-def: $vgpr99
	s_cbranch_execnz .LBB137_86
	s_branch .LBB137_87
.LBB137_125:                            ;   in Loop: Header=BB137_76 Depth=1
                                        ; implicit-def: $vgpr110
                                        ; implicit-def: $vgpr109
                                        ; implicit-def: $vgpr108
                                        ; implicit-def: $vgpr107
	s_cbranch_execnz .LBB137_97
	s_branch .LBB137_98
.LBB137_126:                            ;   in Loop: Header=BB137_76 Depth=1
                                        ; implicit-def: $vgpr118
                                        ; implicit-def: $vgpr117
                                        ; implicit-def: $vgpr116
                                        ; implicit-def: $vgpr115
	s_cbranch_execnz .LBB137_108
	s_branch .LBB137_109
.LBB137_127:                            ;   in Loop: Header=BB137_76 Depth=1
                                        ; implicit-def: $vgpr126
                                        ; implicit-def: $vgpr125
                                        ; implicit-def: $vgpr124
                                        ; implicit-def: $vgpr123
	s_cbranch_execnz .LBB137_119
	s_branch .LBB137_120
.LBB137_128:
	s_movk_i32 s2, 0x10c
	v_cmp_gt_i32_e32 vcc, s16, v6
	v_mad_u32_u24 v0, v51, s2, v71
	s_or_b64 s[2:3], s[18:19], vcc
	s_and_b64 s[0:1], s[0:1], s[2:3]
	ds_write_b32 v0, v70
	s_waitcnt lgkmcnt(0)
	s_barrier
	s_and_saveexec_b64 s[2:3], s[0:1]
	s_cbranch_execz .LBB137_130
; %bb.129:
	ds_read2_b32 v[0:1], v71 offset1:67
	ds_read2_b32 v[2:3], v71 offset0:134 offset1:201
	v_ashrrev_i32_e32 v5, 31, v4
	v_lshlrev_b64 v[4:5], 2, v[4:5]
	v_mov_b32_e32 v6, s21
	s_waitcnt lgkmcnt(1)
	v_add_f32_e32 v0, v0, v1
	s_waitcnt lgkmcnt(0)
	v_add_f32_e32 v0, v0, v2
	v_add_f32_e32 v2, v0, v3
	v_add_co_u32_e32 v0, vcc, s17, v4
	v_addc_co_u32_e32 v1, vcc, v6, v5, vcc
	global_store_dword v[0:1], v2, off
.LBB137_130:
	s_endpgm
	.section	.rodata,"a",@progbits
	.p2align	6, 0x0
	.amdhsa_kernel _ZL26rocblas_hemvn_kernel_upperILb0ELi64ELi4ELi33ELi32ELi16EiPKfPKS1_PfEviT6_lT7_lT5_lS6_lS7_lS5_lT8_i
		.amdhsa_group_segment_fixed_size 4800
		.amdhsa_private_segment_fixed_size 0
		.amdhsa_kernarg_size 376
		.amdhsa_user_sgpr_count 6
		.amdhsa_user_sgpr_private_segment_buffer 1
		.amdhsa_user_sgpr_dispatch_ptr 0
		.amdhsa_user_sgpr_queue_ptr 0
		.amdhsa_user_sgpr_kernarg_segment_ptr 1
		.amdhsa_user_sgpr_dispatch_id 0
		.amdhsa_user_sgpr_flat_scratch_init 0
		.amdhsa_user_sgpr_kernarg_preload_length 0
		.amdhsa_user_sgpr_kernarg_preload_offset 0
		.amdhsa_user_sgpr_private_segment_size 0
		.amdhsa_uses_dynamic_stack 0
		.amdhsa_system_sgpr_private_segment_wavefront_offset 0
		.amdhsa_system_sgpr_workgroup_id_x 1
		.amdhsa_system_sgpr_workgroup_id_y 0
		.amdhsa_system_sgpr_workgroup_id_z 1
		.amdhsa_system_sgpr_workgroup_info 0
		.amdhsa_system_vgpr_workitem_id 1
		.amdhsa_next_free_vgpr 130
		.amdhsa_next_free_sgpr 51
		.amdhsa_accum_offset 132
		.amdhsa_reserve_vcc 1
		.amdhsa_reserve_flat_scratch 0
		.amdhsa_float_round_mode_32 0
		.amdhsa_float_round_mode_16_64 0
		.amdhsa_float_denorm_mode_32 3
		.amdhsa_float_denorm_mode_16_64 3
		.amdhsa_dx10_clamp 1
		.amdhsa_ieee_mode 1
		.amdhsa_fp16_overflow 0
		.amdhsa_tg_split 0
		.amdhsa_exception_fp_ieee_invalid_op 0
		.amdhsa_exception_fp_denorm_src 0
		.amdhsa_exception_fp_ieee_div_zero 0
		.amdhsa_exception_fp_ieee_overflow 0
		.amdhsa_exception_fp_ieee_underflow 0
		.amdhsa_exception_fp_ieee_inexact 0
		.amdhsa_exception_int_div_zero 0
	.end_amdhsa_kernel
	.section	.text._ZL26rocblas_hemvn_kernel_upperILb0ELi64ELi4ELi33ELi32ELi16EiPKfPKS1_PfEviT6_lT7_lT5_lS6_lS7_lS5_lT8_i,"axG",@progbits,_ZL26rocblas_hemvn_kernel_upperILb0ELi64ELi4ELi33ELi32ELi16EiPKfPKS1_PfEviT6_lT7_lT5_lS6_lS7_lS5_lT8_i,comdat
.Lfunc_end137:
	.size	_ZL26rocblas_hemvn_kernel_upperILb0ELi64ELi4ELi33ELi32ELi16EiPKfPKS1_PfEviT6_lT7_lT5_lS6_lS7_lS5_lT8_i, .Lfunc_end137-_ZL26rocblas_hemvn_kernel_upperILb0ELi64ELi4ELi33ELi32ELi16EiPKfPKS1_PfEviT6_lT7_lT5_lS6_lS7_lS5_lT8_i
                                        ; -- End function
	.section	.AMDGPU.csdata,"",@progbits
; Kernel info:
; codeLenInByte = 6916
; NumSgprs: 55
; NumVgprs: 130
; NumAgprs: 0
; TotalNumVgprs: 130
; ScratchSize: 0
; MemoryBound: 0
; FloatMode: 240
; IeeeMode: 1
; LDSByteSize: 4800 bytes/workgroup (compile time only)
; SGPRBlocks: 6
; VGPRBlocks: 16
; NumSGPRsForWavesPerEU: 55
; NumVGPRsForWavesPerEU: 130
; AccumOffset: 132
; Occupancy: 3
; WaveLimiterHint : 1
; COMPUTE_PGM_RSRC2:SCRATCH_EN: 0
; COMPUTE_PGM_RSRC2:USER_SGPR: 6
; COMPUTE_PGM_RSRC2:TRAP_HANDLER: 0
; COMPUTE_PGM_RSRC2:TGID_X_EN: 1
; COMPUTE_PGM_RSRC2:TGID_Y_EN: 0
; COMPUTE_PGM_RSRC2:TGID_Z_EN: 1
; COMPUTE_PGM_RSRC2:TIDIG_COMP_CNT: 1
; COMPUTE_PGM_RSRC3_GFX90A:ACCUM_OFFSET: 32
; COMPUTE_PGM_RSRC3_GFX90A:TG_SPLIT: 0
	.section	.text._ZL36rocblas_hemvn_kernel_upper_block_sumILi64EiPKfPKPffEviT1_lS5_lT2_lT0_lPT3_i,"axG",@progbits,_ZL36rocblas_hemvn_kernel_upper_block_sumILi64EiPKfPKPffEviT1_lS5_lT2_lT0_lPT3_i,comdat
	.globl	_ZL36rocblas_hemvn_kernel_upper_block_sumILi64EiPKfPKPffEviT1_lS5_lT2_lT0_lPT3_i ; -- Begin function _ZL36rocblas_hemvn_kernel_upper_block_sumILi64EiPKfPKPffEviT1_lS5_lT2_lT0_lPT3_i
	.p2align	8
	.type	_ZL36rocblas_hemvn_kernel_upper_block_sumILi64EiPKfPKPffEviT1_lS5_lT2_lT0_lPT3_i,@function
_ZL36rocblas_hemvn_kernel_upper_block_sumILi64EiPKfPKPffEviT1_lS5_lT2_lT0_lPT3_i: ; @_ZL36rocblas_hemvn_kernel_upper_block_sumILi64EiPKfPKPffEviT1_lS5_lT2_lT0_lPT3_i
; %bb.0:
	s_load_dwordx8 s[12:19], s[4:5], 0x8
	s_mov_b32 s8, s7
	s_waitcnt lgkmcnt(0)
	s_mul_i32 s0, s7, s15
	s_mul_hi_u32 s1, s7, s14
	s_add_i32 s1, s1, s0
	s_mul_i32 s0, s7, s14
	s_lshl_b64 s[0:1], s[0:1], 2
	s_add_u32 s0, s12, s0
	s_addc_u32 s1, s13, s1
	s_load_dword s7, s[0:1], 0x0
	s_mul_i32 s0, s8, s19
	s_mul_hi_u32 s1, s8, s18
	s_add_i32 s1, s1, s0
	s_mul_i32 s0, s8, s18
	s_lshl_b64 s[0:1], s[0:1], 2
	s_add_u32 s0, s16, s0
	s_addc_u32 s1, s17, s1
	s_load_dword s17, s[0:1], 0x0
	s_waitcnt lgkmcnt(0)
	v_cmp_eq_f32_e64 s[0:1], s7, 0
	v_cmp_eq_f32_e64 s[2:3], s17, 1.0
	s_and_b64 s[0:1], s[0:1], s[2:3]
	s_and_b64 vcc, exec, s[0:1]
	s_cbranch_vccnz .LBB138_19
; %bb.1:
	s_load_dwordx4 s[0:3], s[4:5], 0x28
	s_mov_b32 s9, 0
	s_lshl_b64 s[12:13], s[8:9], 3
	s_load_dword s18, s[4:5], 0x38
	s_load_dword s10, s[4:5], 0x0
	v_lshl_or_b32 v0, s6, 6, v0
	s_waitcnt lgkmcnt(0)
	s_add_u32 s0, s0, s12
	s_addc_u32 s1, s1, s13
	s_load_dwordx2 s[0:1], s[0:1], 0x0
	s_lshl_b64 s[2:3], s[2:3], 2
	v_cmp_neq_f32_e64 s[12:13], s7, 0
	s_waitcnt lgkmcnt(0)
	s_add_u32 s9, s0, s2
	s_addc_u32 s16, s1, s3
	s_and_b64 vcc, exec, s[12:13]
	v_cmp_gt_i32_e64 s[0:1], s10, v0
	s_cbranch_vccnz .LBB138_6
; %bb.2:
	s_mov_b64 s[12:13], 0
	s_mov_b64 s[2:3], 0
                                        ; implicit-def: $vgpr4
                                        ; implicit-def: $vgpr2_vgpr3
	s_and_saveexec_b64 s[14:15], s[0:1]
	s_cbranch_execz .LBB138_7
; %bb.3:
	v_cmp_eq_f32_e64 s[0:1], s17, 0
	v_mul_lo_u32 v2, v0, s18
	v_mov_b32_e32 v4, 0
	v_ashrrev_i32_e32 v3, 31, v2
	s_and_b64 vcc, exec, s[0:1]
	s_cbranch_vccnz .LBB138_5
; %bb.4:
	v_lshlrev_b64 v[4:5], 2, v[2:3]
	v_mov_b32_e32 v1, s16
	v_add_co_u32_e32 v4, vcc, s9, v4
	v_addc_co_u32_e32 v5, vcc, v1, v5, vcc
	global_load_dword v1, v[4:5], off
	s_waitcnt vmcnt(0)
	v_mul_f32_e32 v4, s17, v1
.LBB138_5:
	s_mov_b64 s[2:3], exec
	s_or_b64 exec, exec, s[14:15]
	s_and_b64 vcc, exec, s[12:13]
	s_cbranch_vccnz .LBB138_8
	s_branch .LBB138_17
.LBB138_6:
	s_mov_b64 s[2:3], 0
                                        ; implicit-def: $vgpr4
                                        ; implicit-def: $vgpr2_vgpr3
	s_cbranch_execnz .LBB138_8
	s_branch .LBB138_17
.LBB138_7:
	s_or_b64 exec, exec, s[14:15]
	s_and_b64 vcc, exec, s[12:13]
	s_cbranch_vccz .LBB138_17
.LBB138_8:
	v_cmp_gt_i32_e32 vcc, s10, v0
                                        ; implicit-def: $vgpr4
                                        ; implicit-def: $vgpr2_vgpr3
	s_and_saveexec_b64 s[0:1], vcc
	s_cbranch_execz .LBB138_16
; %bb.9:
	s_cmp_lt_i32 s6, 0
	v_mov_b32_e32 v1, 0
	s_cbranch_scc1 .LBB138_12
; %bb.10:
	s_load_dwordx2 s[12:13], s[4:5], 0x48
	s_load_dword s14, s[4:5], 0x58
	s_ashr_i32 s11, s10, 31
	s_mul_hi_u32 s4, s10, s8
	s_mul_i32 s5, s11, s8
	s_add_i32 s4, s4, s5
	s_mul_i32 s8, s10, s8
	s_waitcnt lgkmcnt(0)
	s_mul_i32 s4, s4, s14
	s_mul_hi_u32 s5, s8, s14
	s_add_i32 s5, s5, s4
	s_mul_i32 s4, s8, s14
	s_lshl_b64 s[4:5], s[4:5], 2
	s_add_u32 s4, s12, s4
	v_mov_b32_e32 v1, 0
	s_addc_u32 s5, s13, s5
	v_lshlrev_b64 v[2:3], 2, v[0:1]
	v_mov_b32_e32 v4, s5
	v_add_co_u32_e32 v2, vcc, s4, v2
	s_lshl_b64 s[4:5], s[10:11], 2
	v_addc_co_u32_e32 v3, vcc, v4, v3, vcc
	s_add_i32 s6, s6, 1
	v_mov_b32_e32 v4, s5
.LBB138_11:                             ; =>This Inner Loop Header: Depth=1
	global_load_dword v5, v[2:3], off
	s_add_i32 s6, s6, -1
	v_add_co_u32_e32 v2, vcc, s4, v2
	v_addc_co_u32_e32 v3, vcc, v3, v4, vcc
	s_cmp_eq_u32 s6, 0
	s_waitcnt vmcnt(0)
	v_add_f32_e32 v1, v1, v5
	s_cbranch_scc0 .LBB138_11
.LBB138_12:
	v_cmp_eq_f32_e64 s[4:5], s17, 0
	v_mul_lo_u32 v2, v0, s18
	s_and_b64 vcc, exec, s[4:5]
	v_ashrrev_i32_e32 v3, 31, v2
	s_cbranch_vccz .LBB138_20
; %bb.13:
	v_mul_f32_e32 v4, s7, v1
	s_cbranch_execnz .LBB138_15
.LBB138_14:
	v_lshlrev_b64 v[4:5], 2, v[2:3]
	v_mov_b32_e32 v0, s16
	v_add_co_u32_e32 v4, vcc, s9, v4
	v_addc_co_u32_e32 v5, vcc, v0, v5, vcc
	global_load_dword v0, v[4:5], off
	s_waitcnt vmcnt(0)
	v_mul_f32_e32 v4, s17, v0
	v_fmac_f32_e32 v4, s7, v1
.LBB138_15:
	s_or_b64 s[2:3], s[2:3], exec
.LBB138_16:
	s_or_b64 exec, exec, s[0:1]
.LBB138_17:
	s_and_saveexec_b64 s[0:1], s[2:3]
	s_cbranch_execz .LBB138_19
; %bb.18:
	v_lshlrev_b64 v[0:1], 2, v[2:3]
	v_mov_b32_e32 v2, s16
	v_add_co_u32_e32 v0, vcc, s9, v0
	v_addc_co_u32_e32 v1, vcc, v2, v1, vcc
	global_store_dword v[0:1], v4, off
.LBB138_19:
	s_endpgm
.LBB138_20:
                                        ; implicit-def: $vgpr4
	s_branch .LBB138_14
	.section	.rodata,"a",@progbits
	.p2align	6, 0x0
	.amdhsa_kernel _ZL36rocblas_hemvn_kernel_upper_block_sumILi64EiPKfPKPffEviT1_lS5_lT2_lT0_lPT3_i
		.amdhsa_group_segment_fixed_size 0
		.amdhsa_private_segment_fixed_size 0
		.amdhsa_kernarg_size 344
		.amdhsa_user_sgpr_count 6
		.amdhsa_user_sgpr_private_segment_buffer 1
		.amdhsa_user_sgpr_dispatch_ptr 0
		.amdhsa_user_sgpr_queue_ptr 0
		.amdhsa_user_sgpr_kernarg_segment_ptr 1
		.amdhsa_user_sgpr_dispatch_id 0
		.amdhsa_user_sgpr_flat_scratch_init 0
		.amdhsa_user_sgpr_kernarg_preload_length 0
		.amdhsa_user_sgpr_kernarg_preload_offset 0
		.amdhsa_user_sgpr_private_segment_size 0
		.amdhsa_uses_dynamic_stack 0
		.amdhsa_system_sgpr_private_segment_wavefront_offset 0
		.amdhsa_system_sgpr_workgroup_id_x 1
		.amdhsa_system_sgpr_workgroup_id_y 0
		.amdhsa_system_sgpr_workgroup_id_z 1
		.amdhsa_system_sgpr_workgroup_info 0
		.amdhsa_system_vgpr_workitem_id 0
		.amdhsa_next_free_vgpr 6
		.amdhsa_next_free_sgpr 20
		.amdhsa_accum_offset 8
		.amdhsa_reserve_vcc 1
		.amdhsa_reserve_flat_scratch 0
		.amdhsa_float_round_mode_32 0
		.amdhsa_float_round_mode_16_64 0
		.amdhsa_float_denorm_mode_32 3
		.amdhsa_float_denorm_mode_16_64 3
		.amdhsa_dx10_clamp 1
		.amdhsa_ieee_mode 1
		.amdhsa_fp16_overflow 0
		.amdhsa_tg_split 0
		.amdhsa_exception_fp_ieee_invalid_op 0
		.amdhsa_exception_fp_denorm_src 0
		.amdhsa_exception_fp_ieee_div_zero 0
		.amdhsa_exception_fp_ieee_overflow 0
		.amdhsa_exception_fp_ieee_underflow 0
		.amdhsa_exception_fp_ieee_inexact 0
		.amdhsa_exception_int_div_zero 0
	.end_amdhsa_kernel
	.section	.text._ZL36rocblas_hemvn_kernel_upper_block_sumILi64EiPKfPKPffEviT1_lS5_lT2_lT0_lPT3_i,"axG",@progbits,_ZL36rocblas_hemvn_kernel_upper_block_sumILi64EiPKfPKPffEviT1_lS5_lT2_lT0_lPT3_i,comdat
.Lfunc_end138:
	.size	_ZL36rocblas_hemvn_kernel_upper_block_sumILi64EiPKfPKPffEviT1_lS5_lT2_lT0_lPT3_i, .Lfunc_end138-_ZL36rocblas_hemvn_kernel_upper_block_sumILi64EiPKfPKPffEviT1_lS5_lT2_lT0_lPT3_i
                                        ; -- End function
	.section	.AMDGPU.csdata,"",@progbits
; Kernel info:
; codeLenInByte = 640
; NumSgprs: 24
; NumVgprs: 6
; NumAgprs: 0
; TotalNumVgprs: 6
; ScratchSize: 0
; MemoryBound: 0
; FloatMode: 240
; IeeeMode: 1
; LDSByteSize: 0 bytes/workgroup (compile time only)
; SGPRBlocks: 2
; VGPRBlocks: 0
; NumSGPRsForWavesPerEU: 24
; NumVGPRsForWavesPerEU: 6
; AccumOffset: 8
; Occupancy: 8
; WaveLimiterHint : 1
; COMPUTE_PGM_RSRC2:SCRATCH_EN: 0
; COMPUTE_PGM_RSRC2:USER_SGPR: 6
; COMPUTE_PGM_RSRC2:TRAP_HANDLER: 0
; COMPUTE_PGM_RSRC2:TGID_X_EN: 1
; COMPUTE_PGM_RSRC2:TGID_Y_EN: 0
; COMPUTE_PGM_RSRC2:TGID_Z_EN: 1
; COMPUTE_PGM_RSRC2:TIDIG_COMP_CNT: 0
; COMPUTE_PGM_RSRC3_GFX90A:ACCUM_OFFSET: 1
; COMPUTE_PGM_RSRC3_GFX90A:TG_SPLIT: 0
	.section	.text._ZL26rocblas_hemvn_kernel_upperILb0ELi64ELi4ELi33ELi32ELi16ElfPKPKfPfEviT6_lT7_lT5_lS6_lS7_lS5_lT8_i,"axG",@progbits,_ZL26rocblas_hemvn_kernel_upperILb0ELi64ELi4ELi33ELi32ELi16ElfPKPKfPfEviT6_lT7_lT5_lS6_lS7_lS5_lT8_i,comdat
	.globl	_ZL26rocblas_hemvn_kernel_upperILb0ELi64ELi4ELi33ELi32ELi16ElfPKPKfPfEviT6_lT7_lT5_lS6_lS7_lS5_lT8_i ; -- Begin function _ZL26rocblas_hemvn_kernel_upperILb0ELi64ELi4ELi33ELi32ELi16ElfPKPKfPfEviT6_lT7_lT5_lS6_lS7_lS5_lT8_i
	.p2align	8
	.type	_ZL26rocblas_hemvn_kernel_upperILb0ELi64ELi4ELi33ELi32ELi16ElfPKPKfPfEviT6_lT7_lT5_lS6_lS7_lS5_lT8_i,@function
_ZL26rocblas_hemvn_kernel_upperILb0ELi64ELi4ELi33ELi32ELi16ElfPKPKfPfEviT6_lT7_lT5_lS6_lS7_lS5_lT8_i: ; @_ZL26rocblas_hemvn_kernel_upperILb0ELi64ELi4ELi33ELi32ELi16ElfPKPKfPfEviT6_lT7_lT5_lS6_lS7_lS5_lT8_i
; %bb.0:
	s_load_dwordx2 s[0:1], s[4:5], 0x7c
	s_add_u32 s14, s4, 0x70
	s_addc_u32 s15, s5, 0
	s_waitcnt lgkmcnt(0)
	s_lshr_b32 s2, s0, 16
	s_and_b32 s0, s0, 0xffff
	s_and_b32 s1, s1, 0xffff
	s_mul_i32 s0, s2, s0
	s_mul_i32 s0, s0, s1
	s_cmpk_lg_i32 s0, 0x100
	s_cbranch_scc1 .LBB139_130
; %bb.1:
	s_load_dwordx2 s[30:31], s[4:5], 0x0
	s_load_dword s0, s[4:5], 0x50
	s_waitcnt lgkmcnt(0)
	v_cmp_eq_f32_e64 s[8:9], s31, 0
	v_cmp_eq_f32_e64 s[0:1], s0, 1.0
	s_and_b64 s[0:1], s[8:9], s[0:1]
	s_and_b64 vcc, exec, s[0:1]
	s_cbranch_vccnz .LBB139_130
; %bb.2:
	s_load_dwordx4 s[0:3], s[4:5], 0x10
	s_load_dwordx2 s[24:25], s[4:5], 0x20
	s_mov_b32 s28, s7
	s_mov_b32 s29, 0
	v_cmp_neq_f32_e64 s[20:21], s31, 0
	s_mov_b64 s[16:17], 0
	s_and_b64 vcc, exec, s[8:9]
	s_mov_b64 s[12:13], 0
	s_cbranch_vccnz .LBB139_4
; %bb.3:
	s_lshl_b64 s[8:9], s[28:29], 3
	s_waitcnt lgkmcnt(0)
	s_add_u32 s0, s0, s8
	s_addc_u32 s1, s1, s9
	s_load_dwordx2 s[0:1], s[0:1], 0x0
	s_lshl_b64 s[2:3], s[2:3], 2
	s_waitcnt lgkmcnt(0)
	s_add_u32 s12, s0, s2
	s_addc_u32 s13, s1, s3
.LBB139_4:
	s_load_dwordx4 s[8:11], s[4:5], 0x30
	s_load_dwordx2 s[18:19], s[4:5], 0x40
	v_cndmask_b32_e64 v1, 0, 1, s[20:21]
	s_waitcnt lgkmcnt(0)
	v_cmp_ne_u32_e64 s[0:1], 1, v1
	s_andn2_b64 vcc, exec, s[20:21]
	s_cbranch_vccnz .LBB139_6
; %bb.5:
	s_lshl_b64 s[2:3], s[28:29], 3
	s_add_u32 s2, s8, s2
	s_addc_u32 s3, s9, s3
	s_load_dwordx2 s[2:3], s[2:3], 0x0
	s_lshl_b64 s[8:9], s[10:11], 2
	s_waitcnt lgkmcnt(0)
	s_add_u32 s16, s2, s8
	s_addc_u32 s17, s3, s9
.LBB139_6:
	s_and_b64 vcc, exec, s[0:1]
	s_cbranch_vccnz .LBB139_130
; %bb.7:
	s_load_dword s7, s[14:15], 0x0
	s_ashr_i32 s31, s30, 31
	s_lshr_b32 s1, s31, 26
	v_and_b32_e32 v50, 0x3ff, v0
	s_lshl_b32 s26, s6, 6
	s_add_i32 s1, s30, s1
	s_andn2_b32 s1, s1, 63
	v_add_u32_e32 v4, s26, v50
	s_waitcnt lgkmcnt(0)
	s_add_i32 s0, s7, -1
	s_sub_i32 s29, s30, s1
	v_ashrrev_i32_e32 v5, 31, v4
	v_bfe_u32 v51, v0, 10, 10
	s_cmp_eq_u32 s6, s0
	v_mul_lo_u32 v2, v5, s18
	v_mul_lo_u32 v3, v4, s19
	v_mad_u64_u32 v[0:1], s[0:1], v4, s18, 0
	v_add3_u32 v1, v1, v3, v2
	v_lshlrev_b64 v[0:1], 2, v[0:1]
	v_mov_b32_e32 v2, s17
	v_add_co_u32_e32 v8, vcc, s16, v0
	s_cselect_b32 s20, s29, 0
	v_addc_co_u32_e32 v9, vcc, v2, v1, vcc
	v_cmp_eq_u32_e64 s[0:1], 0, v51
	s_and_saveexec_b64 s[2:3], s[0:1]
	s_cbranch_execz .LBB139_11
; %bb.8:
	s_cmp_eq_u32 s20, 0
	s_cselect_b64 s[8:9], -1, 0
	v_cmp_gt_i32_e32 vcc, s20, v50
	s_or_b64 s[10:11], s[8:9], vcc
	v_mov_b32_e32 v0, 0
	s_and_saveexec_b64 s[8:9], s[10:11]
	s_cbranch_execz .LBB139_10
; %bb.9:
	flat_load_dword v0, v[8:9]
.LBB139_10:
	s_or_b64 exec, exec, s[8:9]
	v_lshlrev_b32_e32 v1, 2, v50
	s_waitcnt vmcnt(0) lgkmcnt(0)
	ds_write_b32 v1, v0 offset:4544
.LBB139_11:
	s_or_b64 exec, exec, s[2:3]
	s_ashr_i32 s27, s26, 31
	v_lshl_add_u32 v36, v51, 6, v50
	s_lshl_b64 s[2:3], s[26:27], 2
	v_and_b32_e32 v0, 31, v50
	v_lshrrev_b32_e32 v14, 5, v36
	s_add_u32 s8, s12, s2
	v_mov_b32_e32 v1, 0
	s_addc_u32 s9, s13, s3
	v_mad_u64_u32 v[2:3], s[2:3], v14, s24, v[0:1]
	v_mov_b32_e32 v6, v3
	v_mad_u64_u32 v[6:7], s[2:3], v14, s25, v[6:7]
	s_mul_i32 s2, s26, s25
	s_mul_hi_u32 s3, s26, s24
	s_add_i32 s2, s3, s2
	s_mul_i32 s3, s27, s24
	s_add_i32 s3, s2, s3
	s_mul_i32 s2, s26, s24
	s_lshl_b64 s[2:3], s[2:3], 2
	s_add_u32 s2, s2, s8
	v_mov_b32_e32 v3, v6
	s_addc_u32 s3, s3, s9
	v_lshlrev_b64 v[6:7], 2, v[2:3]
	s_cmp_eq_u32 s20, 0
	v_mov_b32_e32 v3, s3
	v_add_co_u32_e32 v2, vcc, s2, v6
	s_cselect_b64 s[22:23], -1, 0
	s_cmp_lg_u32 s20, 0
	v_addc_co_u32_e32 v3, vcc, v3, v7, vcc
	s_cselect_b64 s[36:37], -1, 0
	s_and_b64 vcc, exec, s[36:37]
	v_cmp_gt_i32_e64 s[2:3], s20, v0
	v_lshlrev_b32_e32 v15, 2, v0
	s_mul_i32 s33, s25, 0x60
	s_cbranch_vccz .LBB139_21
; %bb.12:
	v_sub_co_u32_e32 v10, vcc, v2, v15
	s_ashr_i32 s21, s20, 31
	v_subbrev_co_u32_e32 v11, vcc, 0, v3, vcc
	s_lshl_b64 s[8:9], s[20:21], 2
	v_mov_b32_e32 v12, s9
	v_add_co_u32_e32 v10, vcc, s8, v10
	v_addc_co_u32_e32 v11, vcc, v11, v12, vcc
	v_add_co_u32_e32 v10, vcc, -4, v10
	v_addc_co_u32_e32 v11, vcc, -1, v11, vcc
	v_cndmask_b32_e64 v11, v11, v3, s[2:3]
	v_cndmask_b32_e64 v10, v10, v2, s[2:3]
	v_cmp_gt_i32_e32 vcc, s20, v14
	s_and_saveexec_b64 s[10:11], vcc
	s_cbranch_execz .LBB139_14
; %bb.13:
	flat_load_dword v1, v[10:11]
.LBB139_14:
	s_or_b64 exec, exec, s[10:11]
	v_mul_u32_u24_e32 v12, 33, v14
	v_add_lshl_u32 v12, v12, v0, 2
	s_waitcnt vmcnt(0) lgkmcnt(0)
	ds_write_b32 v12, v1
	v_add_u32_e32 v1, 8, v14
	v_cmp_gt_i32_e32 vcc, s20, v1
	v_mov_b32_e32 v1, 0
	v_mov_b32_e32 v13, 0
	s_and_saveexec_b64 s[10:11], vcc
	s_cbranch_execz .LBB139_16
; %bb.15:
	s_lshl_b64 s[12:13], s[24:25], 5
	v_mov_b32_e32 v13, s13
	v_add_co_u32_e32 v16, vcc, s12, v10
	v_addc_co_u32_e32 v17, vcc, v11, v13, vcc
	flat_load_dword v13, v[16:17]
.LBB139_16:
	s_or_b64 exec, exec, s[10:11]
	s_waitcnt vmcnt(0) lgkmcnt(0)
	ds_write_b32 v12, v13 offset:1056
	v_add_u32_e32 v13, 16, v14
	v_cmp_gt_i32_e32 vcc, s20, v13
	s_and_saveexec_b64 s[10:11], vcc
	s_cbranch_execz .LBB139_18
; %bb.17:
	s_lshl_b64 s[12:13], s[24:25], 6
	v_mov_b32_e32 v1, s13
	v_add_co_u32_e32 v16, vcc, s12, v10
	v_addc_co_u32_e32 v17, vcc, v11, v1, vcc
	flat_load_dword v1, v[16:17]
.LBB139_18:
	s_or_b64 exec, exec, s[10:11]
	s_waitcnt vmcnt(0) lgkmcnt(0)
	ds_write_b32 v12, v1 offset:2112
	v_add_u32_e32 v1, 24, v14
	v_cmp_gt_i32_e32 vcc, s20, v1
	v_mov_b32_e32 v1, 0
	s_and_saveexec_b64 s[10:11], vcc
	s_cbranch_execz .LBB139_20
; %bb.19:
	v_mov_b32_e32 v1, 0x60
	v_mad_u64_u32 v[16:17], s[12:13], s24, v1, v[10:11]
	v_add_u32_e32 v17, s33, v17
	flat_load_dword v1, v[16:17]
.LBB139_20:
	s_or_b64 exec, exec, s[10:11]
	s_waitcnt vmcnt(0) lgkmcnt(0)
	ds_write_b32 v12, v1 offset:3168
	v_add_co_u32_e32 v1, vcc, v10, v15
	v_addc_co_u32_e32 v10, vcc, 0, v11, vcc
	v_mov_b32_e32 v11, s9
	v_subrev_co_u32_e32 v1, vcc, s8, v1
	v_subb_co_u32_e32 v10, vcc, v10, v11, vcc
	v_add_co_u32_e32 v1, vcc, 4, v1
	v_addc_co_u32_e32 v10, vcc, 0, v10, vcc
	v_cndmask_b32_e64 v11, v10, v3, s[2:3]
	v_cndmask_b32_e64 v10, v1, v2, s[2:3]
	v_mul_u32_u24_e32 v18, 33, v14
	s_branch .LBB139_23
.LBB139_21:
                                        ; implicit-def: $vgpr10_vgpr11
	v_mul_u32_u24_e32 v18, 33, v14
	s_cbranch_execz .LBB139_23
; %bb.22:
	flat_load_dword v1, v[2:3]
	s_lshl_b64 s[2:3], s[24:25], 5
	v_add_lshl_u32 v12, v18, v0, 2
	v_mov_b32_e32 v13, s3
	v_add_co_u32_e32 v10, vcc, s2, v2
	v_addc_co_u32_e32 v11, vcc, v3, v13, vcc
	s_waitcnt vmcnt(0) lgkmcnt(0)
	ds_write_b32 v12, v1
	flat_load_dword v1, v[10:11]
	v_add_co_u32_e32 v10, vcc, s2, v10
	v_addc_co_u32_e32 v11, vcc, v11, v13, vcc
	s_waitcnt vmcnt(0) lgkmcnt(0)
	ds_write_b32 v12, v1 offset:1056
	flat_load_dword v1, v[10:11]
	v_mov_b32_e32 v10, 0x60
	v_mad_u64_u32 v[10:11], s[2:3], s24, v10, v[2:3]
	v_add_u32_e32 v11, s33, v11
	s_waitcnt vmcnt(0) lgkmcnt(0)
	ds_write_b32 v12, v1 offset:2112
	flat_load_dword v1, v[10:11]
	v_pk_mov_b32 v[10:11], v[2:3], v[2:3] op_sel:[0,1]
	s_waitcnt vmcnt(0) lgkmcnt(0)
	ds_write_b32 v12, v1 offset:3168
.LBB139_23:
	v_lshlrev_b32_e32 v1, 2, v14
	v_mul_u32_u24_e32 v16, 33, v0
	v_cmp_gt_u32_e64 s[16:17], v1, v0
	v_add_lshl_u32 v23, v1, v16, 2
	s_waitcnt lgkmcnt(0)
	s_barrier
	s_and_saveexec_b64 s[2:3], s[16:17]
	s_cbranch_execz .LBB139_25
; %bb.24:
	v_mul_u32_u24_e32 v2, 0x84, v14
	v_add_lshl_u32 v2, v2, v0, 2
	ds_read_b32 v2, v2
	s_waitcnt lgkmcnt(0)
	ds_write_b32 v23, v2
.LBB139_25:
	s_or_b64 exec, exec, s[2:3]
	v_cmp_ge_u32_e64 s[8:9], v1, v0
	s_and_saveexec_b64 s[2:3], s[8:9]
	s_cbranch_execz .LBB139_27
; %bb.26:
	v_or_b32_e32 v2, 1, v1
	v_mul_u32_u24_e32 v2, 33, v2
	v_add_lshl_u32 v2, v2, v0, 2
	ds_read_b32 v2, v2
	s_waitcnt lgkmcnt(0)
	ds_write_b32 v23, v2 offset:4
.LBB139_27:
	s_or_b64 exec, exec, s[2:3]
	v_or_b32_e32 v2, 2, v1
	v_cmp_gt_u32_e64 s[10:11], v2, v0
	s_and_saveexec_b64 s[2:3], s[10:11]
	s_cbranch_execz .LBB139_29
; %bb.28:
	v_mul_u32_u24_e32 v2, 33, v2
	v_add_lshl_u32 v2, v2, v0, 2
	ds_read_b32 v2, v2
	s_waitcnt lgkmcnt(0)
	ds_write_b32 v23, v2 offset:8
.LBB139_29:
	s_or_b64 exec, exec, s[2:3]
	v_or_b32_e32 v2, 3, v1
	v_cmp_gt_u32_e64 s[12:13], v2, v0
	v_mad_u32_u24 v2, v2, 33, v0
	v_lshlrev_b32_e32 v20, 2, v2
	s_and_saveexec_b64 s[2:3], s[12:13]
	s_cbranch_execz .LBB139_31
; %bb.30:
	ds_read_b32 v2, v20
	s_waitcnt lgkmcnt(0)
	ds_write_b32 v23, v2 offset:12
.LBB139_31:
	s_or_b64 exec, exec, s[2:3]
	v_mul_u32_u24_e32 v2, 0x84, v14
	v_add_u32_e32 v22, 0xfffffef8, v20
	s_waitcnt lgkmcnt(0)
	s_barrier
	v_add_lshl_u32 v21, v2, v0, 2
	v_lshlrev_b32_e32 v24, 2, v1
	ds_read2_b32 v[2:3], v22 offset1:33
	ds_read_b32 v12, v21
	ds_read_b128 v[26:29], v24 offset:4544
	ds_read_b32 v31, v20
	v_add_lshl_u32 v19, v14, v16, 2
	s_waitcnt lgkmcnt(3)
	v_mov_b32_e32 v13, v2
	v_mov_b32_e32 v30, v3
	s_waitcnt lgkmcnt(1)
	v_pk_mul_f32 v[12:13], v[12:13], v[26:27]
	v_add_f32_e32 v2, 0, v12
	v_add_f32_e32 v12, v2, v13
	s_waitcnt lgkmcnt(0)
	v_pk_mul_f32 v[2:3], v[30:31], v[28:29]
	v_add_f32_e32 v2, v12, v2
	v_add_f32_e32 v2, v2, v3
	v_cmp_gt_u32_e64 s[2:3], 32, v36
	v_mov_b32_e32 v52, 0
	v_lshlrev_b32_e32 v17, 2, v16
	s_barrier
	ds_write_b32 v19, v2
	s_waitcnt lgkmcnt(0)
	s_barrier
	s_and_saveexec_b64 s[14:15], s[2:3]
	s_cbranch_execz .LBB139_33
; %bb.32:
	ds_read2_b32 v[2:3], v17 offset1:1
	ds_read2_b32 v[12:13], v17 offset0:2 offset1:3
	ds_read2_b32 v[26:27], v17 offset0:4 offset1:5
	;; [unrolled: 1-line block ×3, first 2 shown]
	s_waitcnt lgkmcnt(3)
	v_add_f32_e32 v2, v2, v3
	s_waitcnt lgkmcnt(2)
	v_add_f32_e32 v2, v2, v12
	v_add_f32_e32 v2, v2, v13
	s_waitcnt lgkmcnt(1)
	v_add_f32_e32 v2, v2, v26
	;; [unrolled: 3-line block ×3, first 2 shown]
	v_add_f32_e32 v52, v2, v29
.LBB139_33:
	s_or_b64 exec, exec, s[14:15]
	s_lshl_b64 s[14:15], s[24:25], 7
	v_mov_b32_e32 v2, s15
	v_add_co_u32_e32 v10, vcc, s14, v10
	v_addc_co_u32_e32 v11, vcc, v11, v2, vcc
	v_add_co_u32_e32 v2, vcc, 0x80, v10
	v_addc_co_u32_e32 v3, vcc, 0, v11, vcc
	s_lshl_b64 s[34:35], s[24:25], 5
	s_and_b64 vcc, exec, s[36:37]
	s_barrier
	s_cbranch_vccz .LBB139_43
; %bb.34:
	v_or_b32_e32 v12, 32, v0
	v_lshlrev_b32_e32 v13, 2, v12
	v_sub_co_u32_e32 v13, vcc, v2, v13
	s_ashr_i32 s21, s20, 31
	v_subbrev_co_u32_e32 v25, vcc, 0, v3, vcc
	s_lshl_b64 s[38:39], s[20:21], 2
	v_mov_b32_e32 v27, s39
	v_add_co_u32_e32 v13, vcc, s38, v13
	v_addc_co_u32_e32 v25, vcc, v25, v27, vcc
	v_add_co_u32_e32 v27, vcc, -4, v13
	v_addc_co_u32_e32 v13, vcc, -1, v25, vcc
	v_cmp_gt_i32_e64 s[14:15], s20, v12
	s_sub_i32 s21, s20, 32
	v_mov_b32_e32 v26, 0
	v_cndmask_b32_e64 v13, v13, v3, s[14:15]
	v_cndmask_b32_e64 v12, v27, v2, s[14:15]
	v_cmp_gt_i32_e32 vcc, s21, v14
	v_mov_b32_e32 v27, 0
	s_and_saveexec_b64 s[40:41], vcc
	s_cbranch_execz .LBB139_36
; %bb.35:
	flat_load_dword v27, v[12:13]
.LBB139_36:
	s_or_b64 exec, exec, s[40:41]
	v_add_lshl_u32 v25, v18, v0, 2
	s_waitcnt vmcnt(0) lgkmcnt(0)
	ds_write_b32 v25, v27
	v_add_u32_e32 v27, 8, v14
	v_cmp_gt_i32_e32 vcc, s21, v27
	s_and_saveexec_b64 s[40:41], vcc
	s_cbranch_execz .LBB139_38
; %bb.37:
	v_mov_b32_e32 v27, s35
	v_add_co_u32_e32 v26, vcc, s34, v12
	v_addc_co_u32_e32 v27, vcc, v13, v27, vcc
	flat_load_dword v26, v[26:27]
.LBB139_38:
	s_or_b64 exec, exec, s[40:41]
	s_waitcnt vmcnt(0) lgkmcnt(0)
	ds_write_b32 v25, v26 offset:1056
	v_add_u32_e32 v26, 16, v14
	v_cmp_gt_i32_e32 vcc, s21, v26
	v_mov_b32_e32 v26, 0
	v_mov_b32_e32 v27, 0
	s_and_saveexec_b64 s[40:41], vcc
	s_cbranch_execz .LBB139_40
; %bb.39:
	s_lshl_b64 s[42:43], s[24:25], 6
	v_mov_b32_e32 v27, s43
	v_add_co_u32_e32 v28, vcc, s42, v12
	v_addc_co_u32_e32 v29, vcc, v13, v27, vcc
	flat_load_dword v27, v[28:29]
.LBB139_40:
	s_or_b64 exec, exec, s[40:41]
	s_waitcnt vmcnt(0) lgkmcnt(0)
	ds_write_b32 v25, v27 offset:2112
	v_add_u32_e32 v27, 24, v14
	v_cmp_gt_i32_e32 vcc, s21, v27
	s_and_saveexec_b64 s[40:41], vcc
	s_cbranch_execz .LBB139_42
; %bb.41:
	v_mov_b32_e32 v26, 0x60
	v_mad_u64_u32 v[26:27], s[42:43], s24, v26, v[12:13]
	v_add_u32_e32 v27, s33, v27
	flat_load_dword v26, v[26:27]
.LBB139_42:
	s_or_b64 exec, exec, s[40:41]
	v_add_co_u32_e32 v12, vcc, v12, v15
	v_addc_co_u32_e32 v13, vcc, 0, v13, vcc
	s_waitcnt vmcnt(0) lgkmcnt(0)
	ds_write_b32 v25, v26 offset:3168
	v_mov_b32_e32 v25, s39
	v_subrev_co_u32_e32 v12, vcc, s38, v12
	v_subb_co_u32_e32 v13, vcc, v13, v25, vcc
	v_add_co_u32_e32 v12, vcc, 0x84, v12
	v_addc_co_u32_e32 v13, vcc, 0, v13, vcc
	v_cndmask_b32_e64 v13, v13, v3, s[14:15]
	v_cndmask_b32_e64 v12, v12, v2, s[14:15]
	s_branch .LBB139_45
.LBB139_43:
                                        ; implicit-def: $vgpr12_vgpr13
	s_cbranch_execz .LBB139_45
; %bb.44:
	flat_load_dword v25, v[10:11] offset:128
	v_add_lshl_u32 v26, v18, v0, 2
	v_mov_b32_e32 v27, s35
	v_add_co_u32_e32 v12, vcc, s34, v10
	v_addc_co_u32_e32 v13, vcc, v11, v27, vcc
	s_waitcnt vmcnt(0) lgkmcnt(0)
	ds_write_b32 v26, v25
	flat_load_dword v25, v[12:13] offset:128
	v_add_co_u32_e32 v12, vcc, s34, v12
	v_addc_co_u32_e32 v13, vcc, v13, v27, vcc
	s_waitcnt vmcnt(0) lgkmcnt(0)
	ds_write_b32 v26, v25 offset:1056
	flat_load_dword v12, v[12:13] offset:128
	v_mov_b32_e32 v13, 0x60
	v_mad_u64_u32 v[10:11], s[14:15], s24, v13, v[10:11]
	v_add_u32_e32 v11, s33, v11
	s_waitcnt vmcnt(0) lgkmcnt(0)
	ds_write_b32 v26, v12 offset:2112
	flat_load_dword v10, v[10:11] offset:128
	v_pk_mov_b32 v[12:13], v[2:3], v[2:3] op_sel:[0,1]
	s_waitcnt vmcnt(0) lgkmcnt(0)
	ds_write_b32 v26, v10 offset:3168
.LBB139_45:
	s_waitcnt lgkmcnt(0)
	s_barrier
	s_and_saveexec_b64 s[14:15], s[16:17]
	s_cbranch_execnz .LBB139_62
; %bb.46:
	s_or_b64 exec, exec, s[14:15]
	s_and_saveexec_b64 s[14:15], s[8:9]
	s_cbranch_execnz .LBB139_63
.LBB139_47:
	s_or_b64 exec, exec, s[14:15]
	s_and_saveexec_b64 s[8:9], s[10:11]
	s_cbranch_execnz .LBB139_64
.LBB139_48:
	s_or_b64 exec, exec, s[8:9]
	v_add_u32_e32 v24, 0x11c0, v24
	s_and_saveexec_b64 s[8:9], s[12:13]
	s_cbranch_execz .LBB139_50
.LBB139_49:
	ds_read_b32 v2, v20
	s_waitcnt lgkmcnt(0)
	ds_write_b32 v23, v2 offset:12
.LBB139_50:
	s_or_b64 exec, exec, s[8:9]
	s_waitcnt lgkmcnt(0)
	s_barrier
	ds_read_b32 v10, v21
	ds_read_b128 v[26:29], v24 offset:128
	ds_read2_b32 v[2:3], v22 offset1:33
	ds_read_b32 v11, v20
	v_cmp_eq_u32_e64 s[8:9], 1, v14
	s_waitcnt lgkmcnt(0)
	v_fma_f32 v10, v10, v26, 0
	v_fmac_f32_e32 v10, v2, v27
	v_fmac_f32_e32 v10, v3, v28
	;; [unrolled: 1-line block ×3, first 2 shown]
	s_barrier
	ds_write_b32 v19, v10
	s_waitcnt lgkmcnt(0)
	s_barrier
	s_and_saveexec_b64 s[10:11], s[8:9]
	s_cbranch_execz .LBB139_52
; %bb.51:
	ds_read2_b32 v[2:3], v17 offset1:1
	ds_read2_b32 v[10:11], v17 offset0:2 offset1:3
	ds_read2_b32 v[26:27], v17 offset0:4 offset1:5
	ds_read2_b32 v[28:29], v17 offset0:6 offset1:7
	s_waitcnt lgkmcnt(3)
	v_add_f32_e32 v2, v2, v3
	s_waitcnt lgkmcnt(2)
	v_add_f32_e32 v2, v2, v10
	v_add_f32_e32 v2, v2, v11
	s_waitcnt lgkmcnt(1)
	v_add_f32_e32 v2, v2, v26
	;; [unrolled: 3-line block ×3, first 2 shown]
	v_add_f32_e32 v52, v2, v29
.LBB139_52:
	s_or_b64 exec, exec, s[10:11]
	v_add_co_u32_e32 v2, vcc, 0xffffff80, v12
	v_addc_co_u32_e32 v3, vcc, -1, v13, vcc
	s_and_b64 vcc, exec, s[36:37]
	s_barrier
	s_cbranch_vccz .LBB139_65
; %bb.53:
	v_sub_co_u32_e32 v10, vcc, v2, v15
	s_ashr_i32 s21, s20, 31
	v_subbrev_co_u32_e32 v11, vcc, 0, v3, vcc
	s_lshl_b64 s[12:13], s[20:21], 2
	v_mov_b32_e32 v12, s13
	v_add_co_u32_e32 v10, vcc, s12, v10
	v_addc_co_u32_e32 v11, vcc, v11, v12, vcc
	v_add_co_u32_e32 v10, vcc, -4, v10
	v_addc_co_u32_e32 v11, vcc, -1, v11, vcc
	v_cmp_gt_i32_e32 vcc, s20, v0
	s_sub_i32 s16, s20, 32
	v_mov_b32_e32 v13, 0
	v_cndmask_b32_e32 v11, v11, v3, vcc
	v_cndmask_b32_e32 v10, v10, v2, vcc
	v_cmp_gt_i32_e64 s[10:11], s16, v14
	v_mov_b32_e32 v12, 0
	s_and_saveexec_b64 s[14:15], s[10:11]
	s_cbranch_execz .LBB139_55
; %bb.54:
	flat_load_dword v12, v[10:11]
.LBB139_55:
	s_or_b64 exec, exec, s[14:15]
	v_add_lshl_u32 v25, v18, v0, 2
	s_waitcnt vmcnt(0) lgkmcnt(0)
	ds_write_b32 v25, v12
	v_add_u32_e32 v12, 8, v14
	v_cmp_gt_i32_e64 s[10:11], s16, v12
	s_and_saveexec_b64 s[14:15], s[10:11]
	s_cbranch_execz .LBB139_57
; %bb.56:
	v_mov_b32_e32 v13, s35
	v_add_co_u32_e64 v26, s[10:11], s34, v10
	v_addc_co_u32_e64 v27, s[10:11], v11, v13, s[10:11]
	flat_load_dword v13, v[26:27]
.LBB139_57:
	s_or_b64 exec, exec, s[14:15]
	s_waitcnt vmcnt(0) lgkmcnt(0)
	ds_write_b32 v25, v13 offset:1056
	v_add_u32_e32 v13, 16, v14
	v_cmp_gt_i32_e64 s[10:11], s16, v13
	v_mov_b32_e32 v26, 0
	v_mov_b32_e32 v23, 0
	s_and_saveexec_b64 s[14:15], s[10:11]
	s_cbranch_execz .LBB139_59
; %bb.58:
	s_lshl_b64 s[10:11], s[24:25], 6
	v_mov_b32_e32 v23, s11
	v_add_co_u32_e64 v28, s[10:11], s10, v10
	v_addc_co_u32_e64 v29, s[10:11], v11, v23, s[10:11]
	flat_load_dword v23, v[28:29]
.LBB139_59:
	s_or_b64 exec, exec, s[14:15]
	s_waitcnt vmcnt(0) lgkmcnt(0)
	ds_write_b32 v25, v23 offset:2112
	v_add_u32_e32 v23, 24, v14
	v_cmp_gt_i32_e64 s[10:11], s16, v23
	s_and_saveexec_b64 s[14:15], s[10:11]
	s_cbranch_execz .LBB139_61
; %bb.60:
	v_mov_b32_e32 v26, 0x60
	v_mad_u64_u32 v[26:27], s[10:11], s24, v26, v[10:11]
	v_add_u32_e32 v27, s33, v27
	flat_load_dword v26, v[26:27]
.LBB139_61:
	s_or_b64 exec, exec, s[14:15]
	v_add_co_u32_e64 v10, s[10:11], v10, v15
	v_addc_co_u32_e64 v11, s[10:11], 0, v11, s[10:11]
	v_mov_b32_e32 v15, s13
	v_subrev_co_u32_e64 v10, s[10:11], s12, v10
	v_subb_co_u32_e64 v11, s[10:11], v11, v15, s[10:11]
	v_add_co_u32_e64 v10, s[10:11], 4, v10
	v_addc_co_u32_e64 v11, s[10:11], 0, v11, s[10:11]
	s_waitcnt vmcnt(0) lgkmcnt(0)
	ds_write_b32 v25, v26 offset:3168
	v_cndmask_b32_e32 v35, v11, v3, vcc
	v_cndmask_b32_e32 v34, v10, v2, vcc
	s_branch .LBB139_67
.LBB139_62:
	ds_read_b32 v2, v21
	s_waitcnt lgkmcnt(0)
	ds_write_b32 v23, v2
	s_or_b64 exec, exec, s[14:15]
	s_and_saveexec_b64 s[14:15], s[8:9]
	s_cbranch_execz .LBB139_47
.LBB139_63:
	ds_read_b32 v2, v22
	s_waitcnt lgkmcnt(0)
	ds_write_b32 v23, v2 offset:4
	s_or_b64 exec, exec, s[14:15]
	s_and_saveexec_b64 s[8:9], s[10:11]
	s_cbranch_execz .LBB139_48
.LBB139_64:
	ds_read_b32 v2, v22 offset:132
	s_waitcnt lgkmcnt(0)
	ds_write_b32 v23, v2 offset:8
	s_or_b64 exec, exec, s[8:9]
	v_add_u32_e32 v24, 0x11c0, v24
	s_and_saveexec_b64 s[8:9], s[12:13]
	s_cbranch_execnz .LBB139_49
	s_branch .LBB139_50
.LBB139_65:
                                        ; implicit-def: $vgpr34_vgpr35
                                        ; implicit-def: $vgpr12
                                        ; implicit-def: $vgpr13
                                        ; implicit-def: $vgpr23
	s_cbranch_execz .LBB139_67
; %bb.66:
	flat_load_dword v12, v[2:3]
	v_add_lshl_u32 v0, v18, v0, 2
	v_mov_b32_e32 v13, s35
	v_add_co_u32_e32 v10, vcc, s34, v2
	v_addc_co_u32_e32 v11, vcc, v3, v13, vcc
	v_add_u32_e32 v23, 24, v14
	v_pk_mov_b32 v[34:35], v[2:3], v[2:3] op_sel:[0,1]
	s_waitcnt vmcnt(0) lgkmcnt(0)
	ds_write_b32 v0, v12
	flat_load_dword v12, v[10:11]
	v_add_co_u32_e32 v10, vcc, s34, v10
	v_addc_co_u32_e32 v11, vcc, v11, v13, vcc
	v_add_u32_e32 v13, 16, v14
	s_waitcnt vmcnt(0) lgkmcnt(0)
	ds_write_b32 v0, v12 offset:1056
	flat_load_dword v12, v[10:11]
	v_mov_b32_e32 v10, 0x60
	v_mad_u64_u32 v[10:11], s[10:11], s24, v10, v[2:3]
	v_add_u32_e32 v11, s33, v11
	s_waitcnt vmcnt(0) lgkmcnt(0)
	ds_write_b32 v0, v12 offset:2112
	flat_load_dword v10, v[10:11]
	v_add_u32_e32 v12, 8, v14
	s_waitcnt vmcnt(0) lgkmcnt(0)
	ds_write_b32 v0, v10 offset:3168
.LBB139_67:
	v_add_lshl_u32 v14, v12, v16, 2
	v_lshlrev_b32_e32 v15, 2, v12
	v_add_lshl_u32 v18, v13, v16, 2
	v_lshlrev_b32_e32 v13, 2, v13
	;; [unrolled: 2-line block ×3, first 2 shown]
	s_waitcnt lgkmcnt(0)
	s_barrier
	ds_read_b32 v25, v1 offset:4544
	ds_read_b32 v12, v21
	ds_read_b32 v21, v19
	ds_read_b128 v[0:3], v24 offset:128
	ds_read2_b32 v[10:11], v22 offset1:33
	ds_read_b32 v14, v14
	ds_read_b32 v15, v15 offset:4544
	ds_read_b32 v18, v18
	ds_read_b32 v22, v13 offset:4544
	;; [unrolled: 2-line block ×3, first 2 shown]
	ds_read_b32 v13, v20
	s_waitcnt lgkmcnt(9)
	v_fma_f32 v20, v21, v25, 0
	s_waitcnt lgkmcnt(5)
	v_fmac_f32_e32 v20, v14, v15
	s_waitcnt lgkmcnt(3)
	v_fmac_f32_e32 v20, v18, v22
	;; [unrolled: 2-line block ×3, first 2 shown]
	s_waitcnt lgkmcnt(0)
	s_barrier
	ds_write_b32 v19, v20
	s_waitcnt lgkmcnt(0)
	s_barrier
	s_and_saveexec_b64 s[10:11], s[8:9]
	s_cbranch_execz .LBB139_69
; %bb.68:
	ds_read2_b32 v[14:15], v17 offset1:1
	ds_read2_b32 v[20:21], v17 offset0:2 offset1:3
	ds_read2_b32 v[22:23], v17 offset0:4 offset1:5
	;; [unrolled: 1-line block ×3, first 2 shown]
	s_waitcnt lgkmcnt(3)
	v_add_f32_e32 v14, v52, v14
	v_add_f32_e32 v14, v14, v15
	s_waitcnt lgkmcnt(2)
	v_add_f32_e32 v14, v14, v20
	v_add_f32_e32 v14, v14, v21
	;; [unrolled: 3-line block ×4, first 2 shown]
.LBB139_69:
	s_or_b64 exec, exec, s[10:11]
	v_fma_f32 v0, v12, v0, 0
	v_fmac_f32_e32 v0, v10, v1
	v_fmac_f32_e32 v0, v11, v2
	;; [unrolled: 1-line block ×3, first 2 shown]
	s_barrier
	ds_write_b32 v19, v0
	s_waitcnt lgkmcnt(0)
	s_barrier
	s_and_saveexec_b64 s[8:9], s[2:3]
	s_cbranch_execz .LBB139_71
; %bb.70:
	ds_read2_b32 v[0:1], v17 offset1:1
	ds_read2_b32 v[2:3], v17 offset0:2 offset1:3
	ds_read2_b32 v[10:11], v17 offset0:4 offset1:5
	;; [unrolled: 1-line block ×3, first 2 shown]
	s_waitcnt lgkmcnt(3)
	v_add_f32_e32 v0, v52, v0
	v_add_f32_e32 v0, v0, v1
	s_waitcnt lgkmcnt(2)
	v_add_f32_e32 v0, v0, v2
	v_add_f32_e32 v0, v0, v3
	;; [unrolled: 3-line block ×4, first 2 shown]
.LBB139_71:
	s_or_b64 exec, exec, s[8:9]
	s_load_dwordx2 s[2:3], s[4:5], 0x60
	s_mul_hi_u32 s4, s30, s28
	s_mul_i32 s31, s31, s28
	s_add_i32 s4, s4, s31
	s_mul_i32 s8, s30, s28
	s_mul_i32 s4, s4, s7
	s_mul_hi_u32 s5, s8, s7
	s_add_i32 s5, s5, s4
	s_mul_i32 s4, s8, s7
	s_lshl_b64 s[4:5], s[4:5], 2
	s_waitcnt lgkmcnt(0)
	s_add_u32 s4, s2, s4
	s_addc_u32 s5, s3, s5
	s_mul_hi_i32 s3, s30, s6
	s_mul_i32 s2, s30, s6
	s_lshl_b64 s[2:3], s[2:3], 2
	s_add_u32 s14, s4, s2
	s_addc_u32 s15, s5, s3
	s_add_i32 s2, s6, 1
	s_cmp_ge_u32 s2, s7
	v_lshlrev_b32_e32 v0, 2, v50
	s_barrier
	s_cbranch_scc1 .LBB139_128
; %bb.72:
	s_mul_i32 s2, s26, s19
	s_mul_hi_u32 s3, s26, s18
	s_add_i32 s2, s3, s2
	s_mul_i32 s3, s27, s18
	s_add_i32 s3, s2, s3
	s_mul_i32 s2, s26, s18
	s_lshl_b64 s[2:3], s[2:3], 2
	v_mov_b32_e32 v1, s3
	v_subrev_co_u32_e32 v54, vcc, s2, v8
	v_subb_co_u32_e32 v55, vcc, v9, v1, vcc
	s_lshl_b64 s[2:3], s[34:35], 2
	v_mov_b32_e32 v1, s3
	v_add_co_u32_e32 v2, vcc, s2, v34
	v_lshlrev_b32_e32 v53, 2, v51
	v_addc_co_u32_e32 v1, vcc, v35, v1, vcc
	v_sub_co_u32_e32 v11, vcc, v2, v6
	v_mad_u64_u32 v[2:3], s[2:3], v53, s24, 0
	v_mov_b32_e32 v8, v3
	v_mad_u64_u32 v[8:9], s[2:3], v53, s25, v[8:9]
	v_mov_b32_e32 v3, v8
	v_subb_co_u32_e32 v1, vcc, v1, v7, vcc
	v_lshlrev_b64 v[2:3], 2, v[2:3]
	v_add_co_u32_e32 v2, vcc, v11, v2
	v_addc_co_u32_e32 v1, vcc, v1, v3, vcc
	v_and_b32_e32 v3, 48, v50
	v_and_b32_e32 v10, 15, v50
	v_lshlrev_b32_e32 v8, 2, v3
	s_movk_i32 s2, 0x10c
	v_mad_u32_u24 v56, v10, s2, v8
	v_or_b32_e32 v8, 60, v0
	v_lshlrev_b32_e32 v37, 4, v51
	v_mad_u32_u24 v57, v10, s2, v8
	v_and_b32_e32 v8, 0x1fff0, v36
	v_or_b32_e32 v59, v3, v10
	v_add_u32_e32 v3, 0x8c, v37
	v_mad_u32_u24 v58, v10, s2, v8
	v_mad_u64_u32 v[8:9], s[2:3], s24, v3, 0
	v_mov_b32_e32 v10, v9
	v_mad_u64_u32 v[10:11], s[2:3], s25, v3, v[10:11]
	v_mov_b32_e32 v3, v10
	v_sub_co_u32_e32 v8, vcc, v8, v6
	v_add_u32_e32 v9, 0x88, v37
	v_subb_co_u32_e32 v3, vcc, v3, v7, vcc
	v_mad_u64_u32 v[10:11], s[2:3], s24, v9, 0
	v_add_co_u32_e32 v8, vcc, v34, v8
	v_mov_b32_e32 v12, v11
	v_addc_co_u32_e32 v3, vcc, v35, v3, vcc
	v_mad_u64_u32 v[12:13], s[2:3], s25, v9, v[12:13]
	v_mov_b32_e32 v9, v12
	v_sub_co_u32_e32 v10, vcc, v10, v6
	v_add_u32_e32 v11, 0x84, v37
	v_subb_co_u32_e32 v9, vcc, v9, v7, vcc
	v_mad_u64_u32 v[12:13], s[2:3], s24, v11, 0
	v_add_co_u32_e32 v10, vcc, v34, v10
	v_mov_b32_e32 v14, v13
	v_addc_co_u32_e32 v9, vcc, v35, v9, vcc
	;; [unrolled: 9-line block ×3, first 2 shown]
	v_mad_u64_u32 v[16:17], s[2:3], s25, v13, v[16:17]
	v_mov_b32_e32 v13, v16
	v_sub_co_u32_e32 v18, vcc, v14, v6
	v_subb_co_u32_e32 v19, vcc, v13, v7, vcc
	v_add_u32_e32 v13, 0xc8, v37
	v_mad_u64_u32 v[14:15], s[2:3], s24, v13, 0
	v_mov_b32_e32 v16, v15
	v_mad_u64_u32 v[16:17], s[2:3], s25, v13, v[16:17]
	v_mov_b32_e32 v13, v16
	v_sub_co_u32_e32 v20, vcc, v14, v6
	v_subb_co_u32_e32 v21, vcc, v13, v7, vcc
	v_add_u32_e32 v13, 0xc4, v37
	v_mad_u64_u32 v[14:15], s[2:3], s24, v13, 0
	v_mov_b32_e32 v16, v15
	;; [unrolled: 7-line block ×11, first 2 shown]
	v_mad_u64_u32 v[14:15], s[2:3], s25, v13, v[14:15]
	v_mov_b32_e32 v15, v14
	v_add_co_u32_e32 v14, vcc, v34, v18
	v_addc_co_u32_e32 v13, vcc, v35, v19, vcc
	v_sub_co_u32_e32 v44, vcc, v16, v6
	v_subb_co_u32_e32 v45, vcc, v15, v7, vcc
	v_add_co_u32_e32 v6, vcc, v34, v20
	v_addc_co_u32_e32 v7, vcc, v35, v21, vcc
	v_add_co_u32_e32 v16, vcc, v34, v22
	v_addc_co_u32_e32 v15, vcc, v35, v23, vcc
	;; [unrolled: 2-line block ×10, first 2 shown]
	v_cmp_gt_u32_e64 s[2:3], 64, v36
	v_lshrrev_b32_e32 v36, 4, v36
	v_add_co_u32_e32 v34, vcc, v34, v44
	s_movk_i32 s4, 0x430
	v_mul_i32_i24_e32 v36, -12, v36
	v_addc_co_u32_e32 v33, vcc, v35, v45, vcc
	s_add_i32 s16, s7, -2
	v_add_u32_e32 v35, 0x10c0, v37
	s_add_i32 s17, s26, 64
	s_lshl_b64 s[10:11], s[24:25], 8
	v_add_u32_e32 v60, v58, v36
	v_add_u32_e32 v61, 0x10c0, v0
	;; [unrolled: 1-line block ×3, first 2 shown]
	v_or_b32_e32 v63, 1, v53
	v_or_b32_e32 v64, 2, v53
	;; [unrolled: 1-line block ×3, first 2 shown]
	v_mad_u32_u24 v66, v51, s4, v0
	v_add_u32_e32 v67, 16, v53
	v_add_u32_e32 v68, 17, v53
	;; [unrolled: 1-line block ×12, first 2 shown]
	s_cmp_eq_u32 s16, s6
	s_cselect_b32 s21, s29, 0
	s_and_saveexec_b64 s[4:5], s[0:1]
	s_cbranch_execz .LBB139_76
.LBB139_73:
	s_cmp_eq_u32 s21, 0
	s_cselect_b64 s[8:9], -1, 0
	v_cmp_gt_i32_e32 vcc, s21, v50
	s_or_b64 s[12:13], s[8:9], vcc
	v_mov_b32_e32 v36, 0
	s_and_saveexec_b64 s[8:9], s[12:13]
	s_cbranch_execz .LBB139_75
; %bb.74:
	s_ashr_i32 s12, s17, 31
	s_mul_i32 s13, s17, s19
	s_mul_hi_u32 s24, s17, s18
	s_add_i32 s13, s24, s13
	s_mul_i32 s12, s12, s18
	s_add_i32 s13, s13, s12
	s_mul_i32 s12, s17, s18
	s_lshl_b64 s[12:13], s[12:13], 2
	v_mov_b32_e32 v37, s13
	v_add_co_u32_e32 v36, vcc, s12, v54
	v_addc_co_u32_e32 v37, vcc, v55, v37, vcc
	flat_load_dword v36, v[36:37]
.LBB139_75:
	s_or_b64 exec, exec, s[8:9]
	s_waitcnt vmcnt(0) lgkmcnt(0)
	ds_write_b32 v61, v36
.LBB139_76:                             ; =>This Inner Loop Header: Depth=1
	s_or_b64 exec, exec, s[4:5]
	s_cmp_eq_u32 s21, 0
	v_add_co_u32_e32 v36, vcc, v2, v0
	s_cselect_b64 s[12:13], -1, 0
	s_cmp_lg_u32 s21, 0
	v_addc_co_u32_e32 v37, vcc, 0, v1, vcc
	s_cselect_b64 s[8:9], -1, 0
	s_and_b64 vcc, exec, s[8:9]
	s_waitcnt lgkmcnt(0)
	s_barrier
	s_cbranch_vccz .LBB139_124
; %bb.77:                               ;   in Loop: Header=BB139_76 Depth=1
	v_cmp_gt_i32_e32 vcc, s21, v53
	v_mov_b32_e32 v80, 0
	v_mov_b32_e32 v79, 0
	s_and_saveexec_b64 s[4:5], vcc
	s_cbranch_execz .LBB139_79
; %bb.78:                               ;   in Loop: Header=BB139_76 Depth=1
	flat_load_dword v79, v[36:37]
.LBB139_79:                             ;   in Loop: Header=BB139_76 Depth=1
	s_or_b64 exec, exec, s[4:5]
	v_cmp_gt_i32_e32 vcc, s21, v63
	s_and_saveexec_b64 s[4:5], vcc
	s_cbranch_execz .LBB139_81
; %bb.80:                               ;   in Loop: Header=BB139_76 Depth=1
	v_add_co_u32_e32 v38, vcc, v12, v0
	v_addc_co_u32_e32 v39, vcc, 0, v11, vcc
	flat_load_dword v80, v[38:39]
.LBB139_81:                             ;   in Loop: Header=BB139_76 Depth=1
	s_or_b64 exec, exec, s[4:5]
	v_cmp_gt_i32_e32 vcc, s21, v64
	v_mov_b32_e32 v82, 0
	v_mov_b32_e32 v81, 0
	s_and_saveexec_b64 s[4:5], vcc
	s_cbranch_execz .LBB139_83
; %bb.82:                               ;   in Loop: Header=BB139_76 Depth=1
	v_add_co_u32_e32 v38, vcc, v10, v0
	v_addc_co_u32_e32 v39, vcc, 0, v9, vcc
	flat_load_dword v81, v[38:39]
.LBB139_83:                             ;   in Loop: Header=BB139_76 Depth=1
	s_or_b64 exec, exec, s[4:5]
	v_cmp_gt_i32_e32 vcc, s21, v65
	s_and_saveexec_b64 s[4:5], vcc
	s_cbranch_execz .LBB139_85
; %bb.84:                               ;   in Loop: Header=BB139_76 Depth=1
	v_add_co_u32_e32 v38, vcc, v8, v0
	v_addc_co_u32_e32 v39, vcc, 0, v3, vcc
	flat_load_dword v82, v[38:39]
.LBB139_85:                             ;   in Loop: Header=BB139_76 Depth=1
	s_or_b64 exec, exec, s[4:5]
	s_branch .LBB139_87
.LBB139_86:                             ;   in Loop: Header=BB139_76 Depth=1
	s_waitcnt vmcnt(0) lgkmcnt(0)
	flat_load_dword v79, v[36:37]
	v_add_co_u32_e32 v36, vcc, v12, v0
	v_addc_co_u32_e32 v37, vcc, 0, v11, vcc
	flat_load_dword v80, v[36:37]
	v_add_co_u32_e32 v36, vcc, v10, v0
	v_addc_co_u32_e32 v37, vcc, 0, v9, vcc
	;; [unrolled: 3-line block ×3, first 2 shown]
	flat_load_dword v82, v[36:37]
.LBB139_87:                             ;   in Loop: Header=BB139_76 Depth=1
	ds_read_b32 v36, v62
	ds_read_b32 v83, v35
	v_cndmask_b32_e64 v40, 0, 1, s[8:9]
	v_cmp_ne_u32_e64 s[4:5], 1, v40
	s_andn2_b64 vcc, exec, s[8:9]
	s_waitcnt vmcnt(0) lgkmcnt(0)
	v_mul_f32_e32 v37, v79, v36
	v_mul_f32_e32 v38, v80, v36
	ds_write_b32 v66, v37
	v_mul_f32_e32 v39, v81, v36
	ds_read_b32 v84, v35 offset:4
	ds_write_b32 v66, v38 offset:268
	ds_read_b32 v85, v35 offset:8
	ds_write_b32 v66, v39 offset:536
	v_mul_f32_e32 v36, v82, v36
	ds_read_b32 v86, v35 offset:12
	ds_write_b32 v66, v36 offset:804
	s_waitcnt lgkmcnt(0)
	s_barrier
	ds_read2_b32 v[38:39], v58 offset1:1
	ds_read2_b32 v[36:37], v58 offset0:2 offset1:3
	v_add_co_u32_e64 v40, s[8:9], v18, v0
	v_addc_co_u32_e64 v41, s[8:9], 0, v17, s[8:9]
	s_waitcnt lgkmcnt(0)
	s_barrier
	s_cbranch_vccnz .LBB139_125
; %bb.88:                               ;   in Loop: Header=BB139_76 Depth=1
	v_cmp_gt_i32_e32 vcc, s21, v67
	v_mov_b32_e32 v88, 0
	v_mov_b32_e32 v87, 0
	s_and_saveexec_b64 s[8:9], vcc
	s_cbranch_execz .LBB139_90
; %bb.89:                               ;   in Loop: Header=BB139_76 Depth=1
	flat_load_dword v87, v[40:41]
.LBB139_90:                             ;   in Loop: Header=BB139_76 Depth=1
	s_or_b64 exec, exec, s[8:9]
	v_cmp_gt_i32_e32 vcc, s21, v68
	s_and_saveexec_b64 s[8:9], vcc
	s_cbranch_execz .LBB139_92
; %bb.91:                               ;   in Loop: Header=BB139_76 Depth=1
	v_add_co_u32_e32 v42, vcc, v16, v0
	v_addc_co_u32_e32 v43, vcc, 0, v15, vcc
	flat_load_dword v88, v[42:43]
.LBB139_92:                             ;   in Loop: Header=BB139_76 Depth=1
	s_or_b64 exec, exec, s[8:9]
	v_cmp_gt_i32_e32 vcc, s21, v69
	v_mov_b32_e32 v90, 0
	v_mov_b32_e32 v89, 0
	s_and_saveexec_b64 s[8:9], vcc
	s_cbranch_execz .LBB139_94
; %bb.93:                               ;   in Loop: Header=BB139_76 Depth=1
	v_add_co_u32_e32 v42, vcc, v6, v0
	v_addc_co_u32_e32 v43, vcc, 0, v7, vcc
	flat_load_dword v89, v[42:43]
.LBB139_94:                             ;   in Loop: Header=BB139_76 Depth=1
	s_or_b64 exec, exec, s[8:9]
	v_cmp_gt_i32_e32 vcc, s21, v70
	s_and_saveexec_b64 s[8:9], vcc
	s_cbranch_execz .LBB139_96
; %bb.95:                               ;   in Loop: Header=BB139_76 Depth=1
	v_add_co_u32_e32 v42, vcc, v14, v0
	v_addc_co_u32_e32 v43, vcc, 0, v13, vcc
	flat_load_dword v90, v[42:43]
.LBB139_96:                             ;   in Loop: Header=BB139_76 Depth=1
	s_or_b64 exec, exec, s[8:9]
	s_branch .LBB139_98
.LBB139_97:                             ;   in Loop: Header=BB139_76 Depth=1
	s_waitcnt vmcnt(0) lgkmcnt(0)
	flat_load_dword v87, v[40:41]
	v_add_co_u32_e32 v40, vcc, v16, v0
	v_addc_co_u32_e32 v41, vcc, 0, v15, vcc
	flat_load_dword v88, v[40:41]
	v_add_co_u32_e32 v40, vcc, v6, v0
	v_addc_co_u32_e32 v41, vcc, 0, v7, vcc
	flat_load_dword v89, v[40:41]
	v_add_co_u32_e32 v40, vcc, v14, v0
	v_addc_co_u32_e32 v41, vcc, 0, v13, vcc
	flat_load_dword v90, v[40:41]
.LBB139_98:                             ;   in Loop: Header=BB139_76 Depth=1
	ds_read_b32 v40, v62
	ds_read_b32 v91, v35 offset:64
	v_add_co_u32_e64 v44, s[8:9], v26, v0
	s_and_b64 vcc, exec, s[4:5]
	s_waitcnt vmcnt(0) lgkmcnt(0)
	v_mul_f32_e32 v41, v87, v40
	v_mul_f32_e32 v42, v88, v40
	ds_write_b32 v66, v41
	v_mul_f32_e32 v43, v89, v40
	ds_read_b32 v92, v35 offset:68
	ds_write_b32 v66, v42 offset:268
	ds_read_b32 v93, v35 offset:72
	ds_write_b32 v66, v43 offset:536
	v_mul_f32_e32 v40, v90, v40
	ds_read_b32 v94, v35 offset:76
	ds_write_b32 v66, v40 offset:804
	s_waitcnt lgkmcnt(0)
	s_barrier
	ds_read2_b32 v[42:43], v58 offset1:1
	ds_read2_b32 v[40:41], v58 offset0:2 offset1:3
	v_addc_co_u32_e64 v45, s[8:9], 0, v25, s[8:9]
	s_waitcnt lgkmcnt(0)
	s_barrier
	s_cbranch_vccnz .LBB139_126
; %bb.99:                               ;   in Loop: Header=BB139_76 Depth=1
	v_cmp_gt_i32_e32 vcc, s21, v71
	v_mov_b32_e32 v96, 0
	v_mov_b32_e32 v95, 0
	s_and_saveexec_b64 s[8:9], vcc
	s_cbranch_execz .LBB139_101
; %bb.100:                              ;   in Loop: Header=BB139_76 Depth=1
	flat_load_dword v95, v[44:45]
.LBB139_101:                            ;   in Loop: Header=BB139_76 Depth=1
	s_or_b64 exec, exec, s[8:9]
	v_cmp_gt_i32_e32 vcc, s21, v72
	s_and_saveexec_b64 s[8:9], vcc
	s_cbranch_execz .LBB139_103
; %bb.102:                              ;   in Loop: Header=BB139_76 Depth=1
	v_add_co_u32_e32 v46, vcc, v24, v0
	v_addc_co_u32_e32 v47, vcc, 0, v23, vcc
	flat_load_dword v96, v[46:47]
.LBB139_103:                            ;   in Loop: Header=BB139_76 Depth=1
	s_or_b64 exec, exec, s[8:9]
	v_cmp_gt_i32_e32 vcc, s21, v73
	v_mov_b32_e32 v98, 0
	v_mov_b32_e32 v97, 0
	s_and_saveexec_b64 s[8:9], vcc
	s_cbranch_execz .LBB139_105
; %bb.104:                              ;   in Loop: Header=BB139_76 Depth=1
	v_add_co_u32_e32 v46, vcc, v22, v0
	v_addc_co_u32_e32 v47, vcc, 0, v21, vcc
	flat_load_dword v97, v[46:47]
.LBB139_105:                            ;   in Loop: Header=BB139_76 Depth=1
	s_or_b64 exec, exec, s[8:9]
	v_cmp_gt_i32_e32 vcc, s21, v74
	s_and_saveexec_b64 s[8:9], vcc
	s_cbranch_execz .LBB139_107
; %bb.106:                              ;   in Loop: Header=BB139_76 Depth=1
	v_add_co_u32_e32 v46, vcc, v20, v0
	v_addc_co_u32_e32 v47, vcc, 0, v19, vcc
	flat_load_dword v98, v[46:47]
.LBB139_107:                            ;   in Loop: Header=BB139_76 Depth=1
	s_or_b64 exec, exec, s[8:9]
	s_branch .LBB139_109
.LBB139_108:                            ;   in Loop: Header=BB139_76 Depth=1
	s_waitcnt vmcnt(0) lgkmcnt(0)
	flat_load_dword v95, v[44:45]
	v_add_co_u32_e32 v44, vcc, v24, v0
	v_addc_co_u32_e32 v45, vcc, 0, v23, vcc
	flat_load_dword v96, v[44:45]
	v_add_co_u32_e32 v44, vcc, v22, v0
	v_addc_co_u32_e32 v45, vcc, 0, v21, vcc
	flat_load_dword v97, v[44:45]
	v_add_co_u32_e32 v44, vcc, v20, v0
	v_addc_co_u32_e32 v45, vcc, 0, v19, vcc
	flat_load_dword v98, v[44:45]
.LBB139_109:                            ;   in Loop: Header=BB139_76 Depth=1
	ds_read_b32 v44, v62
	ds_read_b32 v99, v35 offset:128
	s_and_b64 vcc, exec, s[4:5]
	v_add_co_u32_e64 v48, s[4:5], v34, v0
	s_waitcnt vmcnt(0) lgkmcnt(0)
	v_mul_f32_e32 v45, v95, v44
	v_mul_f32_e32 v46, v96, v44
	ds_write_b32 v66, v45
	v_mul_f32_e32 v47, v97, v44
	ds_read_b32 v100, v35 offset:132
	ds_write_b32 v66, v46 offset:268
	ds_read_b32 v101, v35 offset:136
	ds_write_b32 v66, v47 offset:536
	v_mul_f32_e32 v44, v98, v44
	ds_read_b32 v102, v35 offset:140
	ds_write_b32 v66, v44 offset:804
	s_waitcnt lgkmcnt(0)
	s_barrier
	ds_read2_b32 v[46:47], v58 offset1:1
	ds_read2_b32 v[44:45], v58 offset0:2 offset1:3
	v_addc_co_u32_e64 v49, s[4:5], 0, v33, s[4:5]
	s_waitcnt lgkmcnt(0)
	s_barrier
	s_cbranch_vccnz .LBB139_127
; %bb.110:                              ;   in Loop: Header=BB139_76 Depth=1
	v_cmp_gt_i32_e32 vcc, s21, v75
	v_mov_b32_e32 v104, 0
	v_mov_b32_e32 v103, 0
	s_and_saveexec_b64 s[4:5], vcc
	s_cbranch_execz .LBB139_112
; %bb.111:                              ;   in Loop: Header=BB139_76 Depth=1
	flat_load_dword v103, v[48:49]
.LBB139_112:                            ;   in Loop: Header=BB139_76 Depth=1
	s_or_b64 exec, exec, s[4:5]
	v_cmp_gt_i32_e32 vcc, s21, v76
	s_and_saveexec_b64 s[4:5], vcc
	s_cbranch_execz .LBB139_114
; %bb.113:                              ;   in Loop: Header=BB139_76 Depth=1
	v_add_co_u32_e32 v104, vcc, v32, v0
	v_addc_co_u32_e32 v105, vcc, 0, v31, vcc
	flat_load_dword v104, v[104:105]
.LBB139_114:                            ;   in Loop: Header=BB139_76 Depth=1
	s_or_b64 exec, exec, s[4:5]
	v_cmp_gt_i32_e32 vcc, s21, v77
	v_mov_b32_e32 v106, 0
	v_mov_b32_e32 v105, 0
	s_and_saveexec_b64 s[4:5], vcc
	s_cbranch_execz .LBB139_116
; %bb.115:                              ;   in Loop: Header=BB139_76 Depth=1
	v_add_co_u32_e32 v108, vcc, v30, v0
	v_addc_co_u32_e32 v109, vcc, 0, v29, vcc
	flat_load_dword v105, v[108:109]
.LBB139_116:                            ;   in Loop: Header=BB139_76 Depth=1
	s_or_b64 exec, exec, s[4:5]
	v_cmp_gt_i32_e32 vcc, s21, v78
	s_and_saveexec_b64 s[4:5], vcc
	s_cbranch_execz .LBB139_118
; %bb.117:                              ;   in Loop: Header=BB139_76 Depth=1
	v_add_co_u32_e32 v106, vcc, v28, v0
	v_addc_co_u32_e32 v107, vcc, 0, v27, vcc
	flat_load_dword v106, v[106:107]
.LBB139_118:                            ;   in Loop: Header=BB139_76 Depth=1
	s_or_b64 exec, exec, s[4:5]
	s_branch .LBB139_120
.LBB139_119:                            ;   in Loop: Header=BB139_76 Depth=1
	s_waitcnt vmcnt(0) lgkmcnt(0)
	flat_load_dword v103, v[48:49]
	v_add_co_u32_e32 v48, vcc, v32, v0
	v_addc_co_u32_e32 v49, vcc, 0, v31, vcc
	flat_load_dword v104, v[48:49]
	v_add_co_u32_e32 v48, vcc, v30, v0
	v_addc_co_u32_e32 v49, vcc, 0, v29, vcc
	;; [unrolled: 3-line block ×3, first 2 shown]
	flat_load_dword v106, v[48:49]
.LBB139_120:                            ;   in Loop: Header=BB139_76 Depth=1
	v_add_f32_e32 v42, 0, v42
	v_add_f32_e32 v42, v42, v43
	ds_read_b32 v43, v62
	v_add_f32_e32 v46, 0, v46
	v_add_f32_e32 v46, v46, v47
	;; [unrolled: 1-line block ×6, first 2 shown]
	ds_read_b32 v38, v35 offset:192
	s_waitcnt vmcnt(0) lgkmcnt(0)
	v_mul_f32_e32 v40, v103, v43
	ds_write_b32 v66, v40
	v_mul_f32_e32 v41, v104, v43
	ds_read_b32 v40, v35 offset:196
	ds_write_b32 v66, v41 offset:268
	v_mul_f32_e32 v42, v105, v43
	ds_read_b32 v41, v35 offset:200
	ds_write_b32 v66, v42 offset:536
	v_mul_f32_e32 v43, v106, v43
	v_add_f32_e32 v48, v44, v45
	ds_read_b32 v42, v35 offset:204
	ds_write_b32 v66, v43 offset:804
	s_waitcnt lgkmcnt(0)
	s_barrier
	ds_read2_b32 v[44:45], v58 offset1:1
	v_add_f32_e32 v39, v46, v39
	ds_read2_b32 v[46:47], v58 offset0:2 offset1:3
	v_add_f32_e32 v36, v39, v36
	v_add_f32_e32 v36, v36, v37
	s_waitcnt lgkmcnt(1)
	v_add_f32_e32 v37, 0, v44
	v_cmp_gt_i32_e32 vcc, s21, v50
	v_add_f32_e32 v37, v37, v45
	s_or_b64 s[4:5], s[12:13], vcc
	s_waitcnt lgkmcnt(0)
	v_add_f32_e32 v37, v37, v46
	s_and_b64 s[8:9], s[2:3], s[4:5]
	v_add_f32_e32 v37, v37, v47
	s_barrier
	ds_write2_b32 v60, v36, v49 offset1:16
	ds_write2_b32 v60, v48, v37 offset0:32 offset1:48
	s_waitcnt lgkmcnt(0)
	s_barrier
	s_and_saveexec_b64 s[4:5], s[8:9]
	s_cbranch_execz .LBB139_122
; %bb.121:                              ;   in Loop: Header=BB139_76 Depth=1
	ds_read2_b32 v[36:37], v56 offset1:1
	ds_read2_b32 v[44:45], v56 offset0:2 offset1:3
	ds_read2_b32 v[46:47], v56 offset0:4 offset1:5
	;; [unrolled: 1-line block ×3, first 2 shown]
	s_waitcnt lgkmcnt(3)
	v_add_f32_e32 v36, v36, v37
	s_waitcnt lgkmcnt(2)
	v_add_f32_e32 v36, v36, v44
	v_add_f32_e32 v36, v36, v45
	s_waitcnt lgkmcnt(1)
	v_add_f32_e32 v36, v36, v46
	;; [unrolled: 3-line block ×3, first 2 shown]
	ds_read2_b32 v[36:37], v56 offset0:8 offset1:9
	v_add_f32_e32 v39, v39, v49
	ds_read2_b32 v[44:45], v56 offset0:10 offset1:11
	ds_read2_b32 v[46:47], v56 offset0:12 offset1:13
	ds_read_b32 v43, v56 offset:56
	s_waitcnt lgkmcnt(3)
	v_add_f32_e32 v36, v39, v36
	v_add_f32_e32 v36, v36, v37
	s_waitcnt lgkmcnt(2)
	v_add_f32_e32 v36, v36, v44
	ds_read_b32 v37, v57
	v_add_f32_e32 v36, v36, v45
	s_waitcnt lgkmcnt(2)
	v_add_f32_e32 v36, v36, v46
	v_add_f32_e32 v36, v36, v47
	s_waitcnt lgkmcnt(1)
	v_add_f32_e32 v36, v36, v43
	s_waitcnt lgkmcnt(0)
	v_add_f32_e32 v39, v36, v37
	v_add_u32_e32 v36, s17, v59
	v_ashrrev_i32_e32 v37, 31, v36
	v_lshlrev_b64 v[36:37], 2, v[36:37]
	v_mov_b32_e32 v43, s15
	v_add_co_u32_e32 v36, vcc, s14, v36
	v_addc_co_u32_e32 v37, vcc, v43, v37, vcc
	global_store_dword v[36:37], v39, off
.LBB139_122:                            ;   in Loop: Header=BB139_76 Depth=1
	s_or_b64 exec, exec, s[4:5]
	v_mov_b32_e32 v36, s11
	v_add_co_u32_e32 v8, vcc, s10, v8
	v_addc_co_u32_e32 v3, vcc, v3, v36, vcc
	v_add_co_u32_e32 v10, vcc, s10, v10
	v_addc_co_u32_e32 v9, vcc, v9, v36, vcc
	;; [unrolled: 2-line block ×8, first 2 shown]
	v_fmac_f32_e32 v52, v79, v83
	v_add_co_u32_e32 v20, vcc, s10, v20
	v_fmac_f32_e32 v52, v80, v84
	v_addc_co_u32_e32 v19, vcc, v19, v36, vcc
	v_fmac_f32_e32 v52, v81, v85
	v_add_co_u32_e32 v22, vcc, s10, v22
	v_fmac_f32_e32 v52, v82, v86
	v_addc_co_u32_e32 v21, vcc, v21, v36, vcc
	;; [unrolled: 4-line block ×7, first 2 shown]
	v_fmac_f32_e32 v52, v105, v41
	s_add_i32 s4, s6, 1
	s_add_i32 s17, s17, 64
	;; [unrolled: 1-line block ×3, first 2 shown]
	v_add_co_u32_e32 v34, vcc, s10, v34
	v_fmac_f32_e32 v52, v106, v42
	s_cmp_ge_u32 s5, s7
	v_addc_co_u32_e32 v33, vcc, v33, v36, vcc
	s_barrier
	s_cbranch_scc1 .LBB139_128
; %bb.123:                              ;   in Loop: Header=BB139_76 Depth=1
	s_mov_b32 s6, s4
	s_cmp_eq_u32 s16, s6
	s_cselect_b32 s21, s29, 0
	s_and_saveexec_b64 s[4:5], s[0:1]
	s_cbranch_execnz .LBB139_73
	s_branch .LBB139_76
.LBB139_124:                            ;   in Loop: Header=BB139_76 Depth=1
                                        ; implicit-def: $vgpr82
                                        ; implicit-def: $vgpr81
                                        ; implicit-def: $vgpr80
                                        ; implicit-def: $vgpr79
	s_cbranch_execnz .LBB139_86
	s_branch .LBB139_87
.LBB139_125:                            ;   in Loop: Header=BB139_76 Depth=1
                                        ; implicit-def: $vgpr90
                                        ; implicit-def: $vgpr89
                                        ; implicit-def: $vgpr88
                                        ; implicit-def: $vgpr87
	s_cbranch_execnz .LBB139_97
	s_branch .LBB139_98
.LBB139_126:                            ;   in Loop: Header=BB139_76 Depth=1
                                        ; implicit-def: $vgpr98
                                        ; implicit-def: $vgpr97
                                        ; implicit-def: $vgpr96
                                        ; implicit-def: $vgpr95
	s_cbranch_execnz .LBB139_108
	s_branch .LBB139_109
.LBB139_127:                            ;   in Loop: Header=BB139_76 Depth=1
                                        ; implicit-def: $vgpr106
                                        ; implicit-def: $vgpr105
                                        ; implicit-def: $vgpr104
                                        ; implicit-def: $vgpr103
	s_cbranch_execnz .LBB139_119
	s_branch .LBB139_120
.LBB139_128:
	s_movk_i32 s2, 0x10c
	v_cmp_gt_i32_e32 vcc, s20, v50
	v_mad_u32_u24 v1, v51, s2, v0
	s_or_b64 s[2:3], s[22:23], vcc
	s_and_b64 s[0:1], s[0:1], s[2:3]
	ds_write_b32 v1, v52
	s_waitcnt lgkmcnt(0)
	s_barrier
	s_and_saveexec_b64 s[2:3], s[0:1]
	s_cbranch_execz .LBB139_130
; %bb.129:
	ds_read2_b32 v[2:3], v0 offset1:67
	ds_read2_b32 v[0:1], v0 offset0:134 offset1:201
	v_lshlrev_b64 v[4:5], 2, v[4:5]
	v_mov_b32_e32 v6, s15
	s_waitcnt lgkmcnt(1)
	v_add_f32_e32 v2, v2, v3
	s_waitcnt lgkmcnt(0)
	v_add_f32_e32 v0, v2, v0
	v_add_f32_e32 v2, v0, v1
	v_add_co_u32_e32 v0, vcc, s14, v4
	v_addc_co_u32_e32 v1, vcc, v6, v5, vcc
	global_store_dword v[0:1], v2, off
.LBB139_130:
	s_endpgm
	.section	.rodata,"a",@progbits
	.p2align	6, 0x0
	.amdhsa_kernel _ZL26rocblas_hemvn_kernel_upperILb0ELi64ELi4ELi33ELi32ELi16ElfPKPKfPfEviT6_lT7_lT5_lS6_lS7_lS5_lT8_i
		.amdhsa_group_segment_fixed_size 4800
		.amdhsa_private_segment_fixed_size 0
		.amdhsa_kernarg_size 368
		.amdhsa_user_sgpr_count 6
		.amdhsa_user_sgpr_private_segment_buffer 1
		.amdhsa_user_sgpr_dispatch_ptr 0
		.amdhsa_user_sgpr_queue_ptr 0
		.amdhsa_user_sgpr_kernarg_segment_ptr 1
		.amdhsa_user_sgpr_dispatch_id 0
		.amdhsa_user_sgpr_flat_scratch_init 0
		.amdhsa_user_sgpr_kernarg_preload_length 0
		.amdhsa_user_sgpr_kernarg_preload_offset 0
		.amdhsa_user_sgpr_private_segment_size 0
		.amdhsa_uses_dynamic_stack 0
		.amdhsa_system_sgpr_private_segment_wavefront_offset 0
		.amdhsa_system_sgpr_workgroup_id_x 1
		.amdhsa_system_sgpr_workgroup_id_y 0
		.amdhsa_system_sgpr_workgroup_id_z 1
		.amdhsa_system_sgpr_workgroup_info 0
		.amdhsa_system_vgpr_workitem_id 1
		.amdhsa_next_free_vgpr 110
		.amdhsa_next_free_sgpr 44
		.amdhsa_accum_offset 112
		.amdhsa_reserve_vcc 1
		.amdhsa_reserve_flat_scratch 0
		.amdhsa_float_round_mode_32 0
		.amdhsa_float_round_mode_16_64 0
		.amdhsa_float_denorm_mode_32 3
		.amdhsa_float_denorm_mode_16_64 3
		.amdhsa_dx10_clamp 1
		.amdhsa_ieee_mode 1
		.amdhsa_fp16_overflow 0
		.amdhsa_tg_split 0
		.amdhsa_exception_fp_ieee_invalid_op 0
		.amdhsa_exception_fp_denorm_src 0
		.amdhsa_exception_fp_ieee_div_zero 0
		.amdhsa_exception_fp_ieee_overflow 0
		.amdhsa_exception_fp_ieee_underflow 0
		.amdhsa_exception_fp_ieee_inexact 0
		.amdhsa_exception_int_div_zero 0
	.end_amdhsa_kernel
	.section	.text._ZL26rocblas_hemvn_kernel_upperILb0ELi64ELi4ELi33ELi32ELi16ElfPKPKfPfEviT6_lT7_lT5_lS6_lS7_lS5_lT8_i,"axG",@progbits,_ZL26rocblas_hemvn_kernel_upperILb0ELi64ELi4ELi33ELi32ELi16ElfPKPKfPfEviT6_lT7_lT5_lS6_lS7_lS5_lT8_i,comdat
.Lfunc_end139:
	.size	_ZL26rocblas_hemvn_kernel_upperILb0ELi64ELi4ELi33ELi32ELi16ElfPKPKfPfEviT6_lT7_lT5_lS6_lS7_lS5_lT8_i, .Lfunc_end139-_ZL26rocblas_hemvn_kernel_upperILb0ELi64ELi4ELi33ELi32ELi16ElfPKPKfPfEviT6_lT7_lT5_lS6_lS7_lS5_lT8_i
                                        ; -- End function
	.section	.AMDGPU.csdata,"",@progbits
; Kernel info:
; codeLenInByte = 6876
; NumSgprs: 48
; NumVgprs: 110
; NumAgprs: 0
; TotalNumVgprs: 110
; ScratchSize: 0
; MemoryBound: 0
; FloatMode: 240
; IeeeMode: 1
; LDSByteSize: 4800 bytes/workgroup (compile time only)
; SGPRBlocks: 5
; VGPRBlocks: 13
; NumSGPRsForWavesPerEU: 48
; NumVGPRsForWavesPerEU: 110
; AccumOffset: 112
; Occupancy: 4
; WaveLimiterHint : 1
; COMPUTE_PGM_RSRC2:SCRATCH_EN: 0
; COMPUTE_PGM_RSRC2:USER_SGPR: 6
; COMPUTE_PGM_RSRC2:TRAP_HANDLER: 0
; COMPUTE_PGM_RSRC2:TGID_X_EN: 1
; COMPUTE_PGM_RSRC2:TGID_Y_EN: 0
; COMPUTE_PGM_RSRC2:TGID_Z_EN: 1
; COMPUTE_PGM_RSRC2:TIDIG_COMP_CNT: 1
; COMPUTE_PGM_RSRC3_GFX90A:ACCUM_OFFSET: 27
; COMPUTE_PGM_RSRC3_GFX90A:TG_SPLIT: 0
	.section	.text._ZL36rocblas_hemvn_kernel_upper_block_sumILi64ElfPKPffEviT1_lS3_lT2_lT0_lPT3_i,"axG",@progbits,_ZL36rocblas_hemvn_kernel_upper_block_sumILi64ElfPKPffEviT1_lS3_lT2_lT0_lPT3_i,comdat
	.globl	_ZL36rocblas_hemvn_kernel_upper_block_sumILi64ElfPKPffEviT1_lS3_lT2_lT0_lPT3_i ; -- Begin function _ZL36rocblas_hemvn_kernel_upper_block_sumILi64ElfPKPffEviT1_lS3_lT2_lT0_lPT3_i
	.p2align	8
	.type	_ZL36rocblas_hemvn_kernel_upper_block_sumILi64ElfPKPffEviT1_lS3_lT2_lT0_lPT3_i,@function
_ZL36rocblas_hemvn_kernel_upper_block_sumILi64ElfPKPffEviT1_lS3_lT2_lT0_lPT3_i: ; @_ZL36rocblas_hemvn_kernel_upper_block_sumILi64ElfPKPffEviT1_lS3_lT2_lT0_lPT3_i
; %bb.0:
	s_load_dwordx2 s[8:9], s[4:5], 0x0
	s_load_dword s18, s[4:5], 0x10
	s_mov_b32 s13, 0
	s_waitcnt lgkmcnt(0)
	v_cmp_eq_f32_e64 s[0:1], s9, 0
	v_cmp_eq_f32_e64 s[2:3], s18, 1.0
	s_and_b64 s[0:1], s[0:1], s[2:3]
	s_and_b64 vcc, exec, s[0:1]
	s_cbranch_vccnz .LBB140_19
; %bb.1:
	s_load_dwordx2 s[10:11], s[4:5], 0x20
	s_load_dwordx4 s[0:3], s[4:5], 0x28
	s_mov_b32 s12, s7
	s_lshl_b64 s[14:15], s[12:13], 3
	v_lshl_or_b32 v0, s6, 6, v0
	s_waitcnt lgkmcnt(0)
	s_add_u32 s10, s10, s14
	s_addc_u32 s11, s11, s15
	s_load_dwordx2 s[10:11], s[10:11], 0x0
	s_lshl_b64 s[0:1], s[0:1], 2
	v_cmp_neq_f32_e64 s[14:15], s9, 0
	s_waitcnt lgkmcnt(0)
	s_add_u32 s7, s10, s0
	s_addc_u32 s13, s11, s1
	s_and_b64 vcc, exec, s[14:15]
	v_cmp_gt_i32_e64 s[0:1], s8, v0
	s_cbranch_vccnz .LBB140_6
; %bb.2:
	s_mov_b64 s[14:15], 0
	s_mov_b64 s[10:11], 0
                                        ; implicit-def: $vgpr1
                                        ; implicit-def: $vgpr2_vgpr3
	s_and_saveexec_b64 s[16:17], s[0:1]
	s_cbranch_execz .LBB140_7
; %bb.3:
	v_ashrrev_i32_e32 v2, 31, v0
	v_cmp_eq_f32_e64 s[0:1], s18, 0
	v_mul_lo_u32 v4, v0, s3
	v_mul_lo_u32 v5, v2, s2
	v_mad_u64_u32 v[2:3], s[10:11], v0, s2, 0
	v_mov_b32_e32 v1, 0
	v_add3_u32 v3, v3, v4, v5
	s_and_b64 vcc, exec, s[0:1]
	s_cbranch_vccnz .LBB140_5
; %bb.4:
	v_lshlrev_b64 v[4:5], 2, v[2:3]
	v_mov_b32_e32 v1, s13
	v_add_co_u32_e32 v4, vcc, s7, v4
	v_addc_co_u32_e32 v5, vcc, v1, v5, vcc
	global_load_dword v1, v[4:5], off
	s_waitcnt vmcnt(0)
	v_mul_f32_e32 v1, s18, v1
.LBB140_5:
	s_mov_b64 s[10:11], exec
	s_or_b64 exec, exec, s[16:17]
	s_and_b64 vcc, exec, s[14:15]
	s_cbranch_vccnz .LBB140_8
	s_branch .LBB140_17
.LBB140_6:
	s_mov_b64 s[10:11], 0
                                        ; implicit-def: $vgpr1
                                        ; implicit-def: $vgpr2_vgpr3
	s_cbranch_execnz .LBB140_8
	s_branch .LBB140_17
.LBB140_7:
	s_or_b64 exec, exec, s[16:17]
	s_and_b64 vcc, exec, s[14:15]
	s_cbranch_vccz .LBB140_17
.LBB140_8:
	v_cmp_gt_i32_e32 vcc, s8, v0
                                        ; implicit-def: $vgpr1
                                        ; implicit-def: $vgpr2_vgpr3
	s_and_saveexec_b64 s[0:1], vcc
	s_cbranch_execz .LBB140_16
; %bb.9:
	v_ashrrev_i32_e32 v1, 31, v0
	s_cmp_lt_i32 s6, 0
	v_mov_b32_e32 v4, 0
	s_cbranch_scc1 .LBB140_12
; %bb.10:
	s_load_dwordx2 s[16:17], s[4:5], 0x40
	s_load_dword s19, s[4:5], 0x50
	s_ashr_i32 s15, s8, 31
	s_mul_hi_u32 s4, s8, s12
	s_mul_i32 s5, s15, s12
	s_mov_b32 s14, s8
	s_add_i32 s4, s4, s5
	s_mul_i32 s8, s8, s12
	s_waitcnt lgkmcnt(0)
	s_mul_i32 s4, s4, s19
	s_mul_hi_u32 s5, s8, s19
	s_add_i32 s5, s5, s4
	s_mul_i32 s4, s8, s19
	s_lshl_b64 s[4:5], s[4:5], 2
	s_add_u32 s4, s16, s4
	s_addc_u32 s5, s17, s5
	v_lshlrev_b64 v[2:3], 2, v[0:1]
	v_mov_b32_e32 v4, s5
	v_add_co_u32_e32 v2, vcc, s4, v2
	s_lshl_b64 s[4:5], s[14:15], 2
	v_addc_co_u32_e32 v3, vcc, v4, v3, vcc
	s_add_i32 s6, s6, 1
	v_mov_b32_e32 v4, 0
	v_mov_b32_e32 v5, s5
.LBB140_11:                             ; =>This Inner Loop Header: Depth=1
	global_load_dword v6, v[2:3], off
	s_add_i32 s6, s6, -1
	v_add_co_u32_e32 v2, vcc, s4, v2
	v_addc_co_u32_e32 v3, vcc, v3, v5, vcc
	s_cmp_eq_u32 s6, 0
	s_waitcnt vmcnt(0)
	v_add_f32_e32 v4, v4, v6
	s_cbranch_scc0 .LBB140_11
.LBB140_12:
	v_cmp_eq_f32_e64 s[4:5], s18, 0
	s_and_b64 vcc, exec, s[4:5]
	v_mul_lo_u32 v5, v1, s2
	v_mul_lo_u32 v6, v0, s3
	s_cbranch_vccz .LBB140_20
; %bb.13:
	v_mad_u64_u32 v[2:3], s[4:5], v0, s2, 0
	v_mul_f32_e32 v1, s9, v4
	v_add3_u32 v3, v3, v6, v5
	s_cbranch_execnz .LBB140_15
.LBB140_14:
	v_mad_u64_u32 v[2:3], s[2:3], v0, s2, 0
	v_add3_u32 v3, v3, v6, v5
	v_lshlrev_b64 v[0:1], 2, v[2:3]
	v_mov_b32_e32 v5, s13
	v_add_co_u32_e32 v0, vcc, s7, v0
	v_addc_co_u32_e32 v1, vcc, v5, v1, vcc
	global_load_dword v0, v[0:1], off
	s_waitcnt vmcnt(0)
	v_mul_f32_e32 v1, s18, v0
	v_fmac_f32_e32 v1, s9, v4
.LBB140_15:
	s_or_b64 s[10:11], s[10:11], exec
.LBB140_16:
	s_or_b64 exec, exec, s[0:1]
.LBB140_17:
	s_and_saveexec_b64 s[0:1], s[10:11]
	s_cbranch_execz .LBB140_19
; %bb.18:
	v_lshlrev_b64 v[2:3], 2, v[2:3]
	v_mov_b32_e32 v0, s13
	v_add_co_u32_e32 v2, vcc, s7, v2
	v_addc_co_u32_e32 v3, vcc, v0, v3, vcc
	global_store_dword v[2:3], v1, off
.LBB140_19:
	s_endpgm
.LBB140_20:
                                        ; implicit-def: $vgpr1
                                        ; implicit-def: $vgpr2_vgpr3
	s_branch .LBB140_14
	.section	.rodata,"a",@progbits
	.p2align	6, 0x0
	.amdhsa_kernel _ZL36rocblas_hemvn_kernel_upper_block_sumILi64ElfPKPffEviT1_lS3_lT2_lT0_lPT3_i
		.amdhsa_group_segment_fixed_size 0
		.amdhsa_private_segment_fixed_size 0
		.amdhsa_kernarg_size 336
		.amdhsa_user_sgpr_count 6
		.amdhsa_user_sgpr_private_segment_buffer 1
		.amdhsa_user_sgpr_dispatch_ptr 0
		.amdhsa_user_sgpr_queue_ptr 0
		.amdhsa_user_sgpr_kernarg_segment_ptr 1
		.amdhsa_user_sgpr_dispatch_id 0
		.amdhsa_user_sgpr_flat_scratch_init 0
		.amdhsa_user_sgpr_kernarg_preload_length 0
		.amdhsa_user_sgpr_kernarg_preload_offset 0
		.amdhsa_user_sgpr_private_segment_size 0
		.amdhsa_uses_dynamic_stack 0
		.amdhsa_system_sgpr_private_segment_wavefront_offset 0
		.amdhsa_system_sgpr_workgroup_id_x 1
		.amdhsa_system_sgpr_workgroup_id_y 0
		.amdhsa_system_sgpr_workgroup_id_z 1
		.amdhsa_system_sgpr_workgroup_info 0
		.amdhsa_system_vgpr_workitem_id 0
		.amdhsa_next_free_vgpr 7
		.amdhsa_next_free_sgpr 20
		.amdhsa_accum_offset 8
		.amdhsa_reserve_vcc 1
		.amdhsa_reserve_flat_scratch 0
		.amdhsa_float_round_mode_32 0
		.amdhsa_float_round_mode_16_64 0
		.amdhsa_float_denorm_mode_32 3
		.amdhsa_float_denorm_mode_16_64 3
		.amdhsa_dx10_clamp 1
		.amdhsa_ieee_mode 1
		.amdhsa_fp16_overflow 0
		.amdhsa_tg_split 0
		.amdhsa_exception_fp_ieee_invalid_op 0
		.amdhsa_exception_fp_denorm_src 0
		.amdhsa_exception_fp_ieee_div_zero 0
		.amdhsa_exception_fp_ieee_overflow 0
		.amdhsa_exception_fp_ieee_underflow 0
		.amdhsa_exception_fp_ieee_inexact 0
		.amdhsa_exception_int_div_zero 0
	.end_amdhsa_kernel
	.section	.text._ZL36rocblas_hemvn_kernel_upper_block_sumILi64ElfPKPffEviT1_lS3_lT2_lT0_lPT3_i,"axG",@progbits,_ZL36rocblas_hemvn_kernel_upper_block_sumILi64ElfPKPffEviT1_lS3_lT2_lT0_lPT3_i,comdat
.Lfunc_end140:
	.size	_ZL36rocblas_hemvn_kernel_upper_block_sumILi64ElfPKPffEviT1_lS3_lT2_lT0_lPT3_i, .Lfunc_end140-_ZL36rocblas_hemvn_kernel_upper_block_sumILi64ElfPKPffEviT1_lS3_lT2_lT0_lPT3_i
                                        ; -- End function
	.section	.AMDGPU.csdata,"",@progbits
; Kernel info:
; codeLenInByte = 632
; NumSgprs: 24
; NumVgprs: 7
; NumAgprs: 0
; TotalNumVgprs: 7
; ScratchSize: 0
; MemoryBound: 0
; FloatMode: 240
; IeeeMode: 1
; LDSByteSize: 0 bytes/workgroup (compile time only)
; SGPRBlocks: 2
; VGPRBlocks: 0
; NumSGPRsForWavesPerEU: 24
; NumVGPRsForWavesPerEU: 7
; AccumOffset: 8
; Occupancy: 8
; WaveLimiterHint : 1
; COMPUTE_PGM_RSRC2:SCRATCH_EN: 0
; COMPUTE_PGM_RSRC2:USER_SGPR: 6
; COMPUTE_PGM_RSRC2:TRAP_HANDLER: 0
; COMPUTE_PGM_RSRC2:TGID_X_EN: 1
; COMPUTE_PGM_RSRC2:TGID_Y_EN: 0
; COMPUTE_PGM_RSRC2:TGID_Z_EN: 1
; COMPUTE_PGM_RSRC2:TIDIG_COMP_CNT: 0
; COMPUTE_PGM_RSRC3_GFX90A:ACCUM_OFFSET: 1
; COMPUTE_PGM_RSRC3_GFX90A:TG_SPLIT: 0
	.section	.text._ZL26rocblas_hemvn_kernel_upperILb0ELi64ELi4ELi33ELi32ELi16EifPKPKfPfEviT6_lT7_lT5_lS6_lS7_lS5_lT8_i,"axG",@progbits,_ZL26rocblas_hemvn_kernel_upperILb0ELi64ELi4ELi33ELi32ELi16EifPKPKfPfEviT6_lT7_lT5_lS6_lS7_lS5_lT8_i,comdat
	.globl	_ZL26rocblas_hemvn_kernel_upperILb0ELi64ELi4ELi33ELi32ELi16EifPKPKfPfEviT6_lT7_lT5_lS6_lS7_lS5_lT8_i ; -- Begin function _ZL26rocblas_hemvn_kernel_upperILb0ELi64ELi4ELi33ELi32ELi16EifPKPKfPfEviT6_lT7_lT5_lS6_lS7_lS5_lT8_i
	.p2align	8
	.type	_ZL26rocblas_hemvn_kernel_upperILb0ELi64ELi4ELi33ELi32ELi16EifPKPKfPfEviT6_lT7_lT5_lS6_lS7_lS5_lT8_i,@function
_ZL26rocblas_hemvn_kernel_upperILb0ELi64ELi4ELi33ELi32ELi16EifPKPKfPfEviT6_lT7_lT5_lS6_lS7_lS5_lT8_i: ; @_ZL26rocblas_hemvn_kernel_upperILb0ELi64ELi4ELi33ELi32ELi16EifPKPKfPfEviT6_lT7_lT5_lS6_lS7_lS5_lT8_i
; %bb.0:
	s_load_dwordx2 s[0:1], s[4:5], 0x7c
	s_add_u32 s8, s4, 0x70
	s_addc_u32 s9, s5, 0
	s_waitcnt lgkmcnt(0)
	s_lshr_b32 s2, s0, 16
	s_and_b32 s0, s0, 0xffff
	s_and_b32 s1, s1, 0xffff
	s_mul_i32 s0, s2, s0
	s_mul_i32 s0, s0, s1
	s_cmpk_lg_i32 s0, 0x100
	s_cbranch_scc1 .LBB141_130
; %bb.1:
	s_load_dwordx2 s[28:29], s[4:5], 0x0
	s_load_dword s2, s[4:5], 0x50
	s_waitcnt lgkmcnt(0)
	v_cmp_eq_f32_e64 s[0:1], s29, 0
	v_cmp_eq_f32_e64 s[2:3], s2, 1.0
	s_and_b64 s[2:3], s[0:1], s[2:3]
	s_and_b64 vcc, exec, s[2:3]
	s_cbranch_vccnz .LBB141_130
; %bb.2:
	s_mov_b32 s26, s7
	s_mov_b32 s27, 0
	v_cmp_neq_f32_e64 s[12:13], s29, 0
	s_mov_b64 s[10:11], 0
	s_and_b64 vcc, exec, s[0:1]
	s_mov_b64 s[2:3], 0
	s_cbranch_vccnz .LBB141_4
; %bb.3:
	s_load_dwordx4 s[0:3], s[4:5], 0x10
	s_lshl_b64 s[14:15], s[26:27], 3
	s_waitcnt lgkmcnt(0)
	s_add_u32 s0, s0, s14
	s_addc_u32 s1, s1, s15
	s_load_dwordx2 s[0:1], s[0:1], 0x0
	s_lshl_b64 s[2:3], s[2:3], 2
	s_waitcnt lgkmcnt(0)
	s_add_u32 s2, s0, s2
	s_addc_u32 s3, s1, s3
.LBB141_4:
	v_cndmask_b32_e64 v1, 0, 1, s[12:13]
	v_cmp_ne_u32_e64 s[0:1], 1, v1
	s_andn2_b64 vcc, exec, s[12:13]
	s_cbranch_vccnz .LBB141_6
; %bb.5:
	s_load_dwordx4 s[12:15], s[4:5], 0x30
	s_lshl_b64 s[10:11], s[26:27], 3
	s_waitcnt lgkmcnt(0)
	s_add_u32 s10, s12, s10
	s_addc_u32 s11, s13, s11
	s_load_dwordx2 s[10:11], s[10:11], 0x0
	s_lshl_b64 s[12:13], s[14:15], 2
	s_waitcnt lgkmcnt(0)
	s_add_u32 s10, s10, s12
	s_addc_u32 s11, s11, s13
.LBB141_6:
	s_and_b64 vcc, exec, s[0:1]
	s_cbranch_vccnz .LBB141_130
; %bb.7:
	s_load_dword s7, s[8:9], 0x0
	s_load_dword s29, s[4:5], 0x40
	v_and_b32_e32 v6, 0x3ff, v0
	s_lshl_b32 s22, s6, 6
	s_ashr_i32 s33, s28, 31
	s_lshr_b32 s1, s33, 26
	v_add_u32_e32 v4, s22, v6
	v_bfe_u32 v51, v0, 10, 10
	s_add_i32 s1, s28, s1
	s_waitcnt lgkmcnt(0)
	v_mul_lo_u32 v0, v4, s29
	s_andn2_b32 s1, s1, 63
	v_ashrrev_i32_e32 v1, 31, v0
	s_add_i32 s0, s7, -1
	s_sub_i32 s27, s28, s1
	v_lshlrev_b64 v[0:1], 2, v[0:1]
	s_cmp_eq_u32 s6, s0
	v_mov_b32_e32 v2, s11
	v_add_co_u32_e32 v12, vcc, s10, v0
	s_cselect_b32 s18, s27, 0
	v_addc_co_u32_e32 v13, vcc, v2, v1, vcc
	v_cmp_eq_u32_e64 s[0:1], 0, v51
	s_and_saveexec_b64 s[8:9], s[0:1]
	s_cbranch_execz .LBB141_11
; %bb.8:
	s_cmp_eq_u32 s18, 0
	s_cselect_b64 s[10:11], -1, 0
	v_cmp_gt_i32_e32 vcc, s18, v6
	s_or_b64 s[12:13], s[10:11], vcc
	v_mov_b32_e32 v0, 0
	s_and_saveexec_b64 s[10:11], s[12:13]
	s_cbranch_execz .LBB141_10
; %bb.9:
	flat_load_dword v0, v[12:13]
.LBB141_10:
	s_or_b64 exec, exec, s[10:11]
	v_lshlrev_b32_e32 v1, 2, v6
	s_waitcnt vmcnt(0) lgkmcnt(0)
	ds_write_b32 v1, v0 offset:4544
.LBB141_11:
	s_or_b64 exec, exec, s[8:9]
	s_load_dword s24, s[4:5], 0x20
	s_ashr_i32 s23, s22, 31
	v_lshl_add_u32 v54, v51, 6, v6
	s_lshl_b64 s[8:9], s[22:23], 2
	v_and_b32_e32 v0, 31, v6
	v_lshrrev_b32_e32 v1, 5, v54
	s_add_u32 s8, s2, s8
	s_addc_u32 s9, s3, s9
	s_waitcnt lgkmcnt(0)
	v_mad_u64_u32 v[8:9], s[2:3], v1, s24, v[0:1]
	s_mul_i32 s2, s22, s24
	s_ashr_i32 s3, s2, 31
	s_lshl_b64 s[2:3], s[2:3], 2
	s_add_u32 s2, s2, s8
	v_ashrrev_i32_e32 v9, 31, v8
	s_addc_u32 s3, s3, s9
	v_lshlrev_b64 v[10:11], 2, v[8:9]
	s_cmp_eq_u32 s18, 0
	v_mov_b32_e32 v3, s3
	v_add_co_u32_e32 v2, vcc, s2, v10
	s_cselect_b64 s[20:21], -1, 0
	s_cmp_lg_u32 s18, 0
	v_addc_co_u32_e32 v3, vcc, v3, v11, vcc
	s_cselect_b64 s[36:37], -1, 0
	s_and_b64 vcc, exec, s[36:37]
	v_cmp_gt_i32_e64 s[2:3], s18, v0
	v_lshlrev_b32_e32 v5, 2, v0
	s_cbranch_vccz .LBB141_21
; %bb.12:
	v_sub_co_u32_e32 v7, vcc, v2, v5
	s_ashr_i32 s19, s18, 31
	v_subbrev_co_u32_e32 v9, vcc, 0, v3, vcc
	s_lshl_b64 s[8:9], s[18:19], 2
	v_mov_b32_e32 v14, s9
	v_add_co_u32_e32 v7, vcc, s8, v7
	v_addc_co_u32_e32 v9, vcc, v9, v14, vcc
	v_add_co_u32_e32 v7, vcc, -4, v7
	v_addc_co_u32_e32 v9, vcc, -1, v9, vcc
	v_cndmask_b32_e64 v15, v9, v3, s[2:3]
	v_cndmask_b32_e64 v14, v7, v2, s[2:3]
	v_cmp_gt_i32_e32 vcc, s18, v1
	v_mov_b32_e32 v9, 0
	v_mov_b32_e32 v16, 0
	s_and_saveexec_b64 s[10:11], vcc
	s_cbranch_execz .LBB141_14
; %bb.13:
	flat_load_dword v16, v[14:15]
.LBB141_14:
	s_or_b64 exec, exec, s[10:11]
	v_mul_u32_u24_e32 v7, 33, v1
	v_add_lshl_u32 v7, v7, v0, 2
	s_waitcnt vmcnt(0) lgkmcnt(0)
	ds_write_b32 v7, v16
	v_add_u32_e32 v16, 8, v1
	v_cmp_gt_i32_e32 vcc, s18, v16
	s_and_saveexec_b64 s[10:11], vcc
	s_cbranch_execz .LBB141_16
; %bb.15:
	s_lshl_b32 s12, s24, 3
	s_ashr_i32 s13, s12, 31
	s_lshl_b64 s[12:13], s[12:13], 2
	v_mov_b32_e32 v9, s13
	v_add_co_u32_e32 v16, vcc, s12, v14
	v_addc_co_u32_e32 v17, vcc, v15, v9, vcc
	flat_load_dword v9, v[16:17]
.LBB141_16:
	s_or_b64 exec, exec, s[10:11]
	s_waitcnt vmcnt(0) lgkmcnt(0)
	ds_write_b32 v7, v9 offset:1056
	v_add_u32_e32 v9, 16, v1
	v_cmp_gt_i32_e32 vcc, s18, v9
	v_mov_b32_e32 v9, 0
	v_mov_b32_e32 v16, 0
	s_and_saveexec_b64 s[10:11], vcc
	s_cbranch_execz .LBB141_18
; %bb.17:
	s_lshl_b32 s12, s24, 4
	s_ashr_i32 s13, s12, 31
	s_lshl_b64 s[12:13], s[12:13], 2
	v_mov_b32_e32 v17, s13
	v_add_co_u32_e32 v16, vcc, s12, v14
	v_addc_co_u32_e32 v17, vcc, v15, v17, vcc
	flat_load_dword v16, v[16:17]
.LBB141_18:
	s_or_b64 exec, exec, s[10:11]
	s_waitcnt vmcnt(0) lgkmcnt(0)
	ds_write_b32 v7, v16 offset:2112
	v_add_u32_e32 v16, 24, v1
	v_cmp_gt_i32_e32 vcc, s18, v16
	s_and_saveexec_b64 s[10:11], vcc
	s_cbranch_execz .LBB141_20
; %bb.19:
	s_mul_i32 s12, s24, 24
	s_ashr_i32 s13, s12, 31
	s_lshl_b64 s[12:13], s[12:13], 2
	v_mov_b32_e32 v9, s13
	v_add_co_u32_e32 v16, vcc, s12, v14
	v_addc_co_u32_e32 v17, vcc, v15, v9, vcc
	flat_load_dword v9, v[16:17]
.LBB141_20:
	s_or_b64 exec, exec, s[10:11]
	s_waitcnt vmcnt(0) lgkmcnt(0)
	ds_write_b32 v7, v9 offset:3168
	v_add_co_u32_e32 v7, vcc, v14, v5
	v_addc_co_u32_e32 v9, vcc, 0, v15, vcc
	v_mov_b32_e32 v14, s9
	v_subrev_co_u32_e32 v7, vcc, s8, v7
	v_subb_co_u32_e32 v9, vcc, v9, v14, vcc
	v_add_co_u32_e32 v7, vcc, 4, v7
	v_addc_co_u32_e32 v9, vcc, 0, v9, vcc
	v_cndmask_b32_e64 v15, v9, v3, s[2:3]
	v_cndmask_b32_e64 v14, v7, v2, s[2:3]
	v_mul_u32_u24_e32 v19, 33, v1
	s_branch .LBB141_23
.LBB141_21:
                                        ; implicit-def: $vgpr14_vgpr15
	v_mul_u32_u24_e32 v19, 33, v1
	s_cbranch_execz .LBB141_23
; %bb.22:
	flat_load_dword v7, v[2:3]
	s_lshl_b32 s2, s24, 3
	s_ashr_i32 s3, s2, 31
	s_lshl_b64 s[2:3], s[2:3], 2
	v_add_lshl_u32 v9, v19, v0, 2
	v_mov_b32_e32 v15, s3
	v_add_co_u32_e32 v14, vcc, s2, v2
	v_addc_co_u32_e32 v15, vcc, v3, v15, vcc
	s_ashr_i32 s25, s24, 31
	s_lshl_b64 s[2:3], s[24:25], 5
	v_mov_b32_e32 v16, s3
	s_waitcnt vmcnt(0) lgkmcnt(0)
	ds_write_b32 v9, v7
	flat_load_dword v7, v[14:15]
	v_add_co_u32_e32 v14, vcc, s2, v14
	v_addc_co_u32_e32 v15, vcc, v15, v16, vcc
	s_waitcnt vmcnt(0) lgkmcnt(0)
	ds_write_b32 v9, v7 offset:1056
	flat_load_dword v7, v[14:15]
	v_add_co_u32_e32 v14, vcc, s2, v14
	v_addc_co_u32_e32 v15, vcc, v15, v16, vcc
	s_waitcnt vmcnt(0) lgkmcnt(0)
	ds_write_b32 v9, v7 offset:2112
	flat_load_dword v7, v[14:15]
	v_pk_mov_b32 v[14:15], v[2:3], v[2:3] op_sel:[0,1]
	s_waitcnt vmcnt(0) lgkmcnt(0)
	ds_write_b32 v9, v7 offset:3168
.LBB141_23:
	v_lshlrev_b32_e32 v7, 2, v1
	v_mul_u32_u24_e32 v9, 33, v0
	v_cmp_gt_u32_e64 s[16:17], v7, v0
	v_add_lshl_u32 v24, v7, v9, 2
	s_waitcnt lgkmcnt(0)
	s_barrier
	s_and_saveexec_b64 s[2:3], s[16:17]
	s_cbranch_execz .LBB141_25
; %bb.24:
	v_mul_u32_u24_e32 v2, 0x84, v1
	v_add_lshl_u32 v2, v2, v0, 2
	ds_read_b32 v2, v2
	s_waitcnt lgkmcnt(0)
	ds_write_b32 v24, v2
.LBB141_25:
	s_or_b64 exec, exec, s[2:3]
	v_cmp_ge_u32_e64 s[8:9], v7, v0
	s_and_saveexec_b64 s[2:3], s[8:9]
	s_cbranch_execz .LBB141_27
; %bb.26:
	v_or_b32_e32 v2, 1, v7
	v_mul_u32_u24_e32 v2, 33, v2
	v_add_lshl_u32 v2, v2, v0, 2
	ds_read_b32 v2, v2
	s_waitcnt lgkmcnt(0)
	ds_write_b32 v24, v2 offset:4
.LBB141_27:
	s_or_b64 exec, exec, s[2:3]
	v_or_b32_e32 v2, 2, v7
	v_cmp_gt_u32_e64 s[10:11], v2, v0
	s_and_saveexec_b64 s[2:3], s[10:11]
	s_cbranch_execz .LBB141_29
; %bb.28:
	v_mul_u32_u24_e32 v2, 33, v2
	v_add_lshl_u32 v2, v2, v0, 2
	ds_read_b32 v2, v2
	s_waitcnt lgkmcnt(0)
	ds_write_b32 v24, v2 offset:8
.LBB141_29:
	s_or_b64 exec, exec, s[2:3]
	v_or_b32_e32 v2, 3, v7
	v_cmp_gt_u32_e64 s[12:13], v2, v0
	v_mad_u32_u24 v2, v2, 33, v0
	v_lshlrev_b32_e32 v21, 2, v2
	s_and_saveexec_b64 s[2:3], s[12:13]
	s_cbranch_execz .LBB141_31
; %bb.30:
	ds_read_b32 v2, v21
	s_waitcnt lgkmcnt(0)
	ds_write_b32 v24, v2 offset:12
.LBB141_31:
	s_or_b64 exec, exec, s[2:3]
	v_mul_u32_u24_e32 v2, 0x84, v1
	v_add_u32_e32 v23, 0xfffffef8, v21
	s_waitcnt lgkmcnt(0)
	s_barrier
	v_add_lshl_u32 v22, v2, v0, 2
	v_lshlrev_b32_e32 v25, 2, v7
	ds_read2_b32 v[2:3], v23 offset1:33
	ds_read_b32 v16, v22
	ds_read_b128 v[26:29], v25 offset:4544
	ds_read_b32 v31, v21
	v_add_lshl_u32 v20, v1, v9, 2
	s_waitcnt lgkmcnt(3)
	v_mov_b32_e32 v17, v2
	v_mov_b32_e32 v30, v3
	s_waitcnt lgkmcnt(1)
	v_pk_mul_f32 v[16:17], v[16:17], v[26:27]
	v_add_f32_e32 v2, 0, v16
	v_add_f32_e32 v16, v2, v17
	s_waitcnt lgkmcnt(0)
	v_pk_mul_f32 v[2:3], v[30:31], v[28:29]
	v_add_f32_e32 v2, v16, v2
	v_add_f32_e32 v2, v2, v3
	v_cmp_gt_u32_e64 s[2:3], 32, v54
	v_mov_b32_e32 v70, 0
	v_lshlrev_b32_e32 v18, 2, v9
	s_barrier
	ds_write_b32 v20, v2
	s_waitcnt lgkmcnt(0)
	s_barrier
	s_and_saveexec_b64 s[14:15], s[2:3]
	s_cbranch_execz .LBB141_33
; %bb.32:
	ds_read2_b32 v[2:3], v18 offset1:1
	ds_read2_b32 v[16:17], v18 offset0:2 offset1:3
	ds_read2_b32 v[26:27], v18 offset0:4 offset1:5
	;; [unrolled: 1-line block ×3, first 2 shown]
	s_waitcnt lgkmcnt(3)
	v_add_f32_e32 v2, v2, v3
	s_waitcnt lgkmcnt(2)
	v_add_f32_e32 v2, v2, v16
	v_add_f32_e32 v2, v2, v17
	s_waitcnt lgkmcnt(1)
	v_add_f32_e32 v2, v2, v26
	;; [unrolled: 3-line block ×3, first 2 shown]
	v_add_f32_e32 v70, v2, v29
.LBB141_33:
	s_or_b64 exec, exec, s[14:15]
	s_lshl_b32 s34, s24, 5
	s_ashr_i32 s35, s34, 31
	s_lshl_b64 s[30:31], s[34:35], 2
	v_mov_b32_e32 v2, s31
	v_add_co_u32_e32 v14, vcc, s30, v14
	v_addc_co_u32_e32 v15, vcc, v15, v2, vcc
	v_add_co_u32_e32 v2, vcc, 0x80, v14
	v_addc_co_u32_e32 v3, vcc, 0, v15, vcc
	s_and_b64 vcc, exec, s[36:37]
	s_barrier
	s_cbranch_vccz .LBB141_43
; %bb.34:
	v_or_b32_e32 v16, 32, v0
	v_lshlrev_b32_e32 v17, 2, v16
	v_sub_co_u32_e32 v17, vcc, v2, v17
	s_ashr_i32 s19, s18, 31
	v_subbrev_co_u32_e32 v26, vcc, 0, v3, vcc
	s_lshl_b64 s[38:39], s[18:19], 2
	v_mov_b32_e32 v28, s39
	v_add_co_u32_e32 v17, vcc, s38, v17
	v_addc_co_u32_e32 v26, vcc, v26, v28, vcc
	v_add_co_u32_e32 v28, vcc, -4, v17
	v_addc_co_u32_e32 v17, vcc, -1, v26, vcc
	v_cmp_gt_i32_e64 s[14:15], s18, v16
	s_sub_i32 s19, s18, 32
	v_mov_b32_e32 v27, 0
	v_cndmask_b32_e64 v17, v17, v3, s[14:15]
	v_cndmask_b32_e64 v16, v28, v2, s[14:15]
	v_cmp_gt_i32_e32 vcc, s19, v1
	v_mov_b32_e32 v28, 0
	s_and_saveexec_b64 s[40:41], vcc
	s_cbranch_execz .LBB141_36
; %bb.35:
	flat_load_dword v28, v[16:17]
.LBB141_36:
	s_or_b64 exec, exec, s[40:41]
	v_add_lshl_u32 v26, v19, v0, 2
	s_waitcnt vmcnt(0) lgkmcnt(0)
	ds_write_b32 v26, v28
	v_add_u32_e32 v28, 8, v1
	v_cmp_gt_i32_e32 vcc, s19, v28
	s_and_saveexec_b64 s[40:41], vcc
	s_cbranch_execz .LBB141_38
; %bb.37:
	s_lshl_b32 s42, s24, 3
	s_ashr_i32 s43, s42, 31
	s_lshl_b64 s[42:43], s[42:43], 2
	v_mov_b32_e32 v27, s43
	v_add_co_u32_e32 v28, vcc, s42, v16
	v_addc_co_u32_e32 v29, vcc, v17, v27, vcc
	flat_load_dword v27, v[28:29]
.LBB141_38:
	s_or_b64 exec, exec, s[40:41]
	s_waitcnt vmcnt(0) lgkmcnt(0)
	ds_write_b32 v26, v27 offset:1056
	v_add_u32_e32 v27, 16, v1
	v_cmp_gt_i32_e32 vcc, s19, v27
	v_mov_b32_e32 v27, 0
	v_mov_b32_e32 v28, 0
	s_and_saveexec_b64 s[40:41], vcc
	s_cbranch_execz .LBB141_40
; %bb.39:
	s_lshl_b32 s42, s24, 4
	s_ashr_i32 s43, s42, 31
	s_lshl_b64 s[42:43], s[42:43], 2
	v_mov_b32_e32 v29, s43
	v_add_co_u32_e32 v28, vcc, s42, v16
	v_addc_co_u32_e32 v29, vcc, v17, v29, vcc
	flat_load_dword v28, v[28:29]
.LBB141_40:
	s_or_b64 exec, exec, s[40:41]
	s_waitcnt vmcnt(0) lgkmcnt(0)
	ds_write_b32 v26, v28 offset:2112
	v_add_u32_e32 v28, 24, v1
	v_cmp_gt_i32_e32 vcc, s19, v28
	s_and_saveexec_b64 s[40:41], vcc
	s_cbranch_execz .LBB141_42
; %bb.41:
	s_mul_i32 s42, s24, 24
	s_ashr_i32 s43, s42, 31
	s_lshl_b64 s[42:43], s[42:43], 2
	v_mov_b32_e32 v27, s43
	v_add_co_u32_e32 v28, vcc, s42, v16
	v_addc_co_u32_e32 v29, vcc, v17, v27, vcc
	flat_load_dword v27, v[28:29]
.LBB141_42:
	s_or_b64 exec, exec, s[40:41]
	v_add_co_u32_e32 v16, vcc, v16, v5
	v_addc_co_u32_e32 v17, vcc, 0, v17, vcc
	s_waitcnt vmcnt(0) lgkmcnt(0)
	ds_write_b32 v26, v27 offset:3168
	v_mov_b32_e32 v26, s39
	v_subrev_co_u32_e32 v16, vcc, s38, v16
	v_subb_co_u32_e32 v17, vcc, v17, v26, vcc
	v_add_co_u32_e32 v16, vcc, 0x84, v16
	v_addc_co_u32_e32 v17, vcc, 0, v17, vcc
	v_cndmask_b32_e64 v17, v17, v3, s[14:15]
	v_cndmask_b32_e64 v16, v16, v2, s[14:15]
	s_branch .LBB141_45
.LBB141_43:
                                        ; implicit-def: $vgpr16_vgpr17
	s_cbranch_execz .LBB141_45
; %bb.44:
	flat_load_dword v16, v[14:15] offset:128
	s_lshl_b32 s14, s24, 3
	s_ashr_i32 s15, s14, 31
	s_lshl_b64 s[14:15], s[14:15], 2
	v_add_lshl_u32 v17, v19, v0, 2
	v_mov_b32_e32 v26, s15
	v_add_co_u32_e32 v14, vcc, s14, v14
	v_addc_co_u32_e32 v15, vcc, v15, v26, vcc
	s_ashr_i32 s25, s24, 31
	s_lshl_b64 s[14:15], s[24:25], 5
	v_mov_b32_e32 v26, s15
	s_waitcnt vmcnt(0) lgkmcnt(0)
	ds_write_b32 v17, v16
	flat_load_dword v16, v[14:15] offset:128
	v_add_co_u32_e32 v14, vcc, s14, v14
	v_addc_co_u32_e32 v15, vcc, v15, v26, vcc
	s_waitcnt vmcnt(0) lgkmcnt(0)
	ds_write_b32 v17, v16 offset:1056
	flat_load_dword v16, v[14:15] offset:128
	v_add_co_u32_e32 v14, vcc, s14, v14
	v_addc_co_u32_e32 v15, vcc, v15, v26, vcc
	s_waitcnt vmcnt(0) lgkmcnt(0)
	ds_write_b32 v17, v16 offset:2112
	flat_load_dword v14, v[14:15] offset:128
	s_waitcnt vmcnt(0) lgkmcnt(0)
	ds_write_b32 v17, v14 offset:3168
	v_pk_mov_b32 v[16:17], v[2:3], v[2:3] op_sel:[0,1]
.LBB141_45:
	s_waitcnt lgkmcnt(0)
	s_barrier
	s_and_saveexec_b64 s[14:15], s[16:17]
	s_cbranch_execnz .LBB141_62
; %bb.46:
	s_or_b64 exec, exec, s[14:15]
	s_and_saveexec_b64 s[14:15], s[8:9]
	s_cbranch_execnz .LBB141_63
.LBB141_47:
	s_or_b64 exec, exec, s[14:15]
	s_and_saveexec_b64 s[8:9], s[10:11]
	s_cbranch_execnz .LBB141_64
.LBB141_48:
	s_or_b64 exec, exec, s[8:9]
	v_add_u32_e32 v25, 0x11c0, v25
	s_and_saveexec_b64 s[8:9], s[12:13]
	s_cbranch_execz .LBB141_50
.LBB141_49:
	ds_read_b32 v2, v21
	s_waitcnt lgkmcnt(0)
	ds_write_b32 v24, v2 offset:12
.LBB141_50:
	s_or_b64 exec, exec, s[8:9]
	s_waitcnt lgkmcnt(0)
	s_barrier
	ds_read_b32 v14, v22
	ds_read_b128 v[26:29], v25 offset:128
	ds_read2_b32 v[2:3], v23 offset1:33
	ds_read_b32 v15, v21
	v_cmp_eq_u32_e64 s[8:9], 1, v1
	s_waitcnt lgkmcnt(0)
	v_fma_f32 v14, v14, v26, 0
	v_fmac_f32_e32 v14, v2, v27
	v_fmac_f32_e32 v14, v3, v28
	v_fmac_f32_e32 v14, v15, v29
	s_barrier
	ds_write_b32 v20, v14
	s_waitcnt lgkmcnt(0)
	s_barrier
	s_and_saveexec_b64 s[10:11], s[8:9]
	s_cbranch_execz .LBB141_52
; %bb.51:
	ds_read2_b32 v[2:3], v18 offset1:1
	ds_read2_b32 v[14:15], v18 offset0:2 offset1:3
	ds_read2_b32 v[26:27], v18 offset0:4 offset1:5
	;; [unrolled: 1-line block ×3, first 2 shown]
	s_waitcnt lgkmcnt(3)
	v_add_f32_e32 v2, v2, v3
	s_waitcnt lgkmcnt(2)
	v_add_f32_e32 v2, v2, v14
	v_add_f32_e32 v2, v2, v15
	s_waitcnt lgkmcnt(1)
	v_add_f32_e32 v2, v2, v26
	;; [unrolled: 3-line block ×3, first 2 shown]
	v_add_f32_e32 v70, v2, v29
.LBB141_52:
	s_or_b64 exec, exec, s[10:11]
	v_add_co_u32_e32 v2, vcc, 0xffffff80, v16
	v_addc_co_u32_e32 v3, vcc, -1, v17, vcc
	s_and_b64 vcc, exec, s[36:37]
	s_barrier
	s_cbranch_vccz .LBB141_65
; %bb.53:
	v_sub_co_u32_e32 v14, vcc, v2, v5
	s_ashr_i32 s19, s18, 31
	v_subbrev_co_u32_e32 v15, vcc, 0, v3, vcc
	s_lshl_b64 s[12:13], s[18:19], 2
	v_mov_b32_e32 v16, s13
	v_add_co_u32_e32 v14, vcc, s12, v14
	v_addc_co_u32_e32 v15, vcc, v15, v16, vcc
	v_add_co_u32_e32 v14, vcc, -4, v14
	v_addc_co_u32_e32 v15, vcc, -1, v15, vcc
	v_cmp_gt_i32_e32 vcc, s18, v0
	s_sub_i32 s16, s18, 32
	v_cndmask_b32_e32 v15, v15, v3, vcc
	v_cndmask_b32_e32 v14, v14, v2, vcc
	v_cmp_gt_i32_e64 s[10:11], s16, v1
	v_mov_b32_e32 v17, 0
	v_mov_b32_e32 v16, 0
	s_and_saveexec_b64 s[14:15], s[10:11]
	s_cbranch_execz .LBB141_55
; %bb.54:
	flat_load_dword v16, v[14:15]
.LBB141_55:
	s_or_b64 exec, exec, s[14:15]
	v_add_lshl_u32 v26, v19, v0, 2
	s_waitcnt vmcnt(0) lgkmcnt(0)
	ds_write_b32 v26, v16
	v_add_u32_e32 v16, 8, v1
	v_cmp_gt_i32_e64 s[10:11], s16, v16
	s_and_saveexec_b64 s[14:15], s[10:11]
	s_cbranch_execz .LBB141_57
; %bb.56:
	s_lshl_b32 s10, s24, 3
	s_ashr_i32 s11, s10, 31
	s_lshl_b64 s[10:11], s[10:11], 2
	v_mov_b32_e32 v17, s11
	v_add_co_u32_e64 v28, s[10:11], s10, v14
	v_addc_co_u32_e64 v29, s[10:11], v15, v17, s[10:11]
	flat_load_dword v17, v[28:29]
.LBB141_57:
	s_or_b64 exec, exec, s[14:15]
	s_waitcnt vmcnt(0) lgkmcnt(0)
	ds_write_b32 v26, v17 offset:1056
	v_add_u32_e32 v17, 16, v1
	v_cmp_gt_i32_e64 s[10:11], s16, v17
	v_mov_b32_e32 v27, 0
	v_mov_b32_e32 v24, 0
	s_and_saveexec_b64 s[14:15], s[10:11]
	s_cbranch_execz .LBB141_59
; %bb.58:
	s_lshl_b32 s10, s24, 4
	s_ashr_i32 s11, s10, 31
	s_lshl_b64 s[10:11], s[10:11], 2
	v_mov_b32_e32 v24, s11
	v_add_co_u32_e64 v28, s[10:11], s10, v14
	v_addc_co_u32_e64 v29, s[10:11], v15, v24, s[10:11]
	flat_load_dword v24, v[28:29]
.LBB141_59:
	s_or_b64 exec, exec, s[14:15]
	s_waitcnt vmcnt(0) lgkmcnt(0)
	ds_write_b32 v26, v24 offset:2112
	v_add_u32_e32 v24, 24, v1
	v_cmp_gt_i32_e64 s[10:11], s16, v24
	s_and_saveexec_b64 s[14:15], s[10:11]
	s_cbranch_execz .LBB141_61
; %bb.60:
	s_mul_i32 s10, s24, 24
	s_ashr_i32 s11, s10, 31
	s_lshl_b64 s[10:11], s[10:11], 2
	v_mov_b32_e32 v27, s11
	v_add_co_u32_e64 v28, s[10:11], s10, v14
	v_addc_co_u32_e64 v29, s[10:11], v15, v27, s[10:11]
	flat_load_dword v27, v[28:29]
.LBB141_61:
	s_or_b64 exec, exec, s[14:15]
	v_add_co_u32_e64 v5, s[10:11], v14, v5
	v_addc_co_u32_e64 v14, s[10:11], 0, v15, s[10:11]
	v_mov_b32_e32 v15, s13
	v_subrev_co_u32_e64 v5, s[10:11], s12, v5
	v_subb_co_u32_e64 v14, s[10:11], v14, v15, s[10:11]
	v_add_co_u32_e64 v5, s[10:11], 4, v5
	v_addc_co_u32_e64 v14, s[10:11], 0, v14, s[10:11]
	s_waitcnt vmcnt(0) lgkmcnt(0)
	ds_write_b32 v26, v27 offset:3168
	v_cndmask_b32_e32 v53, v14, v3, vcc
	v_cndmask_b32_e32 v52, v5, v2, vcc
	s_branch .LBB141_67
.LBB141_62:
	ds_read_b32 v2, v22
	s_waitcnt lgkmcnt(0)
	ds_write_b32 v24, v2
	s_or_b64 exec, exec, s[14:15]
	s_and_saveexec_b64 s[14:15], s[8:9]
	s_cbranch_execz .LBB141_47
.LBB141_63:
	ds_read_b32 v2, v23
	s_waitcnt lgkmcnt(0)
	ds_write_b32 v24, v2 offset:4
	s_or_b64 exec, exec, s[14:15]
	s_and_saveexec_b64 s[8:9], s[10:11]
	s_cbranch_execz .LBB141_48
.LBB141_64:
	ds_read_b32 v2, v23 offset:132
	s_waitcnt lgkmcnt(0)
	ds_write_b32 v24, v2 offset:8
	s_or_b64 exec, exec, s[8:9]
	v_add_u32_e32 v25, 0x11c0, v25
	s_and_saveexec_b64 s[8:9], s[12:13]
	s_cbranch_execnz .LBB141_49
	s_branch .LBB141_50
.LBB141_65:
                                        ; implicit-def: $vgpr52_vgpr53
                                        ; implicit-def: $vgpr16
                                        ; implicit-def: $vgpr17
                                        ; implicit-def: $vgpr24
	s_cbranch_execz .LBB141_67
; %bb.66:
	flat_load_dword v5, v[2:3]
	s_lshl_b32 s10, s24, 3
	s_ashr_i32 s11, s10, 31
	s_lshl_b64 s[10:11], s[10:11], 2
	v_add_lshl_u32 v0, v19, v0, 2
	v_mov_b32_e32 v15, s11
	v_add_co_u32_e32 v14, vcc, s10, v2
	v_addc_co_u32_e32 v15, vcc, v3, v15, vcc
	s_ashr_i32 s25, s24, 31
	s_lshl_b64 s[10:11], s[24:25], 5
	v_mov_b32_e32 v16, s11
	v_add_u32_e32 v17, 16, v1
	v_add_u32_e32 v24, 24, v1
	v_pk_mov_b32 v[52:53], v[2:3], v[2:3] op_sel:[0,1]
	s_waitcnt vmcnt(0) lgkmcnt(0)
	ds_write_b32 v0, v5
	flat_load_dword v5, v[14:15]
	v_add_co_u32_e32 v14, vcc, s10, v14
	v_addc_co_u32_e32 v15, vcc, v15, v16, vcc
	s_waitcnt vmcnt(0) lgkmcnt(0)
	ds_write_b32 v0, v5 offset:1056
	flat_load_dword v5, v[14:15]
	v_add_co_u32_e32 v14, vcc, s10, v14
	v_addc_co_u32_e32 v15, vcc, v15, v16, vcc
	v_add_u32_e32 v16, 8, v1
	s_waitcnt vmcnt(0) lgkmcnt(0)
	ds_write_b32 v0, v5 offset:2112
	flat_load_dword v5, v[14:15]
	s_waitcnt vmcnt(0) lgkmcnt(0)
	ds_write_b32 v0, v5 offset:3168
.LBB141_67:
	v_add_lshl_u32 v19, v16, v9, 2
	v_lshlrev_b32_e32 v16, 2, v16
	v_add_lshl_u32 v26, v17, v9, 2
	v_lshlrev_b32_e32 v17, 2, v17
	;; [unrolled: 2-line block ×3, first 2 shown]
	s_waitcnt lgkmcnt(0)
	s_barrier
	ds_read_b32 v27, v7 offset:4544
	ds_read_b32 v5, v22
	ds_read_b32 v22, v20
	ds_read_b128 v[0:3], v25 offset:128
	ds_read2_b32 v[14:15], v23 offset1:33
	ds_read_b32 v19, v19
	ds_read_b32 v16, v16 offset:4544
	ds_read_b32 v23, v26
	ds_read_b32 v17, v17 offset:4544
	;; [unrolled: 2-line block ×3, first 2 shown]
	ds_read_b32 v7, v21
	s_waitcnt lgkmcnt(9)
	v_fma_f32 v21, v22, v27, 0
	s_waitcnt lgkmcnt(5)
	v_fmac_f32_e32 v21, v19, v16
	s_waitcnt lgkmcnt(3)
	v_fmac_f32_e32 v21, v23, v17
	s_waitcnt lgkmcnt(1)
	v_fmac_f32_e32 v21, v9, v24
	s_waitcnt lgkmcnt(0)
	s_barrier
	ds_write_b32 v20, v21
	s_waitcnt lgkmcnt(0)
	s_barrier
	s_and_saveexec_b64 s[10:11], s[8:9]
	s_cbranch_execz .LBB141_69
; %bb.68:
	ds_read2_b32 v[16:17], v18 offset1:1
	ds_read2_b32 v[22:23], v18 offset0:2 offset1:3
	ds_read2_b32 v[24:25], v18 offset0:4 offset1:5
	;; [unrolled: 1-line block ×3, first 2 shown]
	s_waitcnt lgkmcnt(3)
	v_add_f32_e32 v9, v70, v16
	v_add_f32_e32 v9, v9, v17
	s_waitcnt lgkmcnt(2)
	v_add_f32_e32 v9, v9, v22
	v_add_f32_e32 v9, v9, v23
	;; [unrolled: 3-line block ×4, first 2 shown]
.LBB141_69:
	s_or_b64 exec, exec, s[10:11]
	v_fma_f32 v0, v5, v0, 0
	v_fmac_f32_e32 v0, v14, v1
	v_fmac_f32_e32 v0, v15, v2
	;; [unrolled: 1-line block ×3, first 2 shown]
	s_barrier
	ds_write_b32 v20, v0
	s_waitcnt lgkmcnt(0)
	s_barrier
	s_and_saveexec_b64 s[8:9], s[2:3]
	s_cbranch_execz .LBB141_71
; %bb.70:
	ds_read2_b32 v[0:1], v18 offset1:1
	ds_read2_b32 v[2:3], v18 offset0:2 offset1:3
	ds_read2_b32 v[14:15], v18 offset0:4 offset1:5
	;; [unrolled: 1-line block ×3, first 2 shown]
	s_waitcnt lgkmcnt(3)
	v_add_f32_e32 v0, v70, v0
	v_add_f32_e32 v0, v0, v1
	s_waitcnt lgkmcnt(2)
	v_add_f32_e32 v0, v0, v2
	v_add_f32_e32 v0, v0, v3
	;; [unrolled: 3-line block ×4, first 2 shown]
.LBB141_71:
	s_or_b64 exec, exec, s[8:9]
	s_load_dwordx2 s[2:3], s[4:5], 0x60
	s_mul_hi_u32 s4, s28, s26
	s_mul_i32 s33, s33, s26
	s_add_i32 s4, s4, s33
	s_mul_i32 s8, s28, s26
	s_mul_i32 s4, s4, s7
	s_mul_hi_u32 s5, s8, s7
	s_add_i32 s5, s5, s4
	s_mul_i32 s4, s8, s7
	s_lshl_b64 s[4:5], s[4:5], 2
	s_waitcnt lgkmcnt(0)
	s_add_u32 s4, s2, s4
	s_addc_u32 s5, s3, s5
	s_mul_hi_i32 s3, s28, s6
	s_mul_i32 s2, s28, s6
	s_lshl_b64 s[2:3], s[2:3], 2
	s_add_u32 s19, s4, s2
	s_addc_u32 s23, s5, s3
	s_add_i32 s8, s6, 1
	s_cmp_ge_u32 s8, s7
	v_lshlrev_b32_e32 v71, 2, v6
	s_barrier
	s_cbranch_scc1 .LBB141_128
; %bb.72:
	s_mul_i32 s2, s22, s29
	s_ashr_i32 s3, s2, 31
	s_lshl_b64 s[2:3], s[2:3], 2
	v_lshlrev_b32_e32 v72, 2, v51
	v_mov_b32_e32 v0, s3
	v_subrev_co_u32_e32 v73, vcc, s2, v12
	v_subb_co_u32_e32 v74, vcc, v13, v0, vcc
	v_mad_u64_u32 v[18:19], s[2:3], v72, s24, v[6:7]
	v_mov_b32_e32 v1, s31
	v_add_co_u32_e32 v0, vcc, s30, v52
	s_lshl_b32 s28, s29, 6
	s_lshl_b32 s2, s24, 4
	s_ashr_i32 s25, s24, 31
	s_lshl_b32 s14, s24, 1
	s_mul_i32 s36, s24, 3
	s_mul_i32 s29, s29, s8
	v_addc_co_u32_e32 v1, vcc, v53, v1, vcc
	s_add_i32 s26, s7, -2
	s_ashr_i32 s3, s2, 31
	s_ashr_i32 s15, s14, 31
	;; [unrolled: 1-line block ×3, first 2 shown]
	s_lshl_b64 s[4:5], s[24:25], 2
	s_lshl_b32 s10, s29, 6
	s_lshl_b64 s[16:17], s[24:25], 3
	v_sub_co_u32_e32 v75, vcc, 0, v10
	s_add_u32 s11, s16, s30
	v_subb_co_u32_e32 v76, vcc, 0, v11, vcc
	s_addc_u32 s29, s17, s31
	v_mov_b32_e32 v3, s29
	v_add_co_u32_e32 v2, vcc, s11, v52
	v_addc_co_u32_e32 v3, vcc, v53, v3, vcc
	v_ashrrev_i32_e32 v19, 31, v18
	v_mov_b32_e32 v5, s35
	v_add_co_u32_e32 v10, vcc, s34, v18
	v_addc_co_u32_e32 v11, vcc, v5, v19, vcc
	v_lshlrev_b64 v[22:23], 2, v[10:11]
	v_lshlrev_b64 v[12:13], 2, v[18:19]
	s_lshl_b64 s[12:13], s[2:3], 4
	v_mad_i64_i32 v[10:11], s[8:9], s24, 12, v[22:23]
	v_mad_i64_i32 v[8:9], s[8:9], v8, -4, v[12:13]
	v_add_co_u32_e32 v10, vcc, v52, v10
	s_add_u32 s39, s4, s30
	v_addc_co_u32_e32 v5, vcc, v53, v11, vcc
	s_addc_u32 s40, s5, s31
	s_lshl_b64 s[8:9], s[14:15], 2
	v_mov_b32_e32 v7, s40
	v_add_co_u32_e32 v12, vcc, s39, v52
	s_add_u32 s14, s30, s8
	v_addc_co_u32_e32 v7, vcc, v53, v7, vcc
	s_addc_u32 s15, s31, s9
	v_mov_b32_e32 v11, s15
	v_add_co_u32_e32 v14, vcc, s14, v52
	s_lshl_b64 s[14:15], s[36:37], 2
	s_add_u32 s36, s30, s14
	v_addc_co_u32_e32 v11, vcc, v53, v11, vcc
	s_addc_u32 s37, s31, s15
	v_mov_b32_e32 v13, s37
	v_add_co_u32_e32 v16, vcc, s36, v52
	s_lshl_b64 s[36:37], s[2:3], 2
	s_add_u32 s41, s11, s36
	s_addc_u32 s42, s29, s37
	s_add_u32 s34, s34, s2
	s_addc_u32 s35, s35, s3
	;; [unrolled: 2-line block ×3, first 2 shown]
	v_addc_co_u32_e32 v13, vcc, v53, v13, vcc
	s_add_u32 s36, s30, s36
	v_mov_b32_e32 v15, s35
	v_add_co_u32_e32 v18, vcc, s34, v18
	s_addc_u32 s37, s31, s37
	v_addc_co_u32_e32 v19, vcc, v15, v19, vcc
	s_add_u32 s43, s36, s8
	v_lshlrev_b64 v[18:19], 2, v[18:19]
	s_addc_u32 s44, s37, s9
	v_mad_i64_i32 v[18:19], s[34:35], s24, 12, v[18:19]
	s_add_u32 s45, s36, s14
	s_addc_u32 s46, s37, s15
	s_lshl_b64 s[34:35], s[2:3], 3
	s_add_u32 s11, s11, s34
	s_mul_i32 s38, s24, 12
	s_addc_u32 s29, s29, s35
	s_mul_hi_i32 s33, s24, 12
	s_add_u32 s38, s38, s34
	s_addc_u32 s33, s33, s35
	s_add_u32 s30, s34, s30
	s_addc_u32 s31, s35, s31
	v_mov_b32_e32 v17, s33
	s_add_u32 s33, s30, s4
	v_add_co_u32_e32 v18, vcc, v52, v18
	s_addc_u32 s34, s31, s5
	v_addc_co_u32_e32 v15, vcc, v53, v19, vcc
	s_add_u32 s35, s30, s8
	v_add_co_u32_e32 v33, vcc, s38, v22
	s_addc_u32 s38, s31, s9
	s_add_u32 s47, s30, s14
	s_addc_u32 s48, s31, s15
	s_mul_i32 s49, s24, 0xc0
	s_mul_hi_i32 s50, s2, 12
	s_add_u32 s16, s49, s16
	v_addc_co_u32_e32 v35, vcc, v17, v23, vcc
	s_addc_u32 s17, s50, s17
	v_add_co_u32_e32 v43, vcc, s16, v22
	s_add_u32 s16, s24, s2
	v_mov_b32_e32 v17, s17
	v_mad_u64_u32 v[20:21], s[16:17], s16, 12, v[22:23]
	s_addc_u32 s3, s25, s3
	v_mov_b32_e32 v24, v21
	v_addc_co_u32_e32 v45, vcc, v17, v23, vcc
	v_mad_u64_u32 v[24:25], s[16:17], s3, 12, v[24:25]
	v_mov_b32_e32 v17, v24
	v_add_co_u32_e32 v20, vcc, v52, v20
	v_addc_co_u32_e32 v17, vcc, v53, v17, vcc
	v_mad_i64_i32 v[22:23], s[2:3], s2, 12, v[22:23]
	v_mov_b32_e32 v19, s5
	v_add_co_u32_e32 v47, vcc, s4, v22
	v_addc_co_u32_e32 v49, vcc, v23, v19, vcc
	v_mov_b32_e32 v19, s9
	v_add_co_u32_e32 v50, vcc, s8, v22
	v_addc_co_u32_e32 v55, vcc, v23, v19, vcc
	;; [unrolled: 3-line block ×3, first 2 shown]
	v_add_co_u32_e32 v22, vcc, v52, v22
	v_addc_co_u32_e32 v19, vcc, v53, v23, vcc
	v_mov_b32_e32 v21, s42
	v_add_co_u32_e32 v24, vcc, s41, v52
	v_addc_co_u32_e32 v21, vcc, v53, v21, vcc
	v_mov_b32_e32 v23, s40
	;; [unrolled: 3-line block ×6, first 2 shown]
	v_add_co_u32_e32 v34, vcc, s11, v52
	v_addc_co_u32_e32 v31, vcc, v53, v31, vcc
	v_add_co_u32_e32 v36, vcc, v52, v33
	v_addc_co_u32_e32 v33, vcc, v53, v35, vcc
	v_mov_b32_e32 v35, s34
	v_add_co_u32_e32 v38, vcc, s33, v52
	v_addc_co_u32_e32 v35, vcc, v53, v35, vcc
	v_mov_b32_e32 v37, s31
	;; [unrolled: 3-line block ×4, first 2 shown]
	v_add_co_u32_e32 v44, vcc, s47, v52
	v_addc_co_u32_e32 v41, vcc, v53, v41, vcc
	v_add_co_u32_e32 v46, vcc, v52, v43
	v_addc_co_u32_e32 v43, vcc, v53, v45, vcc
	;; [unrolled: 2-line block ×5, first 2 shown]
	s_movk_i32 s4, 0x10c
	v_and_b32_e32 v55, 15, v6
	v_or_b32_e32 v57, 60, v71
	v_cmp_gt_u32_e64 s[2:3], 64, v54
	v_and_b32_e32 v56, 48, v6
	v_mad_u32_u24 v77, v55, s4, v57
	v_lshrrev_b32_e32 v57, 4, v54
	v_and_b32_e32 v54, 0x1fff0, v54
	v_lshlrev_b32_e32 v53, 2, v56
	v_mad_u32_u24 v78, v55, s4, v54
	v_mov_b32_e32 v54, 0x10c0
	v_mad_u32_u24 v53, v55, s4, v53
	v_lshl_add_u32 v79, v51, 4, v54
	s_movk_i32 s4, 0x430
	v_mul_i32_i24_e32 v57, -12, v57
	v_add_u32_e32 v54, s22, v56
	v_add3_u32 v54, v54, v55, 64
	v_add_u32_e32 v80, v78, v57
	v_add_u32_e32 v81, 0x10c0, v71
	;; [unrolled: 1-line block ×3, first 2 shown]
	v_or_b32_e32 v83, 1, v72
	v_or_b32_e32 v84, 2, v72
	;; [unrolled: 1-line block ×3, first 2 shown]
	v_mad_u32_u24 v86, v51, s4, v71
	v_add_u32_e32 v87, 16, v72
	v_add_u32_e32 v88, 17, v72
	;; [unrolled: 1-line block ×12, first 2 shown]
	s_cmp_eq_u32 s26, s6
	s_cselect_b32 s16, s27, 0
	s_and_saveexec_b64 s[4:5], s[0:1]
	s_cbranch_execz .LBB141_76
.LBB141_73:
	s_cmp_eq_u32 s16, 0
	s_cselect_b64 s[8:9], -1, 0
	v_cmp_gt_i32_e32 vcc, s16, v6
	s_or_b64 s[14:15], s[8:9], vcc
	v_mov_b32_e32 v55, 0
	s_and_saveexec_b64 s[8:9], s[14:15]
	s_cbranch_execz .LBB141_75
; %bb.74:
	s_ashr_i32 s11, s10, 31
	s_lshl_b64 s[14:15], s[10:11], 2
	v_mov_b32_e32 v55, s15
	v_add_co_u32_e32 v56, vcc, s14, v73
	v_addc_co_u32_e32 v57, vcc, v74, v55, vcc
	flat_load_dword v55, v[56:57]
.LBB141_75:
	s_or_b64 exec, exec, s[8:9]
	s_waitcnt vmcnt(0) lgkmcnt(0)
	ds_write_b32 v81, v55
.LBB141_76:                             ; =>This Inner Loop Header: Depth=1
	s_or_b64 exec, exec, s[4:5]
	s_cmp_eq_u32 s16, 0
	v_add_co_u32_e32 v56, vcc, v0, v8
	s_cselect_b64 s[14:15], -1, 0
	s_cmp_lg_u32 s16, 0
	v_addc_co_u32_e32 v57, vcc, v1, v9, vcc
	s_cselect_b64 s[8:9], -1, 0
	s_and_b64 vcc, exec, s[8:9]
	s_waitcnt lgkmcnt(0)
	s_barrier
	s_cbranch_vccz .LBB141_124
; %bb.77:                               ;   in Loop: Header=BB141_76 Depth=1
	v_cmp_gt_i32_e32 vcc, s16, v72
	v_mov_b32_e32 v100, 0
	v_mov_b32_e32 v99, 0
	s_and_saveexec_b64 s[4:5], vcc
	s_cbranch_execz .LBB141_79
; %bb.78:                               ;   in Loop: Header=BB141_76 Depth=1
	flat_load_dword v99, v[56:57]
.LBB141_79:                             ;   in Loop: Header=BB141_76 Depth=1
	s_or_b64 exec, exec, s[4:5]
	v_cmp_gt_i32_e32 vcc, s16, v83
	s_and_saveexec_b64 s[4:5], vcc
	s_cbranch_execz .LBB141_81
; %bb.80:                               ;   in Loop: Header=BB141_76 Depth=1
	v_add_co_u32_e32 v58, vcc, v12, v8
	v_addc_co_u32_e32 v59, vcc, v7, v9, vcc
	flat_load_dword v100, v[58:59]
.LBB141_81:                             ;   in Loop: Header=BB141_76 Depth=1
	s_or_b64 exec, exec, s[4:5]
	v_cmp_gt_i32_e32 vcc, s16, v84
	v_mov_b32_e32 v102, 0
	v_mov_b32_e32 v101, 0
	s_and_saveexec_b64 s[4:5], vcc
	s_cbranch_execz .LBB141_83
; %bb.82:                               ;   in Loop: Header=BB141_76 Depth=1
	v_add_co_u32_e32 v58, vcc, v14, v8
	v_addc_co_u32_e32 v59, vcc, v11, v9, vcc
	flat_load_dword v101, v[58:59]
.LBB141_83:                             ;   in Loop: Header=BB141_76 Depth=1
	s_or_b64 exec, exec, s[4:5]
	v_cmp_gt_i32_e32 vcc, s16, v85
	s_and_saveexec_b64 s[4:5], vcc
	s_cbranch_execz .LBB141_85
; %bb.84:                               ;   in Loop: Header=BB141_76 Depth=1
	v_add_co_u32_e32 v58, vcc, v16, v8
	v_addc_co_u32_e32 v59, vcc, v13, v9, vcc
	flat_load_dword v102, v[58:59]
.LBB141_85:                             ;   in Loop: Header=BB141_76 Depth=1
	s_or_b64 exec, exec, s[4:5]
	s_branch .LBB141_87
.LBB141_86:                             ;   in Loop: Header=BB141_76 Depth=1
	s_waitcnt vmcnt(0) lgkmcnt(0)
	flat_load_dword v99, v[56:57]
	v_add_co_u32_e32 v56, vcc, v12, v8
	v_addc_co_u32_e32 v57, vcc, v7, v9, vcc
	flat_load_dword v100, v[56:57]
	v_add_co_u32_e32 v56, vcc, v2, v8
	v_addc_co_u32_e32 v57, vcc, v3, v9, vcc
	;; [unrolled: 3-line block ×3, first 2 shown]
	flat_load_dword v102, v[56:57]
.LBB141_87:                             ;   in Loop: Header=BB141_76 Depth=1
	ds_read_b32 v55, v82
	ds_read_b32 v103, v79
	s_andn2_b64 vcc, exec, s[8:9]
	s_waitcnt vmcnt(0) lgkmcnt(0)
	v_mul_f32_e32 v56, v99, v55
	v_mul_f32_e32 v57, v100, v55
	ds_write_b32 v86, v56
	v_mul_f32_e32 v58, v101, v55
	ds_read_b32 v104, v79 offset:4
	ds_write_b32 v86, v57 offset:268
	ds_read_b32 v105, v79 offset:8
	ds_write_b32 v86, v58 offset:536
	v_mul_f32_e32 v55, v102, v55
	ds_read_b32 v106, v79 offset:12
	ds_write_b32 v86, v55 offset:804
	s_waitcnt lgkmcnt(0)
	s_barrier
	ds_read2_b32 v[58:59], v78 offset1:1
	ds_read2_b32 v[56:57], v78 offset0:2 offset1:3
	v_cndmask_b32_e64 v55, 0, 1, s[8:9]
	v_add_co_u32_e64 v60, s[8:9], v28, v8
	v_cmp_ne_u32_e64 s[4:5], 1, v55
	v_addc_co_u32_e64 v61, s[8:9], v25, v9, s[8:9]
	s_waitcnt lgkmcnt(0)
	s_barrier
	s_cbranch_vccnz .LBB141_125
; %bb.88:                               ;   in Loop: Header=BB141_76 Depth=1
	v_cmp_gt_i32_e32 vcc, s16, v87
	v_mov_b32_e32 v108, 0
	v_mov_b32_e32 v107, 0
	s_and_saveexec_b64 s[8:9], vcc
	s_cbranch_execz .LBB141_90
; %bb.89:                               ;   in Loop: Header=BB141_76 Depth=1
	flat_load_dword v107, v[60:61]
.LBB141_90:                             ;   in Loop: Header=BB141_76 Depth=1
	s_or_b64 exec, exec, s[8:9]
	v_cmp_gt_i32_e32 vcc, s16, v88
	s_and_saveexec_b64 s[8:9], vcc
	s_cbranch_execz .LBB141_92
; %bb.91:                               ;   in Loop: Header=BB141_76 Depth=1
	v_add_co_u32_e32 v62, vcc, v26, v8
	v_addc_co_u32_e32 v63, vcc, v23, v9, vcc
	flat_load_dword v108, v[62:63]
.LBB141_92:                             ;   in Loop: Header=BB141_76 Depth=1
	s_or_b64 exec, exec, s[8:9]
	v_cmp_gt_i32_e32 vcc, s16, v89
	v_mov_b32_e32 v110, 0
	v_mov_b32_e32 v109, 0
	s_and_saveexec_b64 s[8:9], vcc
	s_cbranch_execz .LBB141_94
; %bb.93:                               ;   in Loop: Header=BB141_76 Depth=1
	v_add_co_u32_e32 v62, vcc, v30, v8
	v_addc_co_u32_e32 v63, vcc, v27, v9, vcc
	flat_load_dword v109, v[62:63]
.LBB141_94:                             ;   in Loop: Header=BB141_76 Depth=1
	s_or_b64 exec, exec, s[8:9]
	v_cmp_gt_i32_e32 vcc, s16, v90
	s_and_saveexec_b64 s[8:9], vcc
	s_cbranch_execz .LBB141_96
; %bb.95:                               ;   in Loop: Header=BB141_76 Depth=1
	v_add_co_u32_e32 v62, vcc, v32, v8
	v_addc_co_u32_e32 v63, vcc, v29, v9, vcc
	flat_load_dword v110, v[62:63]
.LBB141_96:                             ;   in Loop: Header=BB141_76 Depth=1
	s_or_b64 exec, exec, s[8:9]
	s_branch .LBB141_98
.LBB141_97:                             ;   in Loop: Header=BB141_76 Depth=1
	s_waitcnt vmcnt(0) lgkmcnt(0)
	flat_load_dword v107, v[60:61]
	v_add_co_u32_e32 v60, vcc, v26, v8
	v_addc_co_u32_e32 v61, vcc, v23, v9, vcc
	flat_load_dword v108, v[60:61]
	v_add_co_u32_e32 v60, vcc, v24, v8
	v_addc_co_u32_e32 v61, vcc, v21, v9, vcc
	;; [unrolled: 3-line block ×3, first 2 shown]
	flat_load_dword v110, v[60:61]
.LBB141_98:                             ;   in Loop: Header=BB141_76 Depth=1
	ds_read_b32 v55, v82
	ds_read_b32 v111, v79 offset:64
	v_add_co_u32_e64 v64, s[8:9], v40, v8
	s_and_b64 vcc, exec, s[4:5]
	s_waitcnt vmcnt(0) lgkmcnt(0)
	v_mul_f32_e32 v60, v107, v55
	v_mul_f32_e32 v61, v108, v55
	ds_write_b32 v86, v60
	v_mul_f32_e32 v62, v109, v55
	ds_read_b32 v112, v79 offset:68
	ds_write_b32 v86, v61 offset:268
	ds_read_b32 v113, v79 offset:72
	ds_write_b32 v86, v62 offset:536
	v_mul_f32_e32 v55, v110, v55
	ds_read_b32 v114, v79 offset:76
	ds_write_b32 v86, v55 offset:804
	s_waitcnt lgkmcnt(0)
	s_barrier
	ds_read2_b32 v[62:63], v78 offset1:1
	ds_read2_b32 v[60:61], v78 offset0:2 offset1:3
	v_addc_co_u32_e64 v65, s[8:9], v37, v9, s[8:9]
	s_waitcnt lgkmcnt(0)
	s_barrier
	s_cbranch_vccnz .LBB141_126
; %bb.99:                               ;   in Loop: Header=BB141_76 Depth=1
	v_cmp_gt_i32_e32 vcc, s16, v91
	v_mov_b32_e32 v116, 0
	v_mov_b32_e32 v115, 0
	s_and_saveexec_b64 s[8:9], vcc
	s_cbranch_execz .LBB141_101
; %bb.100:                              ;   in Loop: Header=BB141_76 Depth=1
	flat_load_dword v115, v[64:65]
.LBB141_101:                            ;   in Loop: Header=BB141_76 Depth=1
	s_or_b64 exec, exec, s[8:9]
	v_cmp_gt_i32_e32 vcc, s16, v92
	s_and_saveexec_b64 s[8:9], vcc
	s_cbranch_execz .LBB141_103
; %bb.102:                              ;   in Loop: Header=BB141_76 Depth=1
	v_add_co_u32_e32 v66, vcc, v38, v8
	v_addc_co_u32_e32 v67, vcc, v35, v9, vcc
	flat_load_dword v116, v[66:67]
.LBB141_103:                            ;   in Loop: Header=BB141_76 Depth=1
	s_or_b64 exec, exec, s[8:9]
	v_cmp_gt_i32_e32 vcc, s16, v93
	v_mov_b32_e32 v118, 0
	v_mov_b32_e32 v117, 0
	s_and_saveexec_b64 s[8:9], vcc
	s_cbranch_execz .LBB141_105
; %bb.104:                              ;   in Loop: Header=BB141_76 Depth=1
	v_add_co_u32_e32 v66, vcc, v42, v8
	v_addc_co_u32_e32 v67, vcc, v39, v9, vcc
	flat_load_dword v117, v[66:67]
.LBB141_105:                            ;   in Loop: Header=BB141_76 Depth=1
	s_or_b64 exec, exec, s[8:9]
	v_cmp_gt_i32_e32 vcc, s16, v94
	s_and_saveexec_b64 s[8:9], vcc
	s_cbranch_execz .LBB141_107
; %bb.106:                              ;   in Loop: Header=BB141_76 Depth=1
	v_add_co_u32_e32 v66, vcc, v44, v8
	v_addc_co_u32_e32 v67, vcc, v41, v9, vcc
	flat_load_dword v118, v[66:67]
.LBB141_107:                            ;   in Loop: Header=BB141_76 Depth=1
	s_or_b64 exec, exec, s[8:9]
	s_branch .LBB141_109
.LBB141_108:                            ;   in Loop: Header=BB141_76 Depth=1
	s_waitcnt vmcnt(0) lgkmcnt(0)
	flat_load_dword v115, v[64:65]
	v_add_co_u32_e32 v64, vcc, v38, v8
	v_addc_co_u32_e32 v65, vcc, v35, v9, vcc
	flat_load_dword v116, v[64:65]
	v_add_co_u32_e32 v64, vcc, v34, v8
	v_addc_co_u32_e32 v65, vcc, v31, v9, vcc
	;; [unrolled: 3-line block ×3, first 2 shown]
	flat_load_dword v118, v[64:65]
.LBB141_109:                            ;   in Loop: Header=BB141_76 Depth=1
	ds_read_b32 v55, v82
	ds_read_b32 v119, v79 offset:128
	s_and_b64 vcc, exec, s[4:5]
	v_add_co_u32_e64 v68, s[4:5], v22, v75
	s_waitcnt vmcnt(0) lgkmcnt(0)
	v_mul_f32_e32 v64, v115, v55
	v_mul_f32_e32 v65, v116, v55
	ds_write_b32 v86, v64
	v_mul_f32_e32 v66, v117, v55
	ds_read_b32 v120, v79 offset:132
	ds_write_b32 v86, v65 offset:268
	ds_read_b32 v121, v79 offset:136
	ds_write_b32 v86, v66 offset:536
	v_mul_f32_e32 v55, v118, v55
	ds_read_b32 v122, v79 offset:140
	ds_write_b32 v86, v55 offset:804
	s_waitcnt lgkmcnt(0)
	s_barrier
	ds_read2_b32 v[66:67], v78 offset1:1
	ds_read2_b32 v[64:65], v78 offset0:2 offset1:3
	v_addc_co_u32_e64 v69, s[4:5], v19, v76, s[4:5]
	s_waitcnt lgkmcnt(0)
	s_barrier
	s_cbranch_vccnz .LBB141_127
; %bb.110:                              ;   in Loop: Header=BB141_76 Depth=1
	v_cmp_gt_i32_e32 vcc, s16, v95
	v_mov_b32_e32 v124, 0
	v_mov_b32_e32 v123, 0
	s_and_saveexec_b64 s[4:5], vcc
	s_cbranch_execz .LBB141_112
; %bb.111:                              ;   in Loop: Header=BB141_76 Depth=1
	flat_load_dword v123, v[68:69]
.LBB141_112:                            ;   in Loop: Header=BB141_76 Depth=1
	s_or_b64 exec, exec, s[4:5]
	v_cmp_gt_i32_e32 vcc, s16, v96
	s_and_saveexec_b64 s[4:5], vcc
	s_cbranch_execz .LBB141_114
; %bb.113:                              ;   in Loop: Header=BB141_76 Depth=1
	v_add_co_u32_e32 v124, vcc, v48, v75
	v_addc_co_u32_e32 v125, vcc, v45, v76, vcc
	flat_load_dword v124, v[124:125]
.LBB141_114:                            ;   in Loop: Header=BB141_76 Depth=1
	s_or_b64 exec, exec, s[4:5]
	v_cmp_gt_i32_e32 vcc, s16, v97
	v_mov_b32_e32 v126, 0
	v_mov_b32_e32 v125, 0
	s_and_saveexec_b64 s[4:5], vcc
	s_cbranch_execz .LBB141_116
; %bb.115:                              ;   in Loop: Header=BB141_76 Depth=1
	v_add_co_u32_e32 v128, vcc, v50, v75
	v_addc_co_u32_e32 v129, vcc, v47, v76, vcc
	flat_load_dword v125, v[128:129]
.LBB141_116:                            ;   in Loop: Header=BB141_76 Depth=1
	s_or_b64 exec, exec, s[4:5]
	v_cmp_gt_i32_e32 vcc, s16, v98
	s_and_saveexec_b64 s[4:5], vcc
	s_cbranch_execz .LBB141_118
; %bb.117:                              ;   in Loop: Header=BB141_76 Depth=1
	v_add_co_u32_e32 v126, vcc, v52, v75
	v_addc_co_u32_e32 v127, vcc, v49, v76, vcc
	flat_load_dword v126, v[126:127]
.LBB141_118:                            ;   in Loop: Header=BB141_76 Depth=1
	s_or_b64 exec, exec, s[4:5]
	s_branch .LBB141_120
.LBB141_119:                            ;   in Loop: Header=BB141_76 Depth=1
	s_waitcnt vmcnt(0) lgkmcnt(0)
	flat_load_dword v123, v[68:69]
	v_add_co_u32_e32 v68, vcc, v48, v75
	v_addc_co_u32_e32 v69, vcc, v45, v76, vcc
	flat_load_dword v124, v[68:69]
	v_add_co_u32_e32 v68, vcc, v46, v75
	v_addc_co_u32_e32 v69, vcc, v43, v76, vcc
	;; [unrolled: 3-line block ×3, first 2 shown]
	flat_load_dword v126, v[68:69]
.LBB141_120:                            ;   in Loop: Header=BB141_76 Depth=1
	v_add_f32_e32 v62, 0, v62
	v_add_f32_e32 v62, v62, v63
	ds_read_b32 v63, v82
	v_add_f32_e32 v60, v62, v60
	v_add_f32_e32 v55, 0, v66
	;; [unrolled: 1-line block ×4, first 2 shown]
	ds_read_b32 v58, v79 offset:192
	s_waitcnt vmcnt(0) lgkmcnt(0)
	v_mul_f32_e32 v60, v123, v63
	ds_write_b32 v86, v60
	v_mul_f32_e32 v61, v124, v63
	v_add_f32_e32 v55, v55, v67
	ds_read_b32 v60, v79 offset:196
	ds_write_b32 v86, v61 offset:268
	v_mul_f32_e32 v62, v125, v63
	v_add_f32_e32 v55, v55, v64
	ds_read_b32 v61, v79 offset:200
	ds_write_b32 v86, v62 offset:536
	;; [unrolled: 4-line block ×3, first 2 shown]
	s_waitcnt lgkmcnt(0)
	s_barrier
	ds_read2_b32 v[64:65], v78 offset1:1
	v_add_f32_e32 v59, v66, v59
	ds_read2_b32 v[66:67], v78 offset0:2 offset1:3
	v_add_f32_e32 v56, v59, v56
	v_add_f32_e32 v56, v56, v57
	s_waitcnt lgkmcnt(1)
	v_add_f32_e32 v57, 0, v64
	v_cmp_gt_i32_e32 vcc, s16, v6
	v_add_f32_e32 v57, v57, v65
	s_or_b64 s[4:5], s[14:15], vcc
	s_waitcnt lgkmcnt(0)
	v_add_f32_e32 v57, v57, v66
	s_and_b64 s[8:9], s[2:3], s[4:5]
	v_add_f32_e32 v57, v57, v67
	s_barrier
	ds_write2_b32 v80, v56, v68 offset1:16
	ds_write2_b32 v80, v55, v57 offset0:32 offset1:48
	s_waitcnt lgkmcnt(0)
	s_barrier
	s_and_saveexec_b64 s[4:5], s[8:9]
	s_cbranch_execz .LBB141_122
; %bb.121:                              ;   in Loop: Header=BB141_76 Depth=1
	ds_read2_b32 v[56:57], v53 offset1:1
	ds_read2_b32 v[64:65], v53 offset0:2 offset1:3
	ds_read2_b32 v[66:67], v53 offset0:4 offset1:5
	;; [unrolled: 1-line block ×3, first 2 shown]
	s_waitcnt lgkmcnt(3)
	v_add_f32_e32 v55, v56, v57
	s_waitcnt lgkmcnt(2)
	v_add_f32_e32 v55, v55, v64
	v_add_f32_e32 v55, v55, v65
	ds_read2_b32 v[56:57], v53 offset0:8 offset1:9
	s_waitcnt lgkmcnt(2)
	v_add_f32_e32 v55, v55, v66
	v_add_f32_e32 v55, v55, v67
	s_waitcnt lgkmcnt(1)
	v_add_f32_e32 v55, v55, v68
	v_add_f32_e32 v55, v55, v69
	ds_read2_b32 v[64:65], v53 offset0:10 offset1:11
	ds_read2_b32 v[66:67], v53 offset0:12 offset1:13
	ds_read_b32 v59, v53 offset:56
	s_waitcnt lgkmcnt(3)
	v_add_f32_e32 v55, v55, v56
	v_add_f32_e32 v55, v55, v57
	s_waitcnt lgkmcnt(2)
	v_add_f32_e32 v55, v55, v64
	ds_read_b32 v56, v77
	v_add_f32_e32 v55, v55, v65
	s_waitcnt lgkmcnt(2)
	v_add_f32_e32 v55, v55, v66
	v_add_f32_e32 v55, v55, v67
	s_waitcnt lgkmcnt(1)
	v_add_f32_e32 v55, v55, v59
	s_waitcnt lgkmcnt(0)
	v_add_f32_e32 v59, v55, v56
	v_ashrrev_i32_e32 v55, 31, v54
	v_lshlrev_b64 v[56:57], 2, v[54:55]
	v_mov_b32_e32 v55, s23
	v_add_co_u32_e32 v56, vcc, s19, v56
	v_addc_co_u32_e32 v57, vcc, v55, v57, vcc
	global_store_dword v[56:57], v59, off
.LBB141_122:                            ;   in Loop: Header=BB141_76 Depth=1
	s_or_b64 exec, exec, s[4:5]
	v_mov_b32_e32 v55, s13
	v_add_co_u32_e32 v2, vcc, s12, v2
	v_addc_co_u32_e32 v3, vcc, v3, v55, vcc
	v_add_co_u32_e32 v10, vcc, s12, v10
	v_addc_co_u32_e32 v5, vcc, v5, v55, vcc
	;; [unrolled: 2-line block ×16, first 2 shown]
	v_fmac_f32_e32 v70, v99, v103
	v_add_co_u32_e32 v42, vcc, s12, v42
	v_fmac_f32_e32 v70, v100, v104
	v_addc_co_u32_e32 v39, vcc, v39, v55, vcc
	v_fmac_f32_e32 v70, v101, v105
	v_add_co_u32_e32 v44, vcc, s12, v44
	v_fmac_f32_e32 v70, v102, v106
	v_addc_co_u32_e32 v41, vcc, v41, v55, vcc
	;; [unrolled: 4-line block ×7, first 2 shown]
	v_fmac_f32_e32 v70, v125, v61
	s_add_i32 s4, s6, 1
	s_add_i32 s10, s10, s28
	;; [unrolled: 1-line block ×3, first 2 shown]
	v_add_co_u32_e32 v52, vcc, s12, v52
	v_fmac_f32_e32 v70, v126, v62
	v_add_u32_e32 v54, 64, v54
	s_cmp_ge_u32 s5, s7
	v_addc_co_u32_e32 v49, vcc, v49, v55, vcc
	s_barrier
	s_cbranch_scc1 .LBB141_128
; %bb.123:                              ;   in Loop: Header=BB141_76 Depth=1
	s_mov_b32 s6, s4
	s_cmp_eq_u32 s26, s6
	s_cselect_b32 s16, s27, 0
	s_and_saveexec_b64 s[4:5], s[0:1]
	s_cbranch_execnz .LBB141_73
	s_branch .LBB141_76
.LBB141_124:                            ;   in Loop: Header=BB141_76 Depth=1
                                        ; implicit-def: $vgpr102
                                        ; implicit-def: $vgpr101
                                        ; implicit-def: $vgpr100
                                        ; implicit-def: $vgpr99
	s_cbranch_execnz .LBB141_86
	s_branch .LBB141_87
.LBB141_125:                            ;   in Loop: Header=BB141_76 Depth=1
                                        ; implicit-def: $vgpr110
                                        ; implicit-def: $vgpr109
                                        ; implicit-def: $vgpr108
                                        ; implicit-def: $vgpr107
	s_cbranch_execnz .LBB141_97
	s_branch .LBB141_98
.LBB141_126:                            ;   in Loop: Header=BB141_76 Depth=1
                                        ; implicit-def: $vgpr118
                                        ; implicit-def: $vgpr117
                                        ; implicit-def: $vgpr116
                                        ; implicit-def: $vgpr115
	s_cbranch_execnz .LBB141_108
	s_branch .LBB141_109
.LBB141_127:                            ;   in Loop: Header=BB141_76 Depth=1
                                        ; implicit-def: $vgpr126
                                        ; implicit-def: $vgpr125
                                        ; implicit-def: $vgpr124
                                        ; implicit-def: $vgpr123
	s_cbranch_execnz .LBB141_119
	s_branch .LBB141_120
.LBB141_128:
	s_movk_i32 s2, 0x10c
	v_cmp_gt_i32_e32 vcc, s18, v6
	v_mad_u32_u24 v0, v51, s2, v71
	s_or_b64 s[2:3], s[20:21], vcc
	s_and_b64 s[0:1], s[0:1], s[2:3]
	ds_write_b32 v0, v70
	s_waitcnt lgkmcnt(0)
	s_barrier
	s_and_saveexec_b64 s[2:3], s[0:1]
	s_cbranch_execz .LBB141_130
; %bb.129:
	ds_read2_b32 v[0:1], v71 offset1:67
	ds_read2_b32 v[2:3], v71 offset0:134 offset1:201
	v_ashrrev_i32_e32 v5, 31, v4
	v_lshlrev_b64 v[4:5], 2, v[4:5]
	v_mov_b32_e32 v6, s23
	s_waitcnt lgkmcnt(1)
	v_add_f32_e32 v0, v0, v1
	s_waitcnt lgkmcnt(0)
	v_add_f32_e32 v0, v0, v2
	v_add_f32_e32 v2, v0, v3
	v_add_co_u32_e32 v0, vcc, s19, v4
	v_addc_co_u32_e32 v1, vcc, v6, v5, vcc
	global_store_dword v[0:1], v2, off
.LBB141_130:
	s_endpgm
	.section	.rodata,"a",@progbits
	.p2align	6, 0x0
	.amdhsa_kernel _ZL26rocblas_hemvn_kernel_upperILb0ELi64ELi4ELi33ELi32ELi16EifPKPKfPfEviT6_lT7_lT5_lS6_lS7_lS5_lT8_i
		.amdhsa_group_segment_fixed_size 4800
		.amdhsa_private_segment_fixed_size 0
		.amdhsa_kernarg_size 368
		.amdhsa_user_sgpr_count 6
		.amdhsa_user_sgpr_private_segment_buffer 1
		.amdhsa_user_sgpr_dispatch_ptr 0
		.amdhsa_user_sgpr_queue_ptr 0
		.amdhsa_user_sgpr_kernarg_segment_ptr 1
		.amdhsa_user_sgpr_dispatch_id 0
		.amdhsa_user_sgpr_flat_scratch_init 0
		.amdhsa_user_sgpr_kernarg_preload_length 0
		.amdhsa_user_sgpr_kernarg_preload_offset 0
		.amdhsa_user_sgpr_private_segment_size 0
		.amdhsa_uses_dynamic_stack 0
		.amdhsa_system_sgpr_private_segment_wavefront_offset 0
		.amdhsa_system_sgpr_workgroup_id_x 1
		.amdhsa_system_sgpr_workgroup_id_y 0
		.amdhsa_system_sgpr_workgroup_id_z 1
		.amdhsa_system_sgpr_workgroup_info 0
		.amdhsa_system_vgpr_workitem_id 1
		.amdhsa_next_free_vgpr 130
		.amdhsa_next_free_sgpr 51
		.amdhsa_accum_offset 132
		.amdhsa_reserve_vcc 1
		.amdhsa_reserve_flat_scratch 0
		.amdhsa_float_round_mode_32 0
		.amdhsa_float_round_mode_16_64 0
		.amdhsa_float_denorm_mode_32 3
		.amdhsa_float_denorm_mode_16_64 3
		.amdhsa_dx10_clamp 1
		.amdhsa_ieee_mode 1
		.amdhsa_fp16_overflow 0
		.amdhsa_tg_split 0
		.amdhsa_exception_fp_ieee_invalid_op 0
		.amdhsa_exception_fp_denorm_src 0
		.amdhsa_exception_fp_ieee_div_zero 0
		.amdhsa_exception_fp_ieee_overflow 0
		.amdhsa_exception_fp_ieee_underflow 0
		.amdhsa_exception_fp_ieee_inexact 0
		.amdhsa_exception_int_div_zero 0
	.end_amdhsa_kernel
	.section	.text._ZL26rocblas_hemvn_kernel_upperILb0ELi64ELi4ELi33ELi32ELi16EifPKPKfPfEviT6_lT7_lT5_lS6_lS7_lS5_lT8_i,"axG",@progbits,_ZL26rocblas_hemvn_kernel_upperILb0ELi64ELi4ELi33ELi32ELi16EifPKPKfPfEviT6_lT7_lT5_lS6_lS7_lS5_lT8_i,comdat
.Lfunc_end141:
	.size	_ZL26rocblas_hemvn_kernel_upperILb0ELi64ELi4ELi33ELi32ELi16EifPKPKfPfEviT6_lT7_lT5_lS6_lS7_lS5_lT8_i, .Lfunc_end141-_ZL26rocblas_hemvn_kernel_upperILb0ELi64ELi4ELi33ELi32ELi16EifPKPKfPfEviT6_lT7_lT5_lS6_lS7_lS5_lT8_i
                                        ; -- End function
	.section	.AMDGPU.csdata,"",@progbits
; Kernel info:
; codeLenInByte = 6848
; NumSgprs: 55
; NumVgprs: 130
; NumAgprs: 0
; TotalNumVgprs: 130
; ScratchSize: 0
; MemoryBound: 0
; FloatMode: 240
; IeeeMode: 1
; LDSByteSize: 4800 bytes/workgroup (compile time only)
; SGPRBlocks: 6
; VGPRBlocks: 16
; NumSGPRsForWavesPerEU: 55
; NumVGPRsForWavesPerEU: 130
; AccumOffset: 132
; Occupancy: 3
; WaveLimiterHint : 1
; COMPUTE_PGM_RSRC2:SCRATCH_EN: 0
; COMPUTE_PGM_RSRC2:USER_SGPR: 6
; COMPUTE_PGM_RSRC2:TRAP_HANDLER: 0
; COMPUTE_PGM_RSRC2:TGID_X_EN: 1
; COMPUTE_PGM_RSRC2:TGID_Y_EN: 0
; COMPUTE_PGM_RSRC2:TGID_Z_EN: 1
; COMPUTE_PGM_RSRC2:TIDIG_COMP_CNT: 1
; COMPUTE_PGM_RSRC3_GFX90A:ACCUM_OFFSET: 32
; COMPUTE_PGM_RSRC3_GFX90A:TG_SPLIT: 0
	.section	.text._ZL36rocblas_hemvn_kernel_upper_block_sumILi64EifPKPffEviT1_lS3_lT2_lT0_lPT3_i,"axG",@progbits,_ZL36rocblas_hemvn_kernel_upper_block_sumILi64EifPKPffEviT1_lS3_lT2_lT0_lPT3_i,comdat
	.globl	_ZL36rocblas_hemvn_kernel_upper_block_sumILi64EifPKPffEviT1_lS3_lT2_lT0_lPT3_i ; -- Begin function _ZL36rocblas_hemvn_kernel_upper_block_sumILi64EifPKPffEviT1_lS3_lT2_lT0_lPT3_i
	.p2align	8
	.type	_ZL36rocblas_hemvn_kernel_upper_block_sumILi64EifPKPffEviT1_lS3_lT2_lT0_lPT3_i,@function
_ZL36rocblas_hemvn_kernel_upper_block_sumILi64EifPKPffEviT1_lS3_lT2_lT0_lPT3_i: ; @_ZL36rocblas_hemvn_kernel_upper_block_sumILi64EifPKPffEviT1_lS3_lT2_lT0_lPT3_i
; %bb.0:
	s_load_dwordx2 s[2:3], s[4:5], 0x0
	s_load_dword s16, s[4:5], 0x10
	s_mov_b32 s11, 0
	s_waitcnt lgkmcnt(0)
	v_cmp_eq_f32_e64 s[0:1], s3, 0
	v_cmp_eq_f32_e64 s[8:9], s16, 1.0
	s_and_b64 s[0:1], s[0:1], s[8:9]
	s_and_b64 vcc, exec, s[0:1]
	s_cbranch_vccnz .LBB142_19
; %bb.1:
	s_load_dwordx4 s[12:15], s[4:5], 0x20
	s_load_dword s17, s[4:5], 0x30
	s_mov_b32 s10, s7
	s_lshl_b64 s[0:1], s[10:11], 3
	v_lshl_or_b32 v0, s6, 6, v0
	s_waitcnt lgkmcnt(0)
	s_add_u32 s0, s12, s0
	s_addc_u32 s1, s13, s1
	s_load_dwordx2 s[0:1], s[0:1], 0x0
	s_lshl_b64 s[12:13], s[14:15], 2
	v_cmp_neq_f32_e64 s[8:9], s3, 0
	s_waitcnt lgkmcnt(0)
	s_add_u32 s7, s0, s12
	s_addc_u32 s11, s1, s13
	s_and_b64 vcc, exec, s[8:9]
	v_cmp_gt_i32_e64 s[0:1], s2, v0
	s_cbranch_vccnz .LBB142_6
; %bb.2:
	s_mov_b64 s[12:13], 0
	s_mov_b64 s[8:9], 0
                                        ; implicit-def: $vgpr4
                                        ; implicit-def: $vgpr2_vgpr3
	s_and_saveexec_b64 s[14:15], s[0:1]
	s_cbranch_execz .LBB142_7
; %bb.3:
	v_cmp_eq_f32_e64 s[0:1], s16, 0
	v_mul_lo_u32 v2, v0, s17
	v_mov_b32_e32 v4, 0
	v_ashrrev_i32_e32 v3, 31, v2
	s_and_b64 vcc, exec, s[0:1]
	s_cbranch_vccnz .LBB142_5
; %bb.4:
	v_lshlrev_b64 v[4:5], 2, v[2:3]
	v_mov_b32_e32 v1, s11
	v_add_co_u32_e32 v4, vcc, s7, v4
	v_addc_co_u32_e32 v5, vcc, v1, v5, vcc
	global_load_dword v1, v[4:5], off
	s_waitcnt vmcnt(0)
	v_mul_f32_e32 v4, s16, v1
.LBB142_5:
	s_mov_b64 s[8:9], exec
	s_or_b64 exec, exec, s[14:15]
	s_and_b64 vcc, exec, s[12:13]
	s_cbranch_vccnz .LBB142_8
	s_branch .LBB142_17
.LBB142_6:
	s_mov_b64 s[8:9], 0
                                        ; implicit-def: $vgpr4
                                        ; implicit-def: $vgpr2_vgpr3
	s_cbranch_execnz .LBB142_8
	s_branch .LBB142_17
.LBB142_7:
	s_or_b64 exec, exec, s[14:15]
	s_and_b64 vcc, exec, s[12:13]
	s_cbranch_vccz .LBB142_17
.LBB142_8:
	v_cmp_gt_i32_e32 vcc, s2, v0
                                        ; implicit-def: $vgpr4
                                        ; implicit-def: $vgpr2_vgpr3
	s_and_saveexec_b64 s[0:1], vcc
	s_cbranch_execz .LBB142_16
; %bb.9:
	s_cmp_lt_i32 s6, 0
	v_mov_b32_e32 v1, 0
	s_cbranch_scc1 .LBB142_12
; %bb.10:
	s_load_dwordx2 s[14:15], s[4:5], 0x40
	s_load_dword s18, s[4:5], 0x50
	s_ashr_i32 s13, s2, 31
	s_mul_hi_u32 s4, s2, s10
	s_mul_i32 s5, s13, s10
	s_mov_b32 s12, s2
	s_add_i32 s4, s4, s5
	s_mul_i32 s2, s2, s10
	s_waitcnt lgkmcnt(0)
	s_mul_i32 s4, s4, s18
	s_mul_hi_u32 s5, s2, s18
	s_add_i32 s5, s5, s4
	s_mul_i32 s4, s2, s18
	s_lshl_b64 s[4:5], s[4:5], 2
	s_add_u32 s2, s14, s4
	v_mov_b32_e32 v1, 0
	s_addc_u32 s4, s15, s5
	v_lshlrev_b64 v[2:3], 2, v[0:1]
	v_mov_b32_e32 v4, s4
	v_add_co_u32_e32 v2, vcc, s2, v2
	s_lshl_b64 s[4:5], s[12:13], 2
	v_addc_co_u32_e32 v3, vcc, v4, v3, vcc
	s_add_i32 s2, s6, 1
	v_mov_b32_e32 v4, s5
.LBB142_11:                             ; =>This Inner Loop Header: Depth=1
	global_load_dword v5, v[2:3], off
	s_add_i32 s2, s2, -1
	v_add_co_u32_e32 v2, vcc, s4, v2
	v_addc_co_u32_e32 v3, vcc, v3, v4, vcc
	s_cmp_eq_u32 s2, 0
	s_waitcnt vmcnt(0)
	v_add_f32_e32 v1, v1, v5
	s_cbranch_scc0 .LBB142_11
.LBB142_12:
	v_cmp_eq_f32_e64 s[4:5], s16, 0
	v_mul_lo_u32 v2, v0, s17
	s_and_b64 vcc, exec, s[4:5]
	v_ashrrev_i32_e32 v3, 31, v2
	s_cbranch_vccz .LBB142_20
; %bb.13:
	v_mul_f32_e32 v4, s3, v1
	s_cbranch_execnz .LBB142_15
.LBB142_14:
	v_lshlrev_b64 v[4:5], 2, v[2:3]
	v_mov_b32_e32 v0, s11
	v_add_co_u32_e32 v4, vcc, s7, v4
	v_addc_co_u32_e32 v5, vcc, v0, v5, vcc
	global_load_dword v0, v[4:5], off
	s_waitcnt vmcnt(0)
	v_mul_f32_e32 v4, s16, v0
	v_fmac_f32_e32 v4, s3, v1
.LBB142_15:
	s_or_b64 s[8:9], s[8:9], exec
.LBB142_16:
	s_or_b64 exec, exec, s[0:1]
.LBB142_17:
	s_and_saveexec_b64 s[0:1], s[8:9]
	s_cbranch_execz .LBB142_19
; %bb.18:
	v_lshlrev_b64 v[0:1], 2, v[2:3]
	v_mov_b32_e32 v2, s11
	v_add_co_u32_e32 v0, vcc, s7, v0
	v_addc_co_u32_e32 v1, vcc, v2, v1, vcc
	global_store_dword v[0:1], v4, off
.LBB142_19:
	s_endpgm
.LBB142_20:
                                        ; implicit-def: $vgpr4
	s_branch .LBB142_14
	.section	.rodata,"a",@progbits
	.p2align	6, 0x0
	.amdhsa_kernel _ZL36rocblas_hemvn_kernel_upper_block_sumILi64EifPKPffEviT1_lS3_lT2_lT0_lPT3_i
		.amdhsa_group_segment_fixed_size 0
		.amdhsa_private_segment_fixed_size 0
		.amdhsa_kernarg_size 336
		.amdhsa_user_sgpr_count 6
		.amdhsa_user_sgpr_private_segment_buffer 1
		.amdhsa_user_sgpr_dispatch_ptr 0
		.amdhsa_user_sgpr_queue_ptr 0
		.amdhsa_user_sgpr_kernarg_segment_ptr 1
		.amdhsa_user_sgpr_dispatch_id 0
		.amdhsa_user_sgpr_flat_scratch_init 0
		.amdhsa_user_sgpr_kernarg_preload_length 0
		.amdhsa_user_sgpr_kernarg_preload_offset 0
		.amdhsa_user_sgpr_private_segment_size 0
		.amdhsa_uses_dynamic_stack 0
		.amdhsa_system_sgpr_private_segment_wavefront_offset 0
		.amdhsa_system_sgpr_workgroup_id_x 1
		.amdhsa_system_sgpr_workgroup_id_y 0
		.amdhsa_system_sgpr_workgroup_id_z 1
		.amdhsa_system_sgpr_workgroup_info 0
		.amdhsa_system_vgpr_workitem_id 0
		.amdhsa_next_free_vgpr 6
		.amdhsa_next_free_sgpr 19
		.amdhsa_accum_offset 8
		.amdhsa_reserve_vcc 1
		.amdhsa_reserve_flat_scratch 0
		.amdhsa_float_round_mode_32 0
		.amdhsa_float_round_mode_16_64 0
		.amdhsa_float_denorm_mode_32 3
		.amdhsa_float_denorm_mode_16_64 3
		.amdhsa_dx10_clamp 1
		.amdhsa_ieee_mode 1
		.amdhsa_fp16_overflow 0
		.amdhsa_tg_split 0
		.amdhsa_exception_fp_ieee_invalid_op 0
		.amdhsa_exception_fp_denorm_src 0
		.amdhsa_exception_fp_ieee_div_zero 0
		.amdhsa_exception_fp_ieee_overflow 0
		.amdhsa_exception_fp_ieee_underflow 0
		.amdhsa_exception_fp_ieee_inexact 0
		.amdhsa_exception_int_div_zero 0
	.end_amdhsa_kernel
	.section	.text._ZL36rocblas_hemvn_kernel_upper_block_sumILi64EifPKPffEviT1_lS3_lT2_lT0_lPT3_i,"axG",@progbits,_ZL36rocblas_hemvn_kernel_upper_block_sumILi64EifPKPffEviT1_lS3_lT2_lT0_lPT3_i,comdat
.Lfunc_end142:
	.size	_ZL36rocblas_hemvn_kernel_upper_block_sumILi64EifPKPffEviT1_lS3_lT2_lT0_lPT3_i, .Lfunc_end142-_ZL36rocblas_hemvn_kernel_upper_block_sumILi64EifPKPffEviT1_lS3_lT2_lT0_lPT3_i
                                        ; -- End function
	.section	.AMDGPU.csdata,"",@progbits
; Kernel info:
; codeLenInByte = 568
; NumSgprs: 23
; NumVgprs: 6
; NumAgprs: 0
; TotalNumVgprs: 6
; ScratchSize: 0
; MemoryBound: 0
; FloatMode: 240
; IeeeMode: 1
; LDSByteSize: 0 bytes/workgroup (compile time only)
; SGPRBlocks: 2
; VGPRBlocks: 0
; NumSGPRsForWavesPerEU: 23
; NumVGPRsForWavesPerEU: 6
; AccumOffset: 8
; Occupancy: 8
; WaveLimiterHint : 1
; COMPUTE_PGM_RSRC2:SCRATCH_EN: 0
; COMPUTE_PGM_RSRC2:USER_SGPR: 6
; COMPUTE_PGM_RSRC2:TRAP_HANDLER: 0
; COMPUTE_PGM_RSRC2:TGID_X_EN: 1
; COMPUTE_PGM_RSRC2:TGID_Y_EN: 0
; COMPUTE_PGM_RSRC2:TGID_Z_EN: 1
; COMPUTE_PGM_RSRC2:TIDIG_COMP_CNT: 0
; COMPUTE_PGM_RSRC3_GFX90A:ACCUM_OFFSET: 1
; COMPUTE_PGM_RSRC3_GFX90A:TG_SPLIT: 0
	.section	.text._ZL50rocblas_symv_kernel_lower_double_buffered_diagonalILi32ELi4E24rocblas_internal_val_ptrIfEPKPKfPKPfEvbiT1_lT2_lllSA_lllS9_lT3_llli,"axG",@progbits,_ZL50rocblas_symv_kernel_lower_double_buffered_diagonalILi32ELi4E24rocblas_internal_val_ptrIfEPKPKfPKPfEvbiT1_lT2_lllSA_lllS9_lT3_llli,comdat
	.globl	_ZL50rocblas_symv_kernel_lower_double_buffered_diagonalILi32ELi4E24rocblas_internal_val_ptrIfEPKPKfPKPfEvbiT1_lT2_lllSA_lllS9_lT3_llli ; -- Begin function _ZL50rocblas_symv_kernel_lower_double_buffered_diagonalILi32ELi4E24rocblas_internal_val_ptrIfEPKPKfPKPfEvbiT1_lT2_lllSA_lllS9_lT3_llli
	.p2align	8
	.type	_ZL50rocblas_symv_kernel_lower_double_buffered_diagonalILi32ELi4E24rocblas_internal_val_ptrIfEPKPKfPKPfEvbiT1_lT2_lllSA_lllS9_lT3_llli,@function
_ZL50rocblas_symv_kernel_lower_double_buffered_diagonalILi32ELi4E24rocblas_internal_val_ptrIfEPKPKfPKPfEvbiT1_lT2_lllSA_lllS9_lT3_llli: ; @_ZL50rocblas_symv_kernel_lower_double_buffered_diagonalILi32ELi4E24rocblas_internal_val_ptrIfEPKPKfPKPfEvbiT1_lT2_lllSA_lllS9_lT3_llli
; %bb.0:
	s_load_dword s0, s[4:5], 0x0
	s_load_dwordx8 s[8:15], s[4:5], 0x8
	s_load_dwordx2 s[20:21], s[4:5], 0x28
	s_mov_b32 s22, s7
	s_mov_b64 s[2:3], -1
	s_waitcnt lgkmcnt(0)
	s_bitcmp1_b32 s0, 0
	s_cselect_b64 s[0:1], -1, 0
	s_xor_b64 s[0:1], s[0:1], -1
	s_and_b64 vcc, exec, s[0:1]
                                        ; implicit-def: $sgpr28
	s_cbranch_vccnz .LBB143_7
; %bb.1:
	s_load_dwordx4 s[16:19], s[4:5], 0x58
	s_andn2_b64 vcc, exec, s[2:3]
	s_cbranch_vccz .LBB143_8
.LBB143_2:
	s_andn2_b64 vcc, exec, s[0:1]
	s_cbranch_vccnz .LBB143_4
.LBB143_3:
	s_waitcnt lgkmcnt(0)
	s_mul_i32 s0, s22, s19
	s_mul_hi_u32 s1, s22, s18
	s_add_i32 s1, s1, s0
	s_mul_i32 s0, s22, s18
	s_lshl_b64 s[0:1], s[0:1], 2
	s_add_u32 s0, s16, s0
	s_addc_u32 s1, s17, s1
	s_load_dword s16, s[0:1], 0x0
.LBB143_4:
	s_waitcnt lgkmcnt(0)
	v_cmp_eq_f32_e64 s[18:19], s28, 0
	v_cmp_eq_f32_e64 s[0:1], s16, 1.0
	s_and_b64 s[0:1], s[18:19], s[0:1]
	s_and_b64 vcc, exec, s[0:1]
	s_cbranch_vccnz .LBB143_41
; %bb.5:
	v_cmp_neq_f32_e64 s[26:27], s28, 0
	s_mov_b32 s23, 0
	s_and_b64 vcc, exec, s[26:27]
	s_cbranch_vccnz .LBB143_9
; %bb.6:
	s_mov_b64 s[8:9], 0
	s_load_dwordx2 s[24:25], s[4:5], 0x68
	s_cbranch_execz .LBB143_10
	s_branch .LBB143_11
.LBB143_7:
	s_mul_i32 s2, s22, s11
	s_mul_hi_u32 s3, s22, s10
	s_add_i32 s3, s3, s2
	s_mul_i32 s2, s22, s10
	s_lshl_b64 s[2:3], s[2:3], 2
	s_add_u32 s2, s8, s2
	s_addc_u32 s3, s9, s3
	s_load_dword s28, s[2:3], 0x0
	s_load_dwordx4 s[16:19], s[4:5], 0x58
	s_cbranch_execnz .LBB143_2
.LBB143_8:
	s_waitcnt lgkmcnt(0)
	s_mov_b32 s28, s8
	s_andn2_b64 vcc, exec, s[0:1]
	s_cbranch_vccz .LBB143_3
	s_branch .LBB143_4
.LBB143_9:
                                        ; implicit-def: $sgpr8_sgpr9
	s_load_dwordx2 s[24:25], s[4:5], 0x68
.LBB143_10:
	s_lshl_b64 s[0:1], s[22:23], 3
	s_add_u32 s0, s12, s0
	s_addc_u32 s1, s13, s1
	s_load_dwordx2 s[0:1], s[0:1], 0x0
	s_lshl_b64 s[2:3], s[14:15], 2
	s_waitcnt lgkmcnt(0)
	s_add_u32 s8, s0, s2
	s_addc_u32 s9, s1, s3
.LBB143_11:
	s_load_dwordx4 s[0:3], s[4:5], 0x38
	s_load_dwordx2 s[10:11], s[4:5], 0x48
	s_andn2_b64 vcc, exec, s[26:27]
	s_cbranch_vccnz .LBB143_13
; %bb.12:
	s_lshl_b64 s[12:13], s[22:23], 3
	s_waitcnt lgkmcnt(0)
	s_add_u32 s0, s0, s12
	s_addc_u32 s1, s1, s13
	s_load_dwordx2 s[0:1], s[0:1], 0x0
	s_lshl_b64 s[2:3], s[2:3], 2
	s_waitcnt lgkmcnt(0)
	s_add_u32 s12, s0, s2
	s_addc_u32 s13, s1, s3
	s_branch .LBB143_14
.LBB143_13:
	s_mov_b64 s[12:13], 0
.LBB143_14:
	s_waitcnt lgkmcnt(0)
	s_load_dwordx4 s[0:3], s[4:5], 0x70
	s_lshl_b64 s[4:5], s[22:23], 3
	s_add_u32 s4, s24, s4
	s_addc_u32 s5, s25, s5
	s_load_dwordx2 s[4:5], s[4:5], 0x0
	s_waitcnt lgkmcnt(0)
	s_lshl_b64 s[0:1], s[0:1], 2
	v_bfe_u32 v3, v0, 10, 10
	v_and_b32_e32 v2, 0x3ff, v0
	s_add_u32 s4, s4, s0
	s_addc_u32 s5, s5, s1
	s_lshl_b32 s6, s6, 5
	s_ashr_i32 s7, s6, 31
	s_mul_i32 s0, s6, s3
	s_mul_hi_u32 s1, s6, s2
	s_add_i32 s0, s1, s0
	s_mul_i32 s1, s7, s2
	s_add_i32 s1, s0, s1
	s_mul_i32 s0, s6, s2
	s_lshl_b64 s[0:1], s[0:1], 2
	s_add_u32 s14, s4, s0
	s_addc_u32 s15, s5, s1
	s_mov_b64 s[4:5], -1
	s_andn2_b64 vcc, exec, s[18:19]
	v_cmp_eq_u32_e64 s[0:1], 0, v3
	s_cbranch_vccnz .LBB143_18
; %bb.15:
	s_and_saveexec_b64 s[4:5], s[0:1]
	s_cbranch_execz .LBB143_17
; %bb.16:
	v_mad_u64_u32 v[0:1], s[0:1], v2, s2, 0
	v_mov_b32_e32 v4, v1
	v_mad_u64_u32 v[4:5], s[0:1], v2, s3, v[4:5]
	v_mov_b32_e32 v1, v4
	v_lshlrev_b64 v[0:1], 2, v[0:1]
	v_mov_b32_e32 v4, s15
	v_add_co_u32_e32 v0, vcc, s14, v0
	v_addc_co_u32_e32 v1, vcc, v4, v1, vcc
	global_load_dword v4, v[0:1], off
	s_waitcnt vmcnt(0)
	v_mul_f32_e32 v4, s16, v4
	global_store_dword v[0:1], v4, off
.LBB143_17:
	s_or_b64 exec, exec, s[4:5]
	s_mov_b64 s[4:5], 0
.LBB143_18:
	s_andn2_b64 vcc, exec, s[4:5]
	s_cbranch_vccnz .LBB143_41
; %bb.19:
	v_mov_b32_e32 v4, 0
	v_cmp_eq_u32_e64 s[0:1], 0, v3
	s_and_saveexec_b64 s[4:5], s[0:1]
	s_cbranch_execz .LBB143_23
; %bb.20:
	v_cmp_eq_f32_e64 s[18:19], s16, 0
	v_mov_b32_e32 v4, 0
	s_and_b64 vcc, exec, s[18:19]
	s_cbranch_vccnz .LBB143_22
; %bb.21:
	v_mad_u64_u32 v[0:1], s[18:19], v2, s2, 0
	v_mov_b32_e32 v4, v1
	v_mad_u64_u32 v[4:5], s[18:19], v2, s3, v[4:5]
	v_mov_b32_e32 v1, v4
	v_lshlrev_b64 v[0:1], 2, v[0:1]
	v_mov_b32_e32 v4, s15
	v_add_co_u32_e32 v0, vcc, s14, v0
	v_addc_co_u32_e32 v1, vcc, v4, v1, vcc
	global_load_dword v0, v[0:1], off
	s_waitcnt vmcnt(0)
	v_mul_f32_e32 v4, s16, v0
.LBB143_22:
	s_mul_i32 s17, s6, s11
	s_mul_hi_u32 s18, s6, s10
	s_add_i32 s17, s18, s17
	s_mul_i32 s18, s7, s10
	s_add_i32 s19, s17, s18
	s_mul_i32 s18, s6, s10
	s_lshl_b64 s[18:19], s[18:19], 2
	s_add_u32 s17, s12, s18
	s_addc_u32 s18, s13, s19
	v_mad_u64_u32 v[0:1], s[12:13], v2, s10, 0
	v_mov_b32_e32 v6, v1
	v_mad_u64_u32 v[6:7], s[10:11], v2, s11, v[6:7]
	v_mov_b32_e32 v1, v6
	v_lshlrev_b64 v[0:1], 2, v[0:1]
	v_mov_b32_e32 v5, s18
	v_add_co_u32_e32 v0, vcc, s17, v0
	v_addc_co_u32_e32 v1, vcc, v5, v1, vcc
	flat_load_dword v0, v[0:1]
	v_lshlrev_b32_e32 v1, 2, v2
	s_waitcnt vmcnt(0) lgkmcnt(0)
	ds_write_b32 v1, v0 offset:5120
.LBB143_23:
	s_or_b64 exec, exec, s[4:5]
	s_add_u32 s4, s20, 1
	s_addc_u32 s5, s21, 0
	s_mul_i32 s7, s4, s7
	s_mul_hi_u32 s10, s4, s6
	s_add_i32 s7, s10, s7
	s_mul_i32 s5, s5, s6
	s_add_i32 s5, s7, s5
	s_mul_i32 s4, s4, s6
	s_lshl_b64 s[4:5], s[4:5], 2
	s_add_u32 s6, s8, s4
	s_addc_u32 s7, s9, s5
	v_mad_u64_u32 v[0:1], s[4:5], v3, s20, 0
	v_mov_b32_e32 v6, v1
	v_mad_u64_u32 v[6:7], s[4:5], v3, s21, v[6:7]
	v_mov_b32_e32 v1, v6
	v_lshlrev_b64 v[0:1], 2, v[0:1]
	v_mov_b32_e32 v5, s7
	v_add_co_u32_e32 v0, vcc, s6, v0
	v_addc_co_u32_e32 v1, vcc, v5, v1, vcc
	v_lshlrev_b32_e32 v5, 2, v2
	v_add_co_u32_e32 v0, vcc, v0, v5
	v_addc_co_u32_e32 v1, vcc, 0, v1, vcc
	flat_load_dword v7, v[0:1]
	v_lshl_add_u32 v6, v3, 5, v2
	s_lshl_b64 s[4:5], s[20:21], 4
	v_lshlrev_b32_e32 v6, 2, v6
	v_mov_b32_e32 v9, s5
	v_add_co_u32_e32 v0, vcc, s4, v0
	v_addc_co_u32_e32 v1, vcc, v1, v9, vcc
	v_add_u32_e32 v12, 4, v3
	v_add_u32_e32 v11, 8, v3
	s_waitcnt vmcnt(0) lgkmcnt(0)
	ds_write_b32 v6, v7
	flat_load_dword v8, v[0:1]
	v_lshlrev_b32_e32 v7, 5, v12
	v_add_lshl_u32 v7, v7, v2, 2
	v_add_co_u32_e32 v0, vcc, s4, v0
	v_addc_co_u32_e32 v1, vcc, v1, v9, vcc
	s_waitcnt vmcnt(0) lgkmcnt(0)
	ds_write_b32 v7, v8
	flat_load_dword v10, v[0:1]
	v_lshlrev_b32_e32 v8, 5, v11
	v_add_lshl_u32 v8, v8, v2, 2
	v_add_co_u32_e32 v0, vcc, s4, v0
	v_addc_co_u32_e32 v1, vcc, v1, v9, vcc
	v_cmp_lt_u32_e32 vcc, 15, v2
	s_waitcnt vmcnt(0) lgkmcnt(0)
	ds_write_b32 v8, v10
	flat_load_dword v13, v[0:1]
	v_add_u32_e32 v10, 12, v3
	v_lshlrev_b32_e32 v9, 5, v10
	v_add_lshl_u32 v9, v9, v2, 2
	s_waitcnt vmcnt(0) lgkmcnt(0)
	ds_write_b32 v9, v13
	s_and_saveexec_b64 s[6:7], vcc
	s_cbranch_execz .LBB143_25
; %bb.24:
	v_mov_b32_e32 v13, s5
	v_add_co_u32_e32 v0, vcc, s4, v0
	v_addc_co_u32_e32 v1, vcc, v1, v13, vcc
	flat_load_dword v14, v[0:1]
	s_lshl_b64 s[8:9], s[20:21], 2
	s_lshl_b64 s[8:9], s[8:9], 2
	v_mov_b32_e32 v15, s9
	v_add_co_u32_e32 v0, vcc, s8, v0
	v_addc_co_u32_e32 v1, vcc, v1, v15, vcc
	s_waitcnt vmcnt(0) lgkmcnt(0)
	ds_write_b32 v6, v14 offset:2048
	flat_load_dword v14, v[0:1]
	v_add_co_u32_e32 v0, vcc, s4, v0
	v_addc_co_u32_e32 v1, vcc, v1, v13, vcc
	s_waitcnt vmcnt(0) lgkmcnt(0)
	ds_write_b32 v6, v14 offset:2560
	flat_load_dword v14, v[0:1]
	;; [unrolled: 5-line block ×3, first 2 shown]
	s_waitcnt vmcnt(0) lgkmcnt(0)
	ds_write_b32 v6, v0 offset:3584
.LBB143_25:
	s_or_b64 exec, exec, s[6:7]
	v_cmp_lt_u32_e32 vcc, v2, v3
	v_lshlrev_b32_e32 v0, 5, v2
	s_waitcnt lgkmcnt(0)
	s_barrier
	s_and_saveexec_b64 s[4:5], vcc
	s_cbranch_execz .LBB143_27
; %bb.26:
	v_add_lshl_u32 v1, v0, v3, 2
	ds_read_b32 v1, v1
	s_waitcnt lgkmcnt(0)
	ds_write_b32 v6, v1
.LBB143_27:
	s_or_b64 exec, exec, s[4:5]
	v_sub_u32_e32 v1, v2, v3
	v_sub_u32_e32 v13, 0, v1
	v_max_i32_e32 v13, v1, v13
	v_cmp_gt_u32_e32 vcc, 4, v13
	v_add_lshl_u32 v14, v3, v0, 2
	s_and_saveexec_b64 s[4:5], vcc
	s_cbranch_execnz .LBB143_42
; %bb.28:
	s_or_b64 exec, exec, s[4:5]
	v_cmp_gt_u32_e32 vcc, 8, v13
	s_and_saveexec_b64 s[4:5], vcc
	s_cbranch_execnz .LBB143_43
.LBB143_29:
	s_or_b64 exec, exec, s[4:5]
	v_cmp_gt_u32_e32 vcc, 12, v13
	s_and_saveexec_b64 s[4:5], vcc
	s_cbranch_execz .LBB143_31
.LBB143_30:
	ds_read_b32 v1, v14 offset:48
	s_waitcnt lgkmcnt(0)
	ds_write_b32 v9, v1
.LBB143_31:
	s_or_b64 exec, exec, s[4:5]
	v_add_u32_e32 v1, 16, v3
	v_cmp_gt_u32_e32 vcc, 16, v13
	v_lshlrev_b32_e32 v1, 5, v1
	s_and_saveexec_b64 s[4:5], vcc
	s_cbranch_execnz .LBB143_44
; %bb.32:
	s_or_b64 exec, exec, s[4:5]
	v_cmp_gt_u32_e32 vcc, 20, v13
	s_and_saveexec_b64 s[4:5], vcc
	s_cbranch_execnz .LBB143_45
.LBB143_33:
	s_or_b64 exec, exec, s[4:5]
	v_cmp_gt_u32_e32 vcc, 24, v13
	s_and_saveexec_b64 s[4:5], vcc
	s_cbranch_execz .LBB143_35
.LBB143_34:
	v_add_lshl_u32 v11, v11, v0, 2
	ds_read_b32 v11, v11 offset:64
	s_waitcnt lgkmcnt(0)
	ds_write_b32 v6, v11 offset:3072
.LBB143_35:
	s_or_b64 exec, exec, s[4:5]
	v_cmp_lt_u32_e32 vcc, 27, v13
	v_add_u32_e32 v11, 28, v3
                                        ; implicit-def: $vgpr12
	s_and_saveexec_b64 s[4:5], vcc
	s_xor_b64 s[4:5], exec, s[4:5]
; %bb.36:
	v_add_u32_e32 v11, 28, v3
	v_lshl_add_u32 v12, v11, 5, v2
                                        ; implicit-def: $vgpr10
                                        ; implicit-def: $vgpr0
; %bb.37:
	s_andn2_saveexec_b64 s[4:5], s[4:5]
	s_cbranch_execz .LBB143_39
; %bb.38:
	v_add_lshl_u32 v0, v10, v0, 2
	ds_read_b32 v0, v0 offset:64
	v_lshl_add_u32 v12, v11, 5, v2
	v_lshlrev_b32_e32 v10, 2, v12
	s_waitcnt lgkmcnt(0)
	ds_write_b32 v10, v0
.LBB143_39:
	s_or_b64 exec, exec, s[4:5]
	v_lshlrev_b32_e32 v0, 2, v3
	v_add_u32_e32 v10, 0x1400, v0
	s_waitcnt lgkmcnt(0)
	s_barrier
	ds_read2_b32 v[14:15], v10 offset1:4
	ds_read2_b32 v[16:17], v10 offset0:8 offset1:12
	ds_read_b32 v13, v6
	ds_read_b32 v7, v7
	;; [unrolled: 1-line block ×4, first 2 shown]
	v_add_lshl_u32 v1, v1, v2, 2
	v_lshlrev_b32_e32 v8, 2, v12
	v_lshlrev_b32_e32 v3, 5, v3
	;; [unrolled: 1-line block ×3, first 2 shown]
	ds_read_b32 v11, v8
	ds_read_b32 v12, v9 offset:5120
	ds_read_b32 v20, v1
	ds_read_b32 v21, v0 offset:5216
	ds_read2_b32 v[0:1], v10 offset0:16 offset1:20
	v_add_lshl_u32 v3, v3, v2, 2
	s_waitcnt lgkmcnt(8)
	v_fma_f32 v13, v13, v14, 0
	ds_read2st64_b32 v[8:9], v3 offset0:10 offset1:12
	s_waitcnt lgkmcnt(8)
	v_fmac_f32_e32 v13, v7, v15
	s_waitcnt lgkmcnt(7)
	v_fmac_f32_e32 v13, v18, v16
	;; [unrolled: 2-line block ×5, first 2 shown]
	v_fmac_f32_e32 v13, v9, v21
	v_fmac_f32_e32 v13, v11, v12
	ds_write_b32 v6, v13 offset:4096
	s_waitcnt lgkmcnt(0)
	s_barrier
	s_and_saveexec_b64 s[4:5], s[0:1]
	s_cbranch_execz .LBB143_41
; %bb.40:
	v_add_u32_e32 v3, 0x1000, v5
	ds_read2_b32 v[0:1], v3 offset1:32
	ds_read2_b32 v[6:7], v3 offset0:64 offset1:96
	v_cmp_neq_f32_e64 vcc, s16, 0
	s_waitcnt lgkmcnt(1)
	v_add_f32_e32 v0, 0, v0
	v_add_f32_e32 v0, v0, v1
	s_waitcnt lgkmcnt(0)
	v_add_f32_e32 v0, v0, v6
	v_add_f32_e32 v0, v0, v7
	v_mul_f32_e32 v1, s28, v0
	v_fmac_f32_e32 v4, s28, v0
	v_cndmask_b32_e32 v5, v1, v4, vcc
	v_mad_u64_u32 v[0:1], s[0:1], v2, s2, 0
	v_mov_b32_e32 v4, v1
	v_mad_u64_u32 v[2:3], s[0:1], v2, s3, v[4:5]
	v_mov_b32_e32 v1, v2
	v_lshlrev_b64 v[0:1], 2, v[0:1]
	v_mov_b32_e32 v2, s15
	v_add_co_u32_e32 v0, vcc, s14, v0
	v_addc_co_u32_e32 v1, vcc, v2, v1, vcc
	global_store_dword v[0:1], v5, off
.LBB143_41:
	s_endpgm
.LBB143_42:
	ds_read_b32 v1, v14 offset:16
	s_waitcnt lgkmcnt(0)
	ds_write_b32 v7, v1
	s_or_b64 exec, exec, s[4:5]
	v_cmp_gt_u32_e32 vcc, 8, v13
	s_and_saveexec_b64 s[4:5], vcc
	s_cbranch_execz .LBB143_29
.LBB143_43:
	ds_read_b32 v1, v14 offset:32
	s_waitcnt lgkmcnt(0)
	ds_write_b32 v8, v1
	s_or_b64 exec, exec, s[4:5]
	v_cmp_gt_u32_e32 vcc, 12, v13
	s_and_saveexec_b64 s[4:5], vcc
	s_cbranch_execnz .LBB143_30
	s_branch .LBB143_31
.LBB143_44:
	ds_read_b32 v14, v14 offset:64
	v_add_lshl_u32 v15, v1, v2, 2
	s_waitcnt lgkmcnt(0)
	ds_write_b32 v15, v14
	s_or_b64 exec, exec, s[4:5]
	v_cmp_gt_u32_e32 vcc, 20, v13
	s_and_saveexec_b64 s[4:5], vcc
	s_cbranch_execz .LBB143_33
.LBB143_45:
	v_add_lshl_u32 v12, v12, v0, 2
	ds_read_b32 v12, v12 offset:64
	s_waitcnt lgkmcnt(0)
	ds_write_b32 v6, v12 offset:2560
	s_or_b64 exec, exec, s[4:5]
	v_cmp_gt_u32_e32 vcc, 24, v13
	s_and_saveexec_b64 s[4:5], vcc
	s_cbranch_execnz .LBB143_34
	s_branch .LBB143_35
	.section	.rodata,"a",@progbits
	.p2align	6, 0x0
	.amdhsa_kernel _ZL50rocblas_symv_kernel_lower_double_buffered_diagonalILi32ELi4E24rocblas_internal_val_ptrIfEPKPKfPKPfEvbiT1_lT2_lllSA_lllS9_lT3_llli
		.amdhsa_group_segment_fixed_size 5248
		.amdhsa_private_segment_fixed_size 0
		.amdhsa_kernarg_size 140
		.amdhsa_user_sgpr_count 6
		.amdhsa_user_sgpr_private_segment_buffer 1
		.amdhsa_user_sgpr_dispatch_ptr 0
		.amdhsa_user_sgpr_queue_ptr 0
		.amdhsa_user_sgpr_kernarg_segment_ptr 1
		.amdhsa_user_sgpr_dispatch_id 0
		.amdhsa_user_sgpr_flat_scratch_init 0
		.amdhsa_user_sgpr_kernarg_preload_length 0
		.amdhsa_user_sgpr_kernarg_preload_offset 0
		.amdhsa_user_sgpr_private_segment_size 0
		.amdhsa_uses_dynamic_stack 0
		.amdhsa_system_sgpr_private_segment_wavefront_offset 0
		.amdhsa_system_sgpr_workgroup_id_x 1
		.amdhsa_system_sgpr_workgroup_id_y 0
		.amdhsa_system_sgpr_workgroup_id_z 1
		.amdhsa_system_sgpr_workgroup_info 0
		.amdhsa_system_vgpr_workitem_id 1
		.amdhsa_next_free_vgpr 22
		.amdhsa_next_free_sgpr 29
		.amdhsa_accum_offset 24
		.amdhsa_reserve_vcc 1
		.amdhsa_reserve_flat_scratch 0
		.amdhsa_float_round_mode_32 0
		.amdhsa_float_round_mode_16_64 0
		.amdhsa_float_denorm_mode_32 3
		.amdhsa_float_denorm_mode_16_64 3
		.amdhsa_dx10_clamp 1
		.amdhsa_ieee_mode 1
		.amdhsa_fp16_overflow 0
		.amdhsa_tg_split 0
		.amdhsa_exception_fp_ieee_invalid_op 0
		.amdhsa_exception_fp_denorm_src 0
		.amdhsa_exception_fp_ieee_div_zero 0
		.amdhsa_exception_fp_ieee_overflow 0
		.amdhsa_exception_fp_ieee_underflow 0
		.amdhsa_exception_fp_ieee_inexact 0
		.amdhsa_exception_int_div_zero 0
	.end_amdhsa_kernel
	.section	.text._ZL50rocblas_symv_kernel_lower_double_buffered_diagonalILi32ELi4E24rocblas_internal_val_ptrIfEPKPKfPKPfEvbiT1_lT2_lllSA_lllS9_lT3_llli,"axG",@progbits,_ZL50rocblas_symv_kernel_lower_double_buffered_diagonalILi32ELi4E24rocblas_internal_val_ptrIfEPKPKfPKPfEvbiT1_lT2_lllSA_lllS9_lT3_llli,comdat
.Lfunc_end143:
	.size	_ZL50rocblas_symv_kernel_lower_double_buffered_diagonalILi32ELi4E24rocblas_internal_val_ptrIfEPKPKfPKPfEvbiT1_lT2_lllSA_lllS9_lT3_llli, .Lfunc_end143-_ZL50rocblas_symv_kernel_lower_double_buffered_diagonalILi32ELi4E24rocblas_internal_val_ptrIfEPKPKfPKPfEvbiT1_lT2_lllSA_lllS9_lT3_llli
                                        ; -- End function
	.section	.AMDGPU.csdata,"",@progbits
; Kernel info:
; codeLenInByte = 2048
; NumSgprs: 33
; NumVgprs: 22
; NumAgprs: 0
; TotalNumVgprs: 22
; ScratchSize: 0
; MemoryBound: 0
; FloatMode: 240
; IeeeMode: 1
; LDSByteSize: 5248 bytes/workgroup (compile time only)
; SGPRBlocks: 4
; VGPRBlocks: 2
; NumSGPRsForWavesPerEU: 33
; NumVGPRsForWavesPerEU: 22
; AccumOffset: 24
; Occupancy: 6
; WaveLimiterHint : 1
; COMPUTE_PGM_RSRC2:SCRATCH_EN: 0
; COMPUTE_PGM_RSRC2:USER_SGPR: 6
; COMPUTE_PGM_RSRC2:TRAP_HANDLER: 0
; COMPUTE_PGM_RSRC2:TGID_X_EN: 1
; COMPUTE_PGM_RSRC2:TGID_Y_EN: 0
; COMPUTE_PGM_RSRC2:TGID_Z_EN: 1
; COMPUTE_PGM_RSRC2:TIDIG_COMP_CNT: 1
; COMPUTE_PGM_RSRC3_GFX90A:ACCUM_OFFSET: 5
; COMPUTE_PGM_RSRC3_GFX90A:TG_SPLIT: 0
	.section	.text._ZL54rocblas_symv_kernel_lower_double_buffered_non_diagonalILi32ELi4ELi4E24rocblas_internal_val_ptrIfEPKPKfPKPfEvbiT2_lT3_lllSA_lllT4_llli,"axG",@progbits,_ZL54rocblas_symv_kernel_lower_double_buffered_non_diagonalILi32ELi4ELi4E24rocblas_internal_val_ptrIfEPKPKfPKPfEvbiT2_lT3_lllSA_lllT4_llli,comdat
	.globl	_ZL54rocblas_symv_kernel_lower_double_buffered_non_diagonalILi32ELi4ELi4E24rocblas_internal_val_ptrIfEPKPKfPKPfEvbiT2_lT3_lllSA_lllT4_llli ; -- Begin function _ZL54rocblas_symv_kernel_lower_double_buffered_non_diagonalILi32ELi4ELi4E24rocblas_internal_val_ptrIfEPKPKfPKPfEvbiT2_lT3_lllSA_lllT4_llli
	.p2align	8
	.type	_ZL54rocblas_symv_kernel_lower_double_buffered_non_diagonalILi32ELi4ELi4E24rocblas_internal_val_ptrIfEPKPKfPKPfEvbiT2_lT3_lllSA_lllT4_llli,@function
_ZL54rocblas_symv_kernel_lower_double_buffered_non_diagonalILi32ELi4ELi4E24rocblas_internal_val_ptrIfEPKPKfPKPfEvbiT2_lT3_lllSA_lllT4_llli: ; @_ZL54rocblas_symv_kernel_lower_double_buffered_non_diagonalILi32ELi4ELi4E24rocblas_internal_val_ptrIfEPKPKfPKPfEvbiT2_lT3_lllSA_lllT4_llli
; %bb.0:
	s_load_dword s0, s[4:5], 0x0
	s_load_dwordx8 s[12:19], s[4:5], 0x8
	s_load_dwordx2 s[2:3], s[4:5], 0x28
	s_waitcnt lgkmcnt(0)
	s_bitcmp0_b32 s0, 0
	s_cbranch_scc0 .LBB144_2
; %bb.1:
	s_mul_i32 s0, s8, s15
	s_mul_hi_u32 s1, s8, s14
	s_add_i32 s1, s1, s0
	s_mul_i32 s0, s8, s14
	s_lshl_b64 s[0:1], s[0:1], 2
	s_add_u32 s0, s12, s0
	s_addc_u32 s1, s13, s1
	s_load_dword s20, s[0:1], 0x0
	s_cbranch_execz .LBB144_3
	s_branch .LBB144_4
.LBB144_2:
                                        ; implicit-def: $sgpr20
.LBB144_3:
	s_waitcnt lgkmcnt(0)
	s_mov_b32 s20, s12
.LBB144_4:
	s_waitcnt lgkmcnt(0)
	v_cmp_eq_f32_e64 s[0:1], s20, 0
	s_and_b64 vcc, exec, s[0:1]
	s_cbranch_vccnz .LBB144_24
; %bb.5:
	s_load_dwordx2 s[10:11], s[4:5], 0x80
	s_waitcnt lgkmcnt(0)
	v_cvt_f32_u32_e32 v1, s11
	s_add_i32 s0, s10, -1
	s_cmp_eq_u32 s6, s0
	v_rcp_iflag_f32_e32 v1, v1
	v_mul_f32_e32 v1, 0x4f7ffffe, v1
	v_cvt_u32_f32_e32 v1, v1
	v_readfirstlane_b32 s0, v1
	s_cbranch_scc1 .LBB144_24
; %bb.6:
	s_not_b32 s1, s6
	s_add_i32 s10, s10, s1
	s_sub_i32 s1, 0, s11
	s_mul_i32 s1, s1, s0
	s_mul_hi_u32 s1, s0, s1
	s_add_i32 s0, s0, s1
	s_load_dwordx4 s[24:27], s[4:5], 0x38
	s_load_dwordx2 s[12:13], s[4:5], 0x48
	s_mov_b32 s9, 0
	s_mul_hi_u32 s21, s10, s0
	s_lshl_b64 s[0:1], s[8:9], 3
	s_add_u32 s14, s16, s0
	s_addc_u32 s15, s17, s1
	s_load_dwordx2 s[22:23], s[4:5], 0x58
	s_waitcnt lgkmcnt(0)
	s_add_u32 s8, s24, s0
	s_addc_u32 s9, s25, s1
	s_load_dwordx2 s[8:9], s[8:9], 0x0
	v_and_b32_e32 v24, 0x3ff, v0
	s_add_u32 s16, s22, s0
	s_addc_u32 s17, s23, s1
	s_lshl_b64 s[0:1], s[26:27], 2
	s_waitcnt lgkmcnt(0)
	s_add_u32 s8, s8, s0
	s_addc_u32 s9, s9, s1
	s_lshl_b32 s24, s6, 5
	s_ashr_i32 s25, s24, 31
	s_mul_i32 s0, s24, s13
	s_mul_hi_u32 s1, s24, s12
	s_add_i32 s0, s1, s0
	s_mul_i32 s1, s25, s12
	s_add_i32 s1, s0, s1
	s_mul_i32 s0, s24, s12
	s_lshl_b64 s[0:1], s[0:1], 2
	v_bfe_u32 v0, v0, 10, 10
	s_add_u32 s6, s8, s0
	s_addc_u32 s23, s9, s1
	v_cmp_eq_u32_e32 vcc, 0, v0
	s_and_saveexec_b64 s[8:9], vcc
	s_cbranch_execz .LBB144_8
; %bb.7:
	v_mad_u64_u32 v[2:3], s[0:1], v24, s12, 0
	v_mov_b32_e32 v4, v3
	v_mad_u64_u32 v[4:5], s[0:1], v24, s13, v[4:5]
	v_mov_b32_e32 v3, v4
	v_lshlrev_b64 v[2:3], 2, v[2:3]
	v_mov_b32_e32 v1, s23
	v_add_co_u32_e64 v2, s[0:1], s6, v2
	v_addc_co_u32_e64 v3, s[0:1], v1, v3, s[0:1]
	global_load_dword v1, v[2:3], off
	v_lshlrev_b32_e32 v2, 2, v24
	s_waitcnt vmcnt(0)
	ds_write_b32 v2, v1 offset:3072
.LBB144_8:
	s_or_b64 exec, exec, s[8:9]
	s_mul_i32 s0, s21, s11
	s_sub_i32 s0, s10, s0
	s_add_i32 s1, s21, 1
	s_sub_i32 s8, s0, s11
	s_cmp_ge_u32 s0, s11
	s_cselect_b32 s1, s1, s21
	s_cselect_b32 s0, s8, s0
	s_add_i32 s8, s1, 1
	s_cmp_ge_u32 s0, s11
	s_cselect_b32 s0, s8, s1
	s_add_i32 s1, s11, -1
	s_cmp_lg_u32 s7, s1
	s_mov_b32 s21, s0
	s_cbranch_scc1 .LBB144_10
; %bb.9:
	s_mul_i32 s1, s0, s11
	s_sub_i32 s1, s10, s1
	s_add_i32 s21, s1, s0
.LBB144_10:
	s_cmp_eq_u32 s21, 0
	s_cbranch_scc1 .LBB144_24
; %bb.11:
	s_load_dwordx4 s[8:11], s[4:5], 0x60
	s_load_dwordx2 s[26:27], s[16:17], 0x0
	v_lshl_add_u32 v0, v0, 5, v24
	v_and_b32_e32 v4, 15, v24
	v_lshrrev_b32_e32 v25, 4, v0
	s_waitcnt lgkmcnt(0)
	s_lshl_b64 s[4:5], s[8:9], 2
	s_mul_i32 s1, s24, s11
	s_mul_hi_u32 s8, s24, s10
	s_add_u32 s9, s26, s4
	s_addc_u32 s17, s27, s5
	s_add_i32 s1, s8, s1
	s_mul_i32 s4, s25, s10
	s_add_i32 s5, s1, s4
	s_mul_i32 s4, s24, s10
	s_lshl_b64 s[4:5], s[4:5], 2
	s_add_u32 s16, s9, s4
	s_addc_u32 s17, s17, s5
	s_mov_b32 s22, 0
	s_cmp_lt_i32 s21, 1
	v_mov_b32_e32 v28, 0
	v_lshlrev_b32_e32 v26, 2, v4
	v_mov_b32_e32 v30, 0
	v_mov_b32_e32 v32, 0
	;; [unrolled: 1-line block ×3, first 2 shown]
	s_barrier
	s_cbranch_scc1 .LBB144_21
; %bb.12:
	s_mul_i32 s7, s7, s0
	v_lshlrev_b32_e32 v3, 2, v25
	v_mov_b32_e32 v5, 0
	s_lshl_b32 s0, s7, 5
	s_load_dwordx2 s[4:5], s[14:15], 0x0
	v_mad_u64_u32 v[0:1], s[8:9], v3, s2, v[4:5]
	s_ashr_i32 s1, s0, 31
	s_mul_i32 s7, s0, s11
	s_mul_hi_u32 s14, s0, s10
	v_mov_b32_e32 v2, v1
	s_add_i32 s7, s14, s7
	s_mul_i32 s14, s1, s10
	v_mad_u64_u32 v[2:3], s[8:9], v3, s3, v[2:3]
	s_add_i32 s15, s7, s14
	s_mul_i32 s14, s0, s10
	s_lshl_b64 s[8:9], s[12:13], 7
	s_lshl_b64 s[14:15], s[14:15], 2
	s_add_u32 s26, s16, s14
	s_addc_u32 s27, s17, s15
	s_lshl_b64 s[14:15], s[18:19], 2
	s_waitcnt lgkmcnt(0)
	s_add_u32 s7, s4, s14
	s_addc_u32 s14, s5, s15
	s_add_u32 s4, s2, 1
	s_addc_u32 s5, s3, 0
	s_mul_i32 s15, s4, s25
	s_mul_hi_u32 s18, s4, s24
	s_add_i32 s15, s18, s15
	s_mul_i32 s5, s5, s24
	s_add_i32 s5, s15, s5
	s_mul_i32 s4, s4, s24
	s_lshl_b64 s[4:5], s[4:5], 2
	s_add_u32 s7, s7, s4
	s_addc_u32 s14, s14, s5
	s_lshl_b64 s[4:5], s[0:1], 2
	s_add_u32 s4, s7, s4
	s_addc_u32 s5, s14, s5
	s_mul_i32 s7, s0, s13
	s_mul_hi_u32 s14, s0, s12
	s_add_i32 s7, s14, s7
	s_mul_i32 s1, s1, s12
	s_add_i32 s1, s7, s1
	s_mul_i32 s0, s0, s12
	s_lshl_b64 s[0:1], s[0:1], 2
	v_mov_b32_e32 v1, v2
	s_add_u32 s14, s6, s0
	s_addc_u32 s15, s23, s1
	v_lshlrev_b64 v[6:7], 2, v[0:1]
	s_add_u32 s18, s4, 0x80
	v_mov_b32_e32 v1, s5
	v_add_co_u32_e64 v0, s[0:1], s4, v6
	s_addc_u32 s19, s5, 0
	v_addc_co_u32_e64 v1, s[0:1], v1, v7, s[0:1]
	s_lshl_b64 s[6:7], s[2:3], 2
	global_load_dword v31, v[0:1], off offset:128
	v_mov_b32_e32 v27, s7
	v_add_co_u32_e64 v0, s[0:1], s6, v0
	v_addc_co_u32_e64 v1, s[0:1], v1, v27, s[0:1]
	global_load_dword v34, v[0:1], off offset:128
	v_add_co_u32_e64 v0, s[0:1], s6, v0
	v_addc_co_u32_e64 v1, s[0:1], v1, v27, s[0:1]
	global_load_dword v36, v[0:1], off offset:128
	v_add_co_u32_e64 v0, s[0:1], s6, v0
	v_addc_co_u32_e64 v1, s[0:1], v1, v27, s[0:1]
	global_load_dword v37, v[0:1], off offset:128
	v_mad_u64_u32 v[0:1], s[0:1], v4, s12, 0
	v_mov_b32_e32 v2, v1
	v_mad_u64_u32 v[2:3], s[0:1], v4, s13, v[2:3]
	v_or_b32_e32 v9, 16, v4
	v_mov_b32_e32 v1, v2
	v_mad_u64_u32 v[2:3], s[0:1], v9, s12, 0
	v_mov_b32_e32 v8, v3
	v_mad_u64_u32 v[8:9], s[0:1], v9, s13, v[8:9]
	v_mov_b32_e32 v3, v8
	v_lshl_or_b32 v8, v25, 7, v26
	v_mad_u64_u32 v[14:15], s[0:1], v24, s10, 0
	v_add_u32_e32 v29, 0x800, v8
	v_mov_b32_e32 v8, v15
	v_mad_u64_u32 v[8:9], s[0:1], v24, s11, v[8:9]
	v_mov_b32_e32 v15, v8
	v_mov_b32_e32 v8, 0xc00
	v_lshl_add_u32 v33, v25, 4, v8
	v_mov_b32_e32 v8, 0x800
	s_add_i32 s23, s21, -1
	s_lshl_b64 s[12:13], s[10:11], 7
	v_lshl_add_u32 v35, v24, 2, v8
	v_pk_mov_b32 v[8:9], s[26:27], s[26:27] op_sel:[0,1]
	v_lshlrev_b64 v[10:11], 2, v[0:1]
	v_lshlrev_b64 v[12:13], 2, v[2:3]
	;; [unrolled: 1-line block ×3, first 2 shown]
	v_mov_b32_e32 v32, v5
	v_mov_b32_e32 v30, v5
	;; [unrolled: 1-line block ×3, first 2 shown]
	s_waitcnt vmcnt(3)
	v_mov_b32_e32 v38, v31
	s_waitcnt vmcnt(2)
	v_mov_b32_e32 v39, v34
	s_waitcnt vmcnt(1)
	v_mov_b32_e32 v40, v36
	s_waitcnt vmcnt(0)
	v_mov_b32_e32 v41, v37
.LBB144_13:                             ; =>This Loop Header: Depth=1
                                        ;     Child Loop BB144_17 Depth 2
	s_add_u32 s14, s14, s8
	s_addc_u32 s15, s15, s9
	v_mov_b32_e32 v1, s15
	v_add_co_u32_e64 v0, s[0:1], s14, v10
	v_addc_co_u32_e64 v1, s[0:1], v1, v11, s[0:1]
	v_mov_b32_e32 v3, s15
	v_add_co_u32_e64 v2, s[0:1], s14, v12
	v_addc_co_u32_e64 v3, s[0:1], v3, v13, s[0:1]
	global_load_dword v43, v[0:1], off
	global_load_dword v42, v[2:3], off
	v_mov_b32_e32 v0, s19
	v_add_co_u32_e64 v16, s[0:1], s18, v6
	v_addc_co_u32_e64 v17, s[0:1], v0, v7, s[0:1]
	v_add_co_u32_e64 v18, s[0:1], s6, v16
	v_addc_co_u32_e64 v19, s[0:1], v17, v27, s[0:1]
	;; [unrolled: 2-line block ×3, first 2 shown]
	v_add_co_u32_e64 v22, s[2:3], s6, v20
	global_load_dword v44, v[16:17], off offset:64
	global_load_dword v45, v[18:19], off offset:64
	v_addc_co_u32_e64 v23, s[4:5], v21, v27, s[2:3]
	global_load_dword v46, v[20:21], off offset:64
	global_load_dword v47, v[22:23], off offset:64
	ds_read_b128 v[0:3], v33
	s_cmp_eq_u32 s22, s23
	s_cbranch_scc1 .LBB144_15
; %bb.14:                               ;   in Loop: Header=BB144_13 Depth=1
	v_mov_b32_e32 v23, s7
	v_addc_co_u32_e64 v21, s[0:1], v19, v23, s[0:1]
	v_addc_co_u32_e64 v23, s[0:1], v21, v23, s[2:3]
	global_load_dword v38, v[16:17], off offset:128
	global_load_dword v39, v[18:19], off offset:128
	;; [unrolled: 1-line block ×4, first 2 shown]
.LBB144_15:                             ;   in Loop: Header=BB144_13 Depth=1
	s_waitcnt lgkmcnt(0)
	v_fma_f32 v16, v31, v0, 0
	s_waitcnt vmcnt(3)
	v_fma_f32 v0, v44, v0, 0
	v_fmac_f32_e32 v16, v34, v1
	s_waitcnt vmcnt(2)
	v_fmac_f32_e32 v0, v45, v1
	v_fmac_f32_e32 v16, v36, v2
	s_waitcnt vmcnt(1)
	v_fmac_f32_e32 v0, v46, v2
	;; [unrolled: 3-line block ×3, first 2 shown]
	s_barrier
	ds_write2_b32 v29, v16, v0 offset1:16
	s_waitcnt lgkmcnt(0)
	s_barrier
	s_and_saveexec_b64 s[2:3], vcc
	s_cbranch_execz .LBB144_19
; %bb.16:                               ;   in Loop: Header=BB144_13 Depth=1
	v_mov_b32_e32 v0, s13
	v_add_co_u32_e64 v8, s[0:1], s12, v8
	v_addc_co_u32_e64 v9, s[0:1], v9, v0, s[0:1]
	v_add_co_u32_e64 v0, s[0:1], v8, v14
	v_addc_co_u32_e64 v1, s[0:1], v9, v15, s[0:1]
	global_load_dword v3, v[0:1], off
	ds_read2_b32 v[16:17], v35 offset1:32
	ds_read2_b32 v[18:19], v35 offset0:64 offset1:96
	ds_read2_b32 v[20:21], v35 offset0:128 offset1:160
	s_mov_b64 s[4:5], 0
	s_waitcnt lgkmcnt(2)
	v_add_f32_e32 v2, 0, v16
	v_add_f32_e32 v2, v2, v17
	ds_read2_b32 v[16:17], v35 offset0:192 offset1:224
	s_waitcnt lgkmcnt(2)
	v_add_f32_e32 v2, v2, v18
	v_add_f32_e32 v2, v2, v19
	s_waitcnt lgkmcnt(1)
	v_add_f32_e32 v2, v2, v20
	v_add_f32_e32 v2, v2, v21
	;; [unrolled: 3-line block ×3, first 2 shown]
	v_mul_f32_e32 v16, s20, v2
.LBB144_17:                             ;   Parent Loop BB144_13 Depth=1
                                        ; =>  This Inner Loop Header: Depth=2
	s_waitcnt vmcnt(0)
	v_add_f32_e32 v2, v3, v16
	global_atomic_cmpswap v2, v[0:1], v[2:3], off glc
	s_waitcnt vmcnt(0)
	v_cmp_eq_u32_e64 s[0:1], v2, v3
	s_or_b64 s[4:5], s[0:1], s[4:5]
	v_mov_b32_e32 v3, v2
	s_andn2_b64 exec, exec, s[4:5]
	s_cbranch_execnz .LBB144_17
; %bb.18:                               ;   in Loop: Header=BB144_13 Depth=1
	s_or_b64 exec, exec, s[4:5]
.LBB144_19:                             ;   in Loop: Header=BB144_13 Depth=1
	s_or_b64 exec, exec, s[2:3]
	s_add_u32 s18, s18, 0x80
	v_fmac_f32_e32 v5, v43, v31
	v_fmac_f32_e32 v32, v43, v34
	;; [unrolled: 1-line block ×4, first 2 shown]
	s_addc_u32 s19, s19, 0
	s_add_i32 s22, s22, 1
	v_fmac_f32_e32 v5, v42, v44
	v_fmac_f32_e32 v32, v42, v45
	v_fmac_f32_e32 v30, v42, v46
	v_fmac_f32_e32 v28, v42, v47
	s_cmp_eq_u32 s22, s21
	s_cbranch_scc1 .LBB144_21
; %bb.20:                               ;   in Loop: Header=BB144_13 Depth=1
	v_mov_b32_e32 v31, v38
	v_mov_b32_e32 v34, v39
	;; [unrolled: 1-line block ×4, first 2 shown]
	s_branch .LBB144_13
.LBB144_21:
	v_lshl_or_b32 v0, v25, 8, v26
	ds_write2_b32 v0, v5, v32 offset1:16
	ds_write2_b32 v0, v30, v28 offset0:32 offset1:48
	s_waitcnt lgkmcnt(0)
	s_barrier
	s_and_saveexec_b64 s[0:1], vcc
	s_cbranch_execz .LBB144_24
; %bb.22:
	v_mad_u64_u32 v[0:1], s[0:1], v24, s10, 0
	v_mov_b32_e32 v2, v1
	v_mad_u64_u32 v[2:3], s[0:1], v24, s11, v[2:3]
	v_mov_b32_e32 v1, v2
	v_lshlrev_b64 v[0:1], 2, v[0:1]
	v_mov_b32_e32 v2, s17
	v_add_co_u32_e32 v0, vcc, s16, v0
	v_addc_co_u32_e32 v1, vcc, v2, v1, vcc
	global_load_dword v3, v[0:1], off
	v_lshlrev_b32_e32 v5, 4, v24
	v_add_u32_e32 v6, 1, v24
	v_add_u32_e32 v7, 2, v24
	;; [unrolled: 1-line block ×7, first 2 shown]
	v_or_b32_e32 v4, v4, v5
	v_and_or_b32 v6, v6, 15, v5
	v_and_or_b32 v7, v7, 15, v5
	;; [unrolled: 1-line block ×7, first 2 shown]
	v_lshlrev_b32_e32 v2, 2, v4
	v_lshlrev_b32_e32 v6, 2, v6
	;; [unrolled: 1-line block ×8, first 2 shown]
	ds_read_b32 v2, v2
	ds_read_b32 v6, v6
	;; [unrolled: 1-line block ×8, first 2 shown]
	s_waitcnt lgkmcnt(7)
	v_add_f32_e32 v2, 0, v2
	s_waitcnt lgkmcnt(6)
	v_add_f32_e32 v2, v2, v6
	;; [unrolled: 2-line block ×8, first 2 shown]
	v_add_u32_e32 v6, 9, v24
	v_add_u32_e32 v7, 10, v24
	;; [unrolled: 1-line block ×6, first 2 shown]
	v_add_u32_e32 v12, -1, v24
	v_xor_b32_e32 v4, 8, v4
	v_and_or_b32 v6, v6, 15, v5
	v_and_or_b32 v7, v7, 15, v5
	;; [unrolled: 1-line block ×7, first 2 shown]
	v_lshlrev_b32_e32 v4, 2, v4
	v_lshlrev_b32_e32 v6, 2, v6
	;; [unrolled: 1-line block ×8, first 2 shown]
	ds_read_b32 v4, v4
	ds_read_b32 v6, v6
	;; [unrolled: 1-line block ×8, first 2 shown]
	s_waitcnt lgkmcnt(7)
	v_add_f32_e32 v2, v2, v4
	s_waitcnt lgkmcnt(6)
	v_add_f32_e32 v2, v2, v6
	;; [unrolled: 2-line block ×8, first 2 shown]
	v_mul_f32_e32 v4, s20, v2
	s_mov_b64 s[0:1], 0
.LBB144_23:                             ; =>This Inner Loop Header: Depth=1
	s_waitcnt vmcnt(0)
	v_add_f32_e32 v2, v3, v4
	global_atomic_cmpswap v2, v[0:1], v[2:3], off glc
	s_waitcnt vmcnt(0)
	v_cmp_eq_u32_e32 vcc, v2, v3
	s_or_b64 s[0:1], vcc, s[0:1]
	v_mov_b32_e32 v3, v2
	s_andn2_b64 exec, exec, s[0:1]
	s_cbranch_execnz .LBB144_23
.LBB144_24:
	s_endpgm
	.section	.rodata,"a",@progbits
	.p2align	6, 0x0
	.amdhsa_kernel _ZL54rocblas_symv_kernel_lower_double_buffered_non_diagonalILi32ELi4ELi4E24rocblas_internal_val_ptrIfEPKPKfPKPfEvbiT2_lT3_lllSA_lllT4_llli
		.amdhsa_group_segment_fixed_size 3200
		.amdhsa_private_segment_fixed_size 0
		.amdhsa_kernarg_size 384
		.amdhsa_user_sgpr_count 6
		.amdhsa_user_sgpr_private_segment_buffer 1
		.amdhsa_user_sgpr_dispatch_ptr 0
		.amdhsa_user_sgpr_queue_ptr 0
		.amdhsa_user_sgpr_kernarg_segment_ptr 1
		.amdhsa_user_sgpr_dispatch_id 0
		.amdhsa_user_sgpr_flat_scratch_init 0
		.amdhsa_user_sgpr_kernarg_preload_length 0
		.amdhsa_user_sgpr_kernarg_preload_offset 0
		.amdhsa_user_sgpr_private_segment_size 0
		.amdhsa_uses_dynamic_stack 0
		.amdhsa_system_sgpr_private_segment_wavefront_offset 0
		.amdhsa_system_sgpr_workgroup_id_x 1
		.amdhsa_system_sgpr_workgroup_id_y 1
		.amdhsa_system_sgpr_workgroup_id_z 1
		.amdhsa_system_sgpr_workgroup_info 0
		.amdhsa_system_vgpr_workitem_id 1
		.amdhsa_next_free_vgpr 48
		.amdhsa_next_free_sgpr 28
		.amdhsa_accum_offset 48
		.amdhsa_reserve_vcc 1
		.amdhsa_reserve_flat_scratch 0
		.amdhsa_float_round_mode_32 0
		.amdhsa_float_round_mode_16_64 0
		.amdhsa_float_denorm_mode_32 3
		.amdhsa_float_denorm_mode_16_64 3
		.amdhsa_dx10_clamp 1
		.amdhsa_ieee_mode 1
		.amdhsa_fp16_overflow 0
		.amdhsa_tg_split 0
		.amdhsa_exception_fp_ieee_invalid_op 0
		.amdhsa_exception_fp_denorm_src 0
		.amdhsa_exception_fp_ieee_div_zero 0
		.amdhsa_exception_fp_ieee_overflow 0
		.amdhsa_exception_fp_ieee_underflow 0
		.amdhsa_exception_fp_ieee_inexact 0
		.amdhsa_exception_int_div_zero 0
	.end_amdhsa_kernel
	.section	.text._ZL54rocblas_symv_kernel_lower_double_buffered_non_diagonalILi32ELi4ELi4E24rocblas_internal_val_ptrIfEPKPKfPKPfEvbiT2_lT3_lllSA_lllT4_llli,"axG",@progbits,_ZL54rocblas_symv_kernel_lower_double_buffered_non_diagonalILi32ELi4ELi4E24rocblas_internal_val_ptrIfEPKPKfPKPfEvbiT2_lT3_lllSA_lllT4_llli,comdat
.Lfunc_end144:
	.size	_ZL54rocblas_symv_kernel_lower_double_buffered_non_diagonalILi32ELi4ELi4E24rocblas_internal_val_ptrIfEPKPKfPKPfEvbiT2_lT3_lllSA_lllT4_llli, .Lfunc_end144-_ZL54rocblas_symv_kernel_lower_double_buffered_non_diagonalILi32ELi4ELi4E24rocblas_internal_val_ptrIfEPKPKfPKPfEvbiT2_lT3_lllSA_lllT4_llli
                                        ; -- End function
	.section	.AMDGPU.csdata,"",@progbits
; Kernel info:
; codeLenInByte = 2376
; NumSgprs: 32
; NumVgprs: 48
; NumAgprs: 0
; TotalNumVgprs: 48
; ScratchSize: 0
; MemoryBound: 0
; FloatMode: 240
; IeeeMode: 1
; LDSByteSize: 3200 bytes/workgroup (compile time only)
; SGPRBlocks: 3
; VGPRBlocks: 5
; NumSGPRsForWavesPerEU: 32
; NumVGPRsForWavesPerEU: 48
; AccumOffset: 48
; Occupancy: 8
; WaveLimiterHint : 1
; COMPUTE_PGM_RSRC2:SCRATCH_EN: 0
; COMPUTE_PGM_RSRC2:USER_SGPR: 6
; COMPUTE_PGM_RSRC2:TRAP_HANDLER: 0
; COMPUTE_PGM_RSRC2:TGID_X_EN: 1
; COMPUTE_PGM_RSRC2:TGID_Y_EN: 1
; COMPUTE_PGM_RSRC2:TGID_Z_EN: 1
; COMPUTE_PGM_RSRC2:TIDIG_COMP_CNT: 1
; COMPUTE_PGM_RSRC3_GFX90A:ACCUM_OFFSET: 11
; COMPUTE_PGM_RSRC3_GFX90A:TG_SPLIT: 0
	.section	.text._ZL58rocblas_symv_kernel_lower_double_buffered_diagonal_genericILi32ELi4E24rocblas_internal_val_ptrIfEPKPKfPKPfEvbiT1_lT2_lllSA_lllS9_lT3_lllii,"axG",@progbits,_ZL58rocblas_symv_kernel_lower_double_buffered_diagonal_genericILi32ELi4E24rocblas_internal_val_ptrIfEPKPKfPKPfEvbiT1_lT2_lllSA_lllS9_lT3_lllii,comdat
	.globl	_ZL58rocblas_symv_kernel_lower_double_buffered_diagonal_genericILi32ELi4E24rocblas_internal_val_ptrIfEPKPKfPKPfEvbiT1_lT2_lllSA_lllS9_lT3_lllii ; -- Begin function _ZL58rocblas_symv_kernel_lower_double_buffered_diagonal_genericILi32ELi4E24rocblas_internal_val_ptrIfEPKPKfPKPfEvbiT1_lT2_lllSA_lllS9_lT3_lllii
	.p2align	8
	.type	_ZL58rocblas_symv_kernel_lower_double_buffered_diagonal_genericILi32ELi4E24rocblas_internal_val_ptrIfEPKPKfPKPfEvbiT1_lT2_lllSA_lllS9_lT3_lllii,@function
_ZL58rocblas_symv_kernel_lower_double_buffered_diagonal_genericILi32ELi4E24rocblas_internal_val_ptrIfEPKPKfPKPfEvbiT1_lT2_lllSA_lllS9_lT3_lllii: ; @_ZL58rocblas_symv_kernel_lower_double_buffered_diagonal_genericILi32ELi4E24rocblas_internal_val_ptrIfEPKPKfPKPfEvbiT1_lT2_lllSA_lllS9_lT3_lllii
; %bb.0:
	s_load_dword s0, s[4:5], 0x0
	s_load_dwordx8 s[8:15], s[4:5], 0x8
	s_load_dwordx2 s[20:21], s[4:5], 0x28
	s_mov_b32 s22, s7
	s_mov_b64 s[2:3], -1
	s_waitcnt lgkmcnt(0)
	s_bitcmp1_b32 s0, 0
	s_cselect_b64 s[0:1], -1, 0
	s_xor_b64 s[0:1], s[0:1], -1
	s_and_b64 vcc, exec, s[0:1]
                                        ; implicit-def: $sgpr26
	s_cbranch_vccnz .LBB145_7
; %bb.1:
	s_load_dwordx4 s[16:19], s[4:5], 0x58
	s_andn2_b64 vcc, exec, s[2:3]
	s_cbranch_vccz .LBB145_8
.LBB145_2:
	s_andn2_b64 vcc, exec, s[0:1]
	s_cbranch_vccnz .LBB145_4
.LBB145_3:
	s_waitcnt lgkmcnt(0)
	s_mul_i32 s0, s22, s19
	s_mul_hi_u32 s1, s22, s18
	s_add_i32 s1, s1, s0
	s_mul_i32 s0, s22, s18
	s_lshl_b64 s[0:1], s[0:1], 2
	s_add_u32 s0, s16, s0
	s_addc_u32 s1, s17, s1
	s_load_dword s16, s[0:1], 0x0
.LBB145_4:
	s_waitcnt lgkmcnt(0)
	v_cmp_eq_f32_e64 s[24:25], s26, 0
	v_cmp_eq_f32_e64 s[0:1], s16, 1.0
	s_and_b64 s[0:1], s[24:25], s[0:1]
	s_and_b64 vcc, exec, s[0:1]
	s_cbranch_vccnz .LBB145_81
; %bb.5:
	v_cmp_neq_f32_e64 s[10:11], s26, 0
	s_mov_b32 s23, 0
	s_and_b64 vcc, exec, s[10:11]
	s_cbranch_vccnz .LBB145_9
; %bb.6:
	s_mov_b64 s[18:19], 0
	s_load_dwordx2 s[8:9], s[4:5], 0x68
	s_cbranch_execz .LBB145_10
	s_branch .LBB145_11
.LBB145_7:
	s_mul_i32 s2, s22, s11
	s_mul_hi_u32 s3, s22, s10
	s_add_i32 s3, s3, s2
	s_mul_i32 s2, s22, s10
	s_lshl_b64 s[2:3], s[2:3], 2
	s_add_u32 s2, s8, s2
	s_addc_u32 s3, s9, s3
	s_load_dword s26, s[2:3], 0x0
	s_load_dwordx4 s[16:19], s[4:5], 0x58
	s_cbranch_execnz .LBB145_2
.LBB145_8:
	s_waitcnt lgkmcnt(0)
	s_mov_b32 s26, s8
	s_andn2_b64 vcc, exec, s[0:1]
	s_cbranch_vccz .LBB145_3
	s_branch .LBB145_4
.LBB145_9:
                                        ; implicit-def: $sgpr18_sgpr19
	s_load_dwordx2 s[8:9], s[4:5], 0x68
.LBB145_10:
	s_lshl_b64 s[0:1], s[22:23], 3
	s_add_u32 s0, s12, s0
	s_addc_u32 s1, s13, s1
	s_load_dwordx2 s[0:1], s[0:1], 0x0
	s_lshl_b64 s[2:3], s[14:15], 2
	s_waitcnt lgkmcnt(0)
	s_add_u32 s18, s0, s2
	s_addc_u32 s19, s1, s3
.LBB145_11:
	s_load_dwordx4 s[0:3], s[4:5], 0x38
	s_load_dwordx2 s[12:13], s[4:5], 0x48
	s_andn2_b64 vcc, exec, s[10:11]
	s_cbranch_vccnz .LBB145_13
; %bb.12:
	s_lshl_b64 s[10:11], s[22:23], 3
	s_waitcnt lgkmcnt(0)
	s_add_u32 s0, s0, s10
	s_addc_u32 s1, s1, s11
	s_load_dwordx2 s[0:1], s[0:1], 0x0
	s_lshl_b64 s[2:3], s[2:3], 2
	s_waitcnt lgkmcnt(0)
	s_add_u32 s2, s0, s2
	s_addc_u32 s3, s1, s3
	s_branch .LBB145_14
.LBB145_13:
	s_waitcnt lgkmcnt(0)
	s_mov_b64 s[2:3], 0
.LBB145_14:
	s_lshl_b64 s[0:1], s[22:23], 3
	s_add_u32 s0, s8, s0
	s_addc_u32 s1, s9, s1
	s_load_dwordx4 s[8:11], s[4:5], 0x70
	s_load_dwordx2 s[14:15], s[0:1], 0x0
	s_load_dword s17, s[4:5], 0x88
	v_bfe_u32 v5, v0, 10, 10
	v_and_b32_e32 v4, 0x3ff, v0
	s_waitcnt lgkmcnt(0)
	s_lshl_b64 s[0:1], s[8:9], 2
	s_add_u32 s7, s14, s0
	s_addc_u32 s8, s15, s1
	s_lshl_b32 s27, s6, 5
	s_ashr_i32 s28, s27, 31
	s_mul_i32 s0, s27, s11
	s_mul_hi_u32 s1, s27, s10
	s_add_i32 s0, s1, s0
	s_mul_i32 s1, s28, s10
	s_add_i32 s1, s0, s1
	s_mul_i32 s0, s27, s10
	s_lshl_b64 s[0:1], s[0:1], 2
	s_add_u32 s22, s7, s0
	s_addc_u32 s23, s8, s1
	s_mov_b64 s[8:9], -1
	s_andn2_b64 vcc, exec, s[24:25]
	v_cmp_eq_u32_e64 s[0:1], 0, v5
	s_cbranch_vccnz .LBB145_21
; %bb.15:
	s_and_saveexec_b64 s[8:9], s[0:1]
	s_cbranch_execz .LBB145_20
; %bb.16:
	v_cmp_gt_i32_e64 s[0:1], s17, v4
	v_cmp_le_i32_e32 vcc, s17, v4
	s_and_saveexec_b64 s[14:15], vcc
	s_cbranch_execz .LBB145_18
; %bb.17:
	s_load_dword s7, s[4:5], 0x90
	s_waitcnt lgkmcnt(0)
	s_add_i32 s7, s7, -1
	s_cmp_lt_u32 s6, s7
	s_cselect_b64 s[24:25], -1, 0
	s_andn2_b64 s[0:1], s[0:1], exec
	s_and_b64 s[24:25], s[24:25], exec
	s_or_b64 s[0:1], s[0:1], s[24:25]
.LBB145_18:
	s_or_b64 exec, exec, s[14:15]
	s_and_b64 exec, exec, s[0:1]
	s_cbranch_execz .LBB145_20
; %bb.19:
	v_mad_u64_u32 v[0:1], s[0:1], v4, s10, 0
	v_mov_b32_e32 v2, v1
	v_mad_u64_u32 v[2:3], s[0:1], v4, s11, v[2:3]
	v_mov_b32_e32 v1, v2
	v_lshlrev_b64 v[0:1], 2, v[0:1]
	v_mov_b32_e32 v2, s23
	v_add_co_u32_e32 v0, vcc, s22, v0
	v_addc_co_u32_e32 v1, vcc, v2, v1, vcc
	global_load_dword v2, v[0:1], off
	s_waitcnt vmcnt(0)
	v_mul_f32_e32 v2, s16, v2
	global_store_dword v[0:1], v2, off
.LBB145_20:
	s_or_b64 exec, exec, s[8:9]
	s_mov_b64 s[8:9], 0
.LBB145_21:
	s_andn2_b64 vcc, exec, s[8:9]
	s_cbranch_vccnz .LBB145_81
; %bb.22:
	s_mul_i32 s0, s27, s13
	s_mul_hi_u32 s1, s27, s12
	s_load_dword s4, s[4:5], 0x90
	s_add_i32 s0, s1, s0
	s_mul_i32 s1, s28, s12
	s_add_i32 s1, s0, s1
	s_mul_i32 s0, s27, s12
	s_lshl_b64 s[0:1], s[0:1], 2
	s_add_u32 s8, s2, s0
	s_addc_u32 s9, s3, s1
	s_waitcnt lgkmcnt(0)
	s_add_i32 s4, s4, -1
	s_cmp_lg_u32 s6, s4
	s_cselect_b64 s[4:5], -1, 0
	v_mov_b32_e32 v6, 0
	v_cmp_eq_u32_e64 s[0:1], 0, v5
	s_and_b64 vcc, exec, s[4:5]
	s_cbranch_vccz .LBB145_27
; %bb.23:
	s_and_saveexec_b64 s[2:3], s[0:1]
	s_cbranch_execz .LBB145_26
; %bb.24:
	v_mad_u64_u32 v[0:1], s[6:7], v4, s12, 0
	v_mov_b32_e32 v2, v1
	v_mad_u64_u32 v[2:3], s[6:7], v4, s13, v[2:3]
	v_mov_b32_e32 v1, v2
	v_lshlrev_b64 v[0:1], 2, v[0:1]
	v_mov_b32_e32 v2, s9
	v_add_co_u32_e32 v0, vcc, s8, v0
	v_addc_co_u32_e32 v1, vcc, v2, v1, vcc
	flat_load_dword v0, v[0:1]
	v_cmp_eq_f32_e64 s[6:7], s16, 0
	v_lshlrev_b32_e32 v1, 2, v4
	v_mov_b32_e32 v6, 0
	s_and_b64 vcc, exec, s[6:7]
	s_waitcnt vmcnt(0) lgkmcnt(0)
	ds_write_b32 v1, v0 offset:5120
	s_cbranch_vccnz .LBB145_26
; %bb.25:
	v_mad_u64_u32 v[0:1], s[6:7], v4, s10, 0
	v_mov_b32_e32 v2, v1
	v_mad_u64_u32 v[2:3], s[6:7], v4, s11, v[2:3]
	v_mov_b32_e32 v1, v2
	v_lshlrev_b64 v[0:1], 2, v[0:1]
	v_mov_b32_e32 v2, s23
	v_add_co_u32_e32 v0, vcc, s22, v0
	v_addc_co_u32_e32 v1, vcc, v2, v1, vcc
	global_load_dword v0, v[0:1], off
	s_waitcnt vmcnt(0)
	v_mul_f32_e32 v6, s16, v0
.LBB145_26:
	s_or_b64 exec, exec, s[2:3]
	s_cbranch_execz .LBB145_28
	s_branch .LBB145_36
.LBB145_27:
                                        ; implicit-def: $vgpr6
.LBB145_28:
	v_mov_b32_e32 v6, 0
	s_and_saveexec_b64 s[2:3], s[0:1]
	s_cbranch_execz .LBB145_35
; %bb.29:
	v_cmp_le_i32_e32 vcc, s17, v4
                                        ; implicit-def: $sgpr14
	s_and_saveexec_b64 s[6:7], vcc
	s_xor_b64 s[6:7], exec, s[6:7]
	s_cbranch_execz .LBB145_31
; %bb.30:
	v_lshlrev_b32_e32 v0, 2, v4
	v_mov_b32_e32 v1, 0
	ds_write_b32 v0, v1 offset:5120
	s_mov_b32 s14, 0
.LBB145_31:
	s_or_saveexec_b64 s[6:7], s[6:7]
	v_mov_b32_e32 v6, s14
	s_xor_b64 exec, exec, s[6:7]
	s_cbranch_execz .LBB145_34
; %bb.32:
	v_mad_u64_u32 v[0:1], s[14:15], v4, s12, 0
	v_mov_b32_e32 v2, v1
	v_mad_u64_u32 v[2:3], s[12:13], v4, s13, v[2:3]
	v_mov_b32_e32 v1, v2
	v_lshlrev_b64 v[0:1], 2, v[0:1]
	v_mov_b32_e32 v2, s9
	v_add_co_u32_e32 v0, vcc, s8, v0
	v_addc_co_u32_e32 v1, vcc, v2, v1, vcc
	flat_load_dword v0, v[0:1]
	v_cmp_eq_f32_e64 s[8:9], s16, 0
	v_lshlrev_b32_e32 v1, 2, v4
	v_mov_b32_e32 v6, 0
	s_and_b64 vcc, exec, s[8:9]
	s_waitcnt vmcnt(0) lgkmcnt(0)
	ds_write_b32 v1, v0 offset:5120
	s_cbranch_vccnz .LBB145_34
; %bb.33:
	v_mad_u64_u32 v[0:1], s[8:9], v4, s10, 0
	v_mov_b32_e32 v2, v1
	v_mad_u64_u32 v[2:3], s[8:9], v4, s11, v[2:3]
	v_mov_b32_e32 v1, v2
	v_lshlrev_b64 v[0:1], 2, v[0:1]
	v_mov_b32_e32 v2, s23
	v_add_co_u32_e32 v0, vcc, s22, v0
	v_addc_co_u32_e32 v1, vcc, v2, v1, vcc
	global_load_dword v0, v[0:1], off
	s_waitcnt vmcnt(0)
	v_mul_f32_e32 v6, s16, v0
.LBB145_34:
	s_or_b64 exec, exec, s[6:7]
.LBB145_35:
	s_or_b64 exec, exec, s[2:3]
.LBB145_36:
	s_add_u32 s2, s20, 1
	s_addc_u32 s3, s21, 0
	s_mul_i32 s6, s2, s28
	s_mul_hi_u32 s7, s2, s27
	s_add_i32 s6, s7, s6
	s_mul_i32 s3, s3, s27
	s_add_i32 s3, s6, s3
	s_mul_i32 s2, s2, s27
	s_lshl_b64 s[8:9], s[2:3], 2
	v_mad_u64_u32 v[0:1], s[2:3], v5, s20, 0
	v_mov_b32_e32 v2, v1
	v_mad_u64_u32 v[2:3], s[2:3], v5, s21, v[2:3]
	s_add_u32 s6, s18, s8
	v_mov_b32_e32 v1, v2
	s_addc_u32 s7, s19, s9
	v_lshlrev_b64 v[0:1], 2, v[0:1]
	v_mov_b32_e32 v2, s7
	v_add_co_u32_e32 v0, vcc, s6, v0
	v_addc_co_u32_e32 v1, vcc, v2, v1, vcc
	v_lshlrev_b32_e32 v7, 2, v4
	v_add_co_u32_e32 v0, vcc, v0, v7
	v_addc_co_u32_e32 v1, vcc, 0, v1, vcc
	v_lshl_add_u32 v9, v5, 5, v4
	s_andn2_b64 vcc, exec, s[4:5]
	v_lshlrev_b32_e32 v8, 2, v9
	s_cbranch_vccnz .LBB145_38
; %bb.37:
	flat_load_dword v10, v[0:1]
	s_lshl_b64 s[2:3], s[20:21], 4
	v_mov_b32_e32 v11, s3
	v_add_co_u32_e32 v2, vcc, s2, v0
	v_addc_co_u32_e32 v3, vcc, v1, v11, vcc
	s_mul_i32 s6, s21, 0x50
	s_mul_i32 s12, s21, 0x70
	s_waitcnt vmcnt(0) lgkmcnt(0)
	ds_write_b32 v8, v10
	flat_load_dword v10, v[2:3]
	v_add_co_u32_e32 v2, vcc, s2, v2
	v_addc_co_u32_e32 v3, vcc, v3, v11, vcc
	s_waitcnt vmcnt(0) lgkmcnt(0)
	ds_write_b32 v8, v10 offset:512
	flat_load_dword v14, v[2:3]
	v_mad_u64_u32 v[10:11], s[2:3], s20, 48, v[0:1]
	v_mov_b32_e32 v12, v11
	v_mad_u64_u32 v[12:13], s[2:3], s21, 48, v[12:13]
	v_mov_b32_e32 v11, v12
	s_lshl_b64 s[2:3], s[20:21], 5
	v_add_co_u32_e32 v2, vcc, s2, v2
	s_waitcnt vmcnt(0) lgkmcnt(0)
	ds_write_b32 v8, v14 offset:1024
	flat_load_dword v10, v[10:11]
	v_mov_b32_e32 v11, s3
	v_addc_co_u32_e32 v3, vcc, v3, v11, vcc
	s_waitcnt vmcnt(0) lgkmcnt(0)
	ds_write_b32 v8, v10 offset:1536
	flat_load_dword v10, v[2:3]
	v_mov_b32_e32 v2, 0x50
	v_mad_u64_u32 v[2:3], s[2:3], s20, v2, v[0:1]
	v_add_u32_e32 v3, s6, v3
	s_mul_i32 s6, s21, 0x60
	s_waitcnt vmcnt(0) lgkmcnt(0)
	ds_write_b32 v8, v10 offset:2048
	flat_load_dword v10, v[2:3]
	v_mov_b32_e32 v2, 0x60
	v_mad_u64_u32 v[2:3], s[2:3], s20, v2, v[0:1]
	v_add_u32_e32 v3, s6, v3
	s_waitcnt vmcnt(0) lgkmcnt(0)
	ds_write_b32 v8, v10 offset:2560
	flat_load_dword v11, v[2:3]
	v_mov_b32_e32 v2, 0x70
	v_mad_u64_u32 v[2:3], s[6:7], s20, v2, v[0:1]
	v_add_u32_e32 v10, 0x380, v9
	v_add_u32_e32 v3, s12, v3
	s_mov_b64 s[6:7], -1
	s_waitcnt vmcnt(0) lgkmcnt(0)
	ds_write_b32 v8, v11 offset:3072
	s_cbranch_execz .LBB145_39
	s_branch .LBB145_57
.LBB145_38:
	s_mov_b64 s[6:7], 0
                                        ; implicit-def: $vgpr2_vgpr3
                                        ; implicit-def: $vgpr10
.LBB145_39:
	v_mov_b32_e32 v2, 0
	v_cmp_gt_i32_e32 vcc, s17, v4
	ds_write2st64_b32 v8, v2, v2 offset1:2
	ds_write2st64_b32 v8, v2, v2 offset0:4 offset1:6
	ds_write2st64_b32 v8, v2, v2 offset0:8 offset1:10
	;; [unrolled: 1-line block ×3, first 2 shown]
                                        ; implicit-def: $vgpr2_vgpr3
                                        ; implicit-def: $vgpr10
	s_and_saveexec_b64 s[12:13], vcc
	s_cbranch_execz .LBB145_56
; %bb.40:
	s_cmp_lt_u32 s17, 4
	s_mov_b32 s24, 0
	s_cbranch_scc1 .LBB145_53
; %bb.41:
	s_lshr_b32 s24, s17, 2
	s_cmp_lt_u32 s17, 8
	s_cbranch_scc1 .LBB145_45
; %bb.42:
	s_add_i32 s25, s24, -2
	s_cmp_lt_u32 s25, 2
	s_cbranch_scc1 .LBB145_46
; %bb.43:
	s_lshr_b32 s2, s25, 1
	s_add_i32 s2, s2, 1
	s_mov_b32 s14, 1
	s_and_b32 s27, s2, -2
	s_mov_b32 s15, 0
.LBB145_44:                             ; =>This Inner Loop Header: Depth=1
	s_lshl_b32 s3, s15, 2
	s_lshl_b32 s2, s14, 2
	s_mul_i32 s29, s21, s2
	s_mul_hi_u32 s30, s20, s2
	s_mul_i32 s31, s21, s3
	s_mul_hi_u32 s33, s20, s3
	s_mul_i32 s2, s20, s2
	s_mul_i32 s28, s20, s3
	s_add_i32 s3, s30, s29
	s_add_i32 s29, s33, s31
	s_lshl_b64 s[28:29], s[28:29], 2
	s_lshl_b64 s[2:3], s[2:3], 2
	v_mov_b32_e32 v3, s29
	v_mov_b32_e32 v12, s3
	v_add_co_u32_e32 v2, vcc, s2, v0
	v_add_co_u32_e64 v10, s[2:3], s28, v0
	v_addc_co_u32_e64 v11, s[2:3], v1, v3, s[2:3]
	v_addc_co_u32_e32 v3, vcc, v1, v12, vcc
	flat_load_dword v12, v[10:11]
	flat_load_dword v13, v[2:3]
	s_lshl_b32 s2, s14, 7
	s_lshl_b32 s3, s15, 7
	s_add_i32 s30, s14, 2
	s_add_i32 s31, s15, 2
	v_add_lshl_u32 v14, s3, v9, 2
	v_add_lshl_u32 v15, s2, v9, 2
	s_lshl_b32 s3, s31, 2
	s_lshl_b32 s2, s30, 2
	s_mul_i32 s29, s21, s2
	s_mul_hi_u32 s33, s20, s2
	s_mul_i32 s34, s21, s3
	s_mul_hi_u32 s35, s20, s3
	s_mul_i32 s2, s20, s2
	s_mul_i32 s28, s20, s3
	s_add_i32 s3, s33, s29
	s_add_i32 s29, s35, s34
	s_lshl_b64 s[28:29], s[28:29], 2
	s_lshl_b64 s[2:3], s[2:3], 2
	v_mov_b32_e32 v3, s29
	v_mov_b32_e32 v16, s3
	v_add_co_u32_e32 v2, vcc, s2, v0
	v_add_co_u32_e64 v10, s[2:3], s28, v0
	v_addc_co_u32_e64 v11, s[2:3], v1, v3, s[2:3]
	v_addc_co_u32_e32 v3, vcc, v1, v16, vcc
	s_add_i32 s15, s15, 4
	s_add_i32 s14, s14, 4
	s_add_i32 s27, s27, -2
	s_lshl_b32 s2, s30, 7
	s_lshl_b32 s3, s31, 7
	s_cmp_lg_u32 s27, 0
	s_waitcnt vmcnt(0) lgkmcnt(0)
	ds_write_b32 v14, v12
	ds_write_b32 v15, v13
	flat_load_dword v12, v[10:11]
	flat_load_dword v13, v[2:3]
	v_add_lshl_u32 v2, s3, v9, 2
	v_add_lshl_u32 v3, s2, v9, 2
	s_waitcnt vmcnt(0) lgkmcnt(0)
	ds_write_b32 v2, v12
	ds_write_b32 v3, v13
	s_cbranch_scc1 .LBB145_44
	s_branch .LBB145_47
.LBB145_45:
	s_mov_b64 s[14:15], -1
	s_mov_b32 s2, 0
	s_branch .LBB145_50
.LBB145_46:
	s_mov_b32 s15, 0
	s_mov_b32 s14, 1
.LBB145_47:
	s_bitcmp1_b32 s25, 1
	s_cbranch_scc1 .LBB145_49
; %bb.48:
	s_lshl_b32 s2, s14, 2
	s_lshl_b32 s25, s15, 2
	s_mul_i32 s3, s21, s2
	s_mul_hi_u32 s27, s20, s2
	s_add_i32 s3, s27, s3
	s_mul_i32 s27, s21, s25
	s_mul_hi_u32 s28, s20, s25
	s_add_i32 s29, s28, s27
	s_mul_i32 s28, s20, s25
	s_lshl_b64 s[28:29], s[28:29], 2
	s_mul_i32 s2, s20, s2
	v_mov_b32_e32 v3, s29
	v_add_co_u32_e32 v2, vcc, s28, v0
	v_addc_co_u32_e32 v3, vcc, v1, v3, vcc
	s_lshl_b64 s[2:3], s[2:3], 2
	v_mov_b32_e32 v11, s3
	v_add_co_u32_e32 v10, vcc, s2, v0
	v_addc_co_u32_e32 v11, vcc, v1, v11, vcc
	flat_load_dword v12, v[2:3]
	flat_load_dword v13, v[10:11]
	s_lshl_b32 s3, s15, 7
	s_lshl_b32 s2, s14, 7
	v_add_lshl_u32 v2, s3, v9, 2
	v_add_lshl_u32 v3, s2, v9, 2
	s_waitcnt vmcnt(0) lgkmcnt(0)
	ds_write_b32 v2, v12
	ds_write_b32 v3, v13
.LBB145_49:
	s_and_b32 s2, s24, 0x3ffffffe
	s_cmp_lg_u32 s24, s2
	s_cselect_b64 s[14:15], -1, 0
.LBB145_50:
	s_and_b64 vcc, exec, s[14:15]
	s_cbranch_vccz .LBB145_53
; %bb.51:
	s_lshl_b32 s3, s2, 9
	v_lshlrev_b32_e32 v2, 7, v5
	v_add3_u32 v10, s3, v2, v7
	s_mov_b32 s3, 0
	s_sub_i32 s14, s24, s2
	s_lshl_b64 s[2:3], s[2:3], 4
	v_lshlrev_b32_e32 v2, 2, v5
	v_mov_b32_e32 v3, s3
	v_add_co_u32_e32 v11, vcc, s2, v2
	v_addc_co_u32_e32 v2, vcc, 0, v3, vcc
	v_mul_lo_u32 v12, s20, v2
	v_pk_mov_b32 v[2:3], s[8:9], s[8:9] op_sel:[0,1]
	v_mul_lo_u32 v13, s21, v11
	v_mad_u64_u32 v[2:3], s[2:3], s20, v11, v[2:3]
	v_add3_u32 v3, v13, v3, v12
	v_add_co_u32_e32 v2, vcc, v2, v7
	v_addc_co_u32_e32 v3, vcc, 0, v3, vcc
	v_mov_b32_e32 v11, s19
	v_add_co_u32_e32 v2, vcc, s18, v2
	s_lshl_b64 s[2:3], s[20:21], 4
	v_addc_co_u32_e32 v3, vcc, v11, v3, vcc
	v_mov_b32_e32 v11, s3
.LBB145_52:                             ; =>This Inner Loop Header: Depth=1
	flat_load_dword v12, v[2:3]
	s_add_i32 s14, s14, -1
	v_add_co_u32_e32 v2, vcc, s2, v2
	v_addc_co_u32_e32 v3, vcc, v3, v11, vcc
	s_cmp_lg_u32 s14, 0
	s_waitcnt vmcnt(0) lgkmcnt(0)
	ds_write_b32 v10, v12
	v_add_u32_e32 v10, 0x200, v10
	s_cbranch_scc1 .LBB145_52
.LBB145_53:
	s_and_b32 s2, s17, 3
	v_cmp_gt_u32_e32 vcc, s2, v5
	s_mov_b64 s[8:9], s[6:7]
                                        ; implicit-def: $vgpr2_vgpr3
                                        ; implicit-def: $vgpr10
	s_and_saveexec_b64 s[2:3], vcc
; %bb.54:
	s_lshl_b32 s8, s24, 2
	s_mul_i32 s9, s8, s21
	s_mul_hi_u32 s14, s8, s20
	s_add_i32 s9, s14, s9
	s_mul_i32 s8, s8, s20
	s_lshl_b64 s[8:9], s[8:9], 2
	v_mov_b32_e32 v3, s9
	v_add_co_u32_e32 v2, vcc, s8, v0
	v_addc_co_u32_e32 v3, vcc, v1, v3, vcc
	v_lshl_add_u32 v10, s24, 7, v9
	s_or_b64 s[8:9], s[6:7], exec
; %bb.55:
	s_or_b64 exec, exec, s[2:3]
	s_andn2_b64 s[2:3], s[6:7], exec
	s_and_b64 s[6:7], s[8:9], exec
	s_or_b64 s[6:7], s[2:3], s[6:7]
.LBB145_56:
	s_or_b64 exec, exec, s[12:13]
.LBB145_57:
	s_and_saveexec_b64 s[2:3], s[6:7]
	s_cbranch_execz .LBB145_59
; %bb.58:
	flat_load_dword v0, v[2:3]
	v_lshlrev_b32_e32 v1, 2, v10
	s_waitcnt vmcnt(0) lgkmcnt(0)
	ds_write_b32 v1, v0
.LBB145_59:
	s_or_b64 exec, exec, s[2:3]
	v_cmp_ge_u32_e32 vcc, v4, v5
	v_lshlrev_b32_e32 v1, 5, v4
	s_waitcnt lgkmcnt(0)
	s_barrier
	s_and_saveexec_b64 s[2:3], vcc
	s_xor_b64 s[2:3], exec, s[2:3]
; %bb.60:
	v_lshlrev_b32_e32 v1, 5, v4
; %bb.61:
	s_andn2_saveexec_b64 s[2:3], s[2:3]
	s_cbranch_execz .LBB145_63
; %bb.62:
	v_add_lshl_u32 v0, v1, v5, 2
	ds_read_b32 v0, v0
	s_waitcnt lgkmcnt(0)
	ds_write_b32 v8, v0
.LBB145_63:
	s_or_b64 exec, exec, s[2:3]
	v_sub_u32_e32 v0, v4, v5
	v_sub_u32_e32 v2, 0, v0
	v_max_i32_e32 v3, v0, v2
	v_cmp_gt_u32_e32 vcc, 4, v3
	v_lshlrev_b32_e32 v0, 5, v5
	v_add_lshl_u32 v2, v1, v5, 2
	s_and_saveexec_b64 s[2:3], vcc
	s_cbranch_execnz .LBB145_82
; %bb.64:
	s_or_b64 exec, exec, s[2:3]
	v_cmp_gt_u32_e32 vcc, 8, v3
	s_and_saveexec_b64 s[2:3], vcc
	s_cbranch_execnz .LBB145_83
.LBB145_65:
	s_or_b64 exec, exec, s[2:3]
	v_cmp_gt_u32_e32 vcc, 12, v3
	s_and_saveexec_b64 s[2:3], vcc
	s_cbranch_execz .LBB145_67
.LBB145_66:
	ds_read_b32 v1, v2 offset:48
	v_add_lshl_u32 v9, v0, v4, 2
	s_waitcnt lgkmcnt(0)
	ds_write_b32 v9, v1 offset:1536
.LBB145_67:
	s_or_b64 exec, exec, s[2:3]
	v_add_u32_e32 v1, 16, v5
	v_cmp_gt_u32_e32 vcc, 16, v3
	v_lshlrev_b32_e32 v1, 5, v1
	s_and_saveexec_b64 s[2:3], vcc
	s_cbranch_execnz .LBB145_84
; %bb.68:
	s_or_b64 exec, exec, s[2:3]
	v_cmp_gt_u32_e32 vcc, 20, v3
	s_and_saveexec_b64 s[2:3], vcc
	s_cbranch_execnz .LBB145_85
.LBB145_69:
	s_or_b64 exec, exec, s[2:3]
	v_cmp_gt_u32_e32 vcc, 24, v3
	s_and_saveexec_b64 s[2:3], vcc
	s_cbranch_execz .LBB145_71
.LBB145_70:
	ds_read_b32 v9, v2 offset:96
	s_waitcnt lgkmcnt(0)
	ds_write_b32 v8, v9 offset:3072
.LBB145_71:
	s_or_b64 exec, exec, s[2:3]
	v_cmp_lt_u32_e32 vcc, 27, v3
	v_add_u32_e32 v3, 28, v5
                                        ; implicit-def: $vgpr9
	s_and_saveexec_b64 s[2:3], vcc
	s_xor_b64 s[2:3], exec, s[2:3]
; %bb.72:
	v_add_u32_e32 v3, 28, v5
	v_lshl_add_u32 v9, v3, 5, v4
                                        ; implicit-def: $vgpr2
; %bb.73:
	s_andn2_saveexec_b64 s[2:3], s[2:3]
	s_cbranch_execz .LBB145_75
; %bb.74:
	ds_read_b32 v2, v2 offset:112
	v_lshl_add_u32 v9, v3, 5, v4
	v_lshlrev_b32_e32 v10, 2, v9
	s_waitcnt lgkmcnt(0)
	ds_write_b32 v10, v2
.LBB145_75:
	s_or_b64 exec, exec, s[2:3]
	v_lshlrev_b32_e32 v5, 2, v5
	s_waitcnt lgkmcnt(0)
	s_barrier
	ds_read_b32 v2, v8
	v_add_u32_e32 v16, 0x1400, v5
	ds_read2_b32 v[10:11], v16 offset1:4
	ds_read2_b32 v[12:13], v16 offset0:8 offset1:12
	v_add_lshl_u32 v17, v0, v4, 2
	ds_read2st64_b32 v[14:15], v17 offset0:2 offset1:4
	v_lshlrev_b32_e32 v0, 2, v9
	ds_read_b32 v9, v0
	v_lshlrev_b32_e32 v0, 2, v3
	s_waitcnt lgkmcnt(3)
	v_fma_f32 v10, v2, v10, 0
	ds_read2st64_b32 v[2:3], v17 offset0:6 offset1:10
	s_waitcnt lgkmcnt(2)
	v_fmac_f32_e32 v10, v14, v11
	v_add_lshl_u32 v11, v1, v4, 2
	ds_read_b32 v18, v0 offset:5120
	ds_read2_b32 v[0:1], v16 offset0:16 offset1:20
	ds_read_b32 v11, v11
	ds_read_b32 v14, v17 offset:3072
	ds_read_b32 v5, v5 offset:5216
	v_fmac_f32_e32 v10, v15, v12
	s_waitcnt lgkmcnt(5)
	v_fmac_f32_e32 v10, v2, v13
	s_waitcnt lgkmcnt(2)
	v_fmac_f32_e32 v10, v11, v0
	v_fmac_f32_e32 v10, v3, v1
	s_waitcnt lgkmcnt(0)
	v_fmac_f32_e32 v10, v14, v5
	v_fmac_f32_e32 v10, v9, v18
	ds_write_b32 v8, v10 offset:4096
	s_waitcnt lgkmcnt(0)
	s_barrier
	s_and_saveexec_b64 s[2:3], s[0:1]
	s_cbranch_execz .LBB145_81
; %bb.76:
	v_add_u32_e32 v2, 0x1000, v7
	ds_read2_b32 v[0:1], v2 offset1:32
	ds_read2_b32 v[2:3], v2 offset0:64 offset1:96
	v_cmp_neq_f32_e64 vcc, s16, 0
	s_mov_b64 s[0:1], -1
	s_waitcnt lgkmcnt(1)
	v_add_f32_e32 v0, 0, v0
	v_add_f32_e32 v0, v0, v1
	s_waitcnt lgkmcnt(0)
	v_add_f32_e32 v0, v0, v2
	v_add_f32_e32 v0, v0, v3
	v_mul_f32_e32 v1, s26, v0
	v_fmac_f32_e32 v6, s26, v0
	v_cndmask_b32_e32 v0, v1, v6, vcc
	s_and_b64 vcc, exec, s[4:5]
	s_cbranch_vccz .LBB145_78
; %bb.77:
	v_mad_u64_u32 v[2:3], s[0:1], v4, s10, 0
	v_mov_b32_e32 v6, v3
	v_mad_u64_u32 v[6:7], s[0:1], v4, s11, v[6:7]
	v_mov_b32_e32 v3, v6
	v_lshlrev_b64 v[2:3], 2, v[2:3]
	v_mov_b32_e32 v1, s23
	v_add_co_u32_e32 v2, vcc, s22, v2
	v_addc_co_u32_e32 v3, vcc, v1, v3, vcc
	global_store_dword v[2:3], v0, off
	s_mov_b64 s[0:1], 0
.LBB145_78:
	s_andn2_b64 vcc, exec, s[0:1]
	s_cbranch_vccnz .LBB145_81
; %bb.79:
	v_cmp_gt_i32_e32 vcc, s17, v4
	s_and_b64 exec, exec, vcc
	s_cbranch_execz .LBB145_81
; %bb.80:
	v_mad_u64_u32 v[2:3], s[0:1], v4, s10, 0
	v_mov_b32_e32 v6, v3
	v_mad_u64_u32 v[4:5], s[0:1], v4, s11, v[6:7]
	v_mov_b32_e32 v3, v4
	v_lshlrev_b64 v[2:3], 2, v[2:3]
	v_mov_b32_e32 v1, s23
	v_add_co_u32_e32 v2, vcc, s22, v2
	v_addc_co_u32_e32 v3, vcc, v1, v3, vcc
	global_store_dword v[2:3], v0, off
.LBB145_81:
	s_endpgm
.LBB145_82:
	ds_read_b32 v1, v2 offset:16
	v_add_lshl_u32 v9, v0, v4, 2
	s_waitcnt lgkmcnt(0)
	ds_write_b32 v9, v1 offset:512
	s_or_b64 exec, exec, s[2:3]
	v_cmp_gt_u32_e32 vcc, 8, v3
	s_and_saveexec_b64 s[2:3], vcc
	s_cbranch_execz .LBB145_65
.LBB145_83:
	ds_read_b32 v1, v2 offset:32
	v_add_lshl_u32 v9, v0, v4, 2
	s_waitcnt lgkmcnt(0)
	ds_write_b32 v9, v1 offset:1024
	s_or_b64 exec, exec, s[2:3]
	v_cmp_gt_u32_e32 vcc, 12, v3
	s_and_saveexec_b64 s[2:3], vcc
	s_cbranch_execnz .LBB145_66
	s_branch .LBB145_67
.LBB145_84:
	ds_read_b32 v9, v2 offset:64
	v_add_lshl_u32 v10, v1, v4, 2
	s_waitcnt lgkmcnt(0)
	ds_write_b32 v10, v9
	s_or_b64 exec, exec, s[2:3]
	v_cmp_gt_u32_e32 vcc, 20, v3
	s_and_saveexec_b64 s[2:3], vcc
	s_cbranch_execz .LBB145_69
.LBB145_85:
	ds_read_b32 v9, v2 offset:80
	s_waitcnt lgkmcnt(0)
	ds_write_b32 v8, v9 offset:2560
	s_or_b64 exec, exec, s[2:3]
	v_cmp_gt_u32_e32 vcc, 24, v3
	s_and_saveexec_b64 s[2:3], vcc
	s_cbranch_execnz .LBB145_70
	s_branch .LBB145_71
	.section	.rodata,"a",@progbits
	.p2align	6, 0x0
	.amdhsa_kernel _ZL58rocblas_symv_kernel_lower_double_buffered_diagonal_genericILi32ELi4E24rocblas_internal_val_ptrIfEPKPKfPKPfEvbiT1_lT2_lllSA_lllS9_lT3_lllii
		.amdhsa_group_segment_fixed_size 5248
		.amdhsa_private_segment_fixed_size 0
		.amdhsa_kernarg_size 400
		.amdhsa_user_sgpr_count 6
		.amdhsa_user_sgpr_private_segment_buffer 1
		.amdhsa_user_sgpr_dispatch_ptr 0
		.amdhsa_user_sgpr_queue_ptr 0
		.amdhsa_user_sgpr_kernarg_segment_ptr 1
		.amdhsa_user_sgpr_dispatch_id 0
		.amdhsa_user_sgpr_flat_scratch_init 0
		.amdhsa_user_sgpr_kernarg_preload_length 0
		.amdhsa_user_sgpr_kernarg_preload_offset 0
		.amdhsa_user_sgpr_private_segment_size 0
		.amdhsa_uses_dynamic_stack 0
		.amdhsa_system_sgpr_private_segment_wavefront_offset 0
		.amdhsa_system_sgpr_workgroup_id_x 1
		.amdhsa_system_sgpr_workgroup_id_y 0
		.amdhsa_system_sgpr_workgroup_id_z 1
		.amdhsa_system_sgpr_workgroup_info 0
		.amdhsa_system_vgpr_workitem_id 1
		.amdhsa_next_free_vgpr 19
		.amdhsa_next_free_sgpr 36
		.amdhsa_accum_offset 20
		.amdhsa_reserve_vcc 1
		.amdhsa_reserve_flat_scratch 0
		.amdhsa_float_round_mode_32 0
		.amdhsa_float_round_mode_16_64 0
		.amdhsa_float_denorm_mode_32 3
		.amdhsa_float_denorm_mode_16_64 3
		.amdhsa_dx10_clamp 1
		.amdhsa_ieee_mode 1
		.amdhsa_fp16_overflow 0
		.amdhsa_tg_split 0
		.amdhsa_exception_fp_ieee_invalid_op 0
		.amdhsa_exception_fp_denorm_src 0
		.amdhsa_exception_fp_ieee_div_zero 0
		.amdhsa_exception_fp_ieee_overflow 0
		.amdhsa_exception_fp_ieee_underflow 0
		.amdhsa_exception_fp_ieee_inexact 0
		.amdhsa_exception_int_div_zero 0
	.end_amdhsa_kernel
	.section	.text._ZL58rocblas_symv_kernel_lower_double_buffered_diagonal_genericILi32ELi4E24rocblas_internal_val_ptrIfEPKPKfPKPfEvbiT1_lT2_lllSA_lllS9_lT3_lllii,"axG",@progbits,_ZL58rocblas_symv_kernel_lower_double_buffered_diagonal_genericILi32ELi4E24rocblas_internal_val_ptrIfEPKPKfPKPfEvbiT1_lT2_lllSA_lllS9_lT3_lllii,comdat
.Lfunc_end145:
	.size	_ZL58rocblas_symv_kernel_lower_double_buffered_diagonal_genericILi32ELi4E24rocblas_internal_val_ptrIfEPKPKfPKPfEvbiT1_lT2_lllSA_lllS9_lT3_lllii, .Lfunc_end145-_ZL58rocblas_symv_kernel_lower_double_buffered_diagonal_genericILi32ELi4E24rocblas_internal_val_ptrIfEPKPKfPKPfEvbiT1_lT2_lllSA_lllS9_lT3_lllii
                                        ; -- End function
	.section	.AMDGPU.csdata,"",@progbits
; Kernel info:
; codeLenInByte = 3368
; NumSgprs: 40
; NumVgprs: 19
; NumAgprs: 0
; TotalNumVgprs: 19
; ScratchSize: 0
; MemoryBound: 0
; FloatMode: 240
; IeeeMode: 1
; LDSByteSize: 5248 bytes/workgroup (compile time only)
; SGPRBlocks: 4
; VGPRBlocks: 2
; NumSGPRsForWavesPerEU: 40
; NumVGPRsForWavesPerEU: 19
; AccumOffset: 20
; Occupancy: 6
; WaveLimiterHint : 1
; COMPUTE_PGM_RSRC2:SCRATCH_EN: 0
; COMPUTE_PGM_RSRC2:USER_SGPR: 6
; COMPUTE_PGM_RSRC2:TRAP_HANDLER: 0
; COMPUTE_PGM_RSRC2:TGID_X_EN: 1
; COMPUTE_PGM_RSRC2:TGID_Y_EN: 0
; COMPUTE_PGM_RSRC2:TGID_Z_EN: 1
; COMPUTE_PGM_RSRC2:TIDIG_COMP_CNT: 1
; COMPUTE_PGM_RSRC3_GFX90A:ACCUM_OFFSET: 4
; COMPUTE_PGM_RSRC3_GFX90A:TG_SPLIT: 0
	.section	.text._ZL62rocblas_symv_kernel_lower_double_buffered_non_diagonal_genericILi32ELi4ELi4E24rocblas_internal_val_ptrIfEPKPKfPKPfEvbiT2_lT3_lllSA_lllT4_lllii,"axG",@progbits,_ZL62rocblas_symv_kernel_lower_double_buffered_non_diagonal_genericILi32ELi4ELi4E24rocblas_internal_val_ptrIfEPKPKfPKPfEvbiT2_lT3_lllSA_lllT4_lllii,comdat
	.globl	_ZL62rocblas_symv_kernel_lower_double_buffered_non_diagonal_genericILi32ELi4ELi4E24rocblas_internal_val_ptrIfEPKPKfPKPfEvbiT2_lT3_lllSA_lllT4_lllii ; -- Begin function _ZL62rocblas_symv_kernel_lower_double_buffered_non_diagonal_genericILi32ELi4ELi4E24rocblas_internal_val_ptrIfEPKPKfPKPfEvbiT2_lT3_lllSA_lllT4_lllii
	.p2align	8
	.type	_ZL62rocblas_symv_kernel_lower_double_buffered_non_diagonal_genericILi32ELi4ELi4E24rocblas_internal_val_ptrIfEPKPKfPKPfEvbiT2_lT3_lllSA_lllT4_lllii,@function
_ZL62rocblas_symv_kernel_lower_double_buffered_non_diagonal_genericILi32ELi4ELi4E24rocblas_internal_val_ptrIfEPKPKfPKPfEvbiT2_lT3_lllSA_lllT4_lllii: ; @_ZL62rocblas_symv_kernel_lower_double_buffered_non_diagonal_genericILi32ELi4ELi4E24rocblas_internal_val_ptrIfEPKPKfPKPfEvbiT2_lT3_lllSA_lllT4_lllii
; %bb.0:
	s_load_dword s0, s[4:5], 0x0
	s_load_dwordx8 s[12:19], s[4:5], 0x8
	s_load_dwordx2 s[2:3], s[4:5], 0x28
	s_waitcnt lgkmcnt(0)
	s_bitcmp0_b32 s0, 0
	s_cbranch_scc0 .LBB146_2
; %bb.1:
	s_mul_i32 s0, s8, s15
	s_mul_hi_u32 s1, s8, s14
	s_add_i32 s1, s1, s0
	s_mul_i32 s0, s8, s14
	s_lshl_b64 s[0:1], s[0:1], 2
	s_add_u32 s0, s12, s0
	s_addc_u32 s1, s13, s1
	s_load_dword s24, s[0:1], 0x0
	s_cbranch_execz .LBB146_3
	s_branch .LBB146_4
.LBB146_2:
                                        ; implicit-def: $sgpr24
.LBB146_3:
	s_waitcnt lgkmcnt(0)
	s_mov_b32 s24, s12
.LBB146_4:
	s_waitcnt lgkmcnt(0)
	v_cmp_eq_f32_e64 s[0:1], s24, 0
	s_and_b64 vcc, exec, s[0:1]
	s_cbranch_vccnz .LBB146_37
; %bb.5:
	s_load_dwordx2 s[10:11], s[4:5], 0x80
	s_waitcnt lgkmcnt(0)
	v_cvt_f32_u32_e32 v1, s11
	s_add_i32 s20, s10, -1
	s_cmp_eq_u32 s6, s20
	v_rcp_iflag_f32_e32 v1, v1
	v_mul_f32_e32 v1, 0x4f7ffffe, v1
	v_cvt_u32_f32_e32 v1, v1
	v_readfirstlane_b32 s0, v1
	s_cbranch_scc1 .LBB146_37
; %bb.6:
	s_not_b32 s1, s6
	s_add_i32 s20, s20, s1
	s_sub_i32 s1, 0, s11
	s_mul_i32 s1, s1, s0
	s_mul_hi_u32 s1, s0, s1
	s_add_i32 s0, s0, s1
	s_load_dwordx4 s[28:31], s[4:5], 0x38
	s_load_dwordx2 s[12:13], s[4:5], 0x48
	s_mov_b32 s9, 0
	s_mul_hi_u32 s21, s20, s0
	s_lshl_b64 s[0:1], s[8:9], 3
	s_add_u32 s8, s16, s0
	s_addc_u32 s9, s17, s1
	s_load_dwordx2 s[14:15], s[4:5], 0x58
	s_waitcnt lgkmcnt(0)
	s_add_u32 s16, s28, s0
	s_addc_u32 s17, s29, s1
	s_load_dwordx2 s[22:23], s[16:17], 0x0
	v_and_b32_e32 v22, 0x3ff, v0
	s_add_u32 s16, s14, s0
	s_addc_u32 s17, s15, s1
	s_lshl_b64 s[0:1], s[30:31], 2
	s_waitcnt lgkmcnt(0)
	s_add_u32 s14, s22, s0
	s_addc_u32 s15, s23, s1
	s_lshl_b32 s25, s6, 5
	s_ashr_i32 s26, s25, 31
	s_mul_i32 s0, s25, s13
	s_mul_hi_u32 s1, s25, s12
	s_add_i32 s0, s1, s0
	s_mul_i32 s1, s26, s12
	s_add_i32 s1, s0, s1
	s_mul_i32 s0, s25, s12
	s_lshl_b64 s[0:1], s[0:1], 2
	v_bfe_u32 v0, v0, 10, 10
	s_add_u32 s30, s14, s0
	s_addc_u32 s31, s15, s1
	v_cmp_eq_u32_e64 s[0:1], 0, v0
	s_and_saveexec_b64 s[14:15], s[0:1]
	s_cbranch_execz .LBB146_8
; %bb.7:
	v_mad_u64_u32 v[2:3], s[22:23], v22, s12, 0
	v_mov_b32_e32 v4, v3
	v_mad_u64_u32 v[4:5], s[22:23], v22, s13, v[4:5]
	v_mov_b32_e32 v3, v4
	v_lshlrev_b64 v[2:3], 2, v[2:3]
	v_mov_b32_e32 v1, s31
	v_add_co_u32_e32 v2, vcc, s30, v2
	v_addc_co_u32_e32 v3, vcc, v1, v3, vcc
	global_load_dword v1, v[2:3], off
	v_lshlrev_b32_e32 v2, 2, v22
	s_waitcnt vmcnt(0)
	ds_write_b32 v2, v1 offset:3072
.LBB146_8:
	s_or_b64 exec, exec, s[14:15]
	s_mul_i32 s14, s21, s11
	s_sub_i32 s14, s20, s14
	s_add_i32 s15, s21, 1
	s_sub_i32 s22, s14, s11
	s_cmp_ge_u32 s14, s11
	s_cselect_b32 s15, s15, s21
	s_cselect_b32 s14, s22, s14
	s_add_i32 s21, s15, 1
	s_cmp_ge_u32 s14, s11
	s_cselect_b32 s21, s21, s15
	s_add_i32 s22, s11, -1
	s_cmp_eq_u32 s7, s22
	s_cselect_b64 s[14:15], -1, 0
	s_cmp_lg_u32 s7, s22
	s_mov_b32 s29, s21
	s_cbranch_scc1 .LBB146_10
; %bb.9:
	s_mul_i32 s11, s21, s11
	s_sub_i32 s11, s20, s11
	s_add_i32 s29, s11, s21
.LBB146_10:
	s_cmp_lg_u32 s7, s22
	s_cselect_b64 s[22:23], -1, 0
	s_cmp_eq_u32 s29, 0
	s_cselect_b64 s[34:35], -1, 0
	s_and_b64 s[22:23], s[22:23], s[34:35]
	s_and_b64 vcc, exec, s[22:23]
	s_cbranch_vccnz .LBB146_37
; %bb.11:
	s_load_dwordx2 s[34:35], s[8:9], 0x0
	s_load_dwordx2 s[22:23], s[16:17], 0x0
	s_mul_i32 s7, s7, s21
	s_lshl_b32 s20, s7, 5
	s_ashr_i32 s21, s20, 31
	s_lshl_b64 s[8:9], s[18:19], 2
	s_waitcnt lgkmcnt(0)
	s_add_u32 s7, s34, s8
	s_addc_u32 s11, s35, s9
	s_add_u32 s8, s2, 1
	s_addc_u32 s9, s3, 0
	s_mul_i32 s16, s8, s26
	s_mul_hi_u32 s17, s8, s25
	s_add_i32 s16, s17, s16
	s_mul_i32 s9, s9, s25
	s_add_i32 s9, s16, s9
	s_mul_i32 s8, s8, s25
	s_lshl_b64 s[8:9], s[8:9], 2
	s_add_u32 s7, s7, s8
	s_addc_u32 s11, s11, s9
	s_lshl_b64 s[8:9], s[20:21], 2
	s_add_u32 s27, s7, s8
	s_mul_i32 s7, s20, s13
	s_mul_hi_u32 s8, s20, s12
	s_addc_u32 s28, s11, s9
	s_add_i32 s7, s8, s7
	s_mul_i32 s8, s21, s12
	s_add_i32 s9, s7, s8
	s_mul_i32 s8, s20, s12
	v_lshl_add_u32 v0, v0, 5, v22
	s_lshl_b64 s[8:9], s[8:9], 2
	v_lshrrev_b32_e32 v23, 4, v0
	s_add_u32 s30, s30, s8
	v_and_b32_e32 v4, 15, v22
	v_lshlrev_b32_e32 v25, 2, v23
	v_mov_b32_e32 v5, 0
	s_addc_u32 s31, s31, s9
	v_mad_u64_u32 v[6:7], s[8:9], v25, s2, v[4:5]
	v_mov_b32_e32 v0, v7
	v_mad_u64_u32 v[0:1], s[8:9], v25, s3, v[0:1]
	s_lshl_b64 s[16:17], s[12:13], 5
	s_add_i32 s7, s10, -2
	v_mov_b32_e32 v7, v0
	s_cmp_ge_u32 s6, s7
	s_barrier
	s_cbranch_scc1 .LBB146_13
; %bb.12:
	s_lshl_b64 s[6:7], s[16:17], 2
	v_lshlrev_b64 v[0:1], 2, v[6:7]
	s_add_u32 s8, s30, s6
	v_mov_b32_e32 v2, s28
	v_add_co_u32_e32 v0, vcc, s27, v0
	s_addc_u32 s9, s31, s7
	v_addc_co_u32_e32 v1, vcc, v2, v1, vcc
	s_lshl_b64 s[6:7], s[2:3], 2
	v_mov_b32_e32 v3, s7
	v_add_co_u32_e32 v2, vcc, s6, v0
	v_addc_co_u32_e32 v3, vcc, v1, v3, vcc
	s_lshl_b64 s[6:7], s[2:3], 3
	v_mov_b32_e32 v5, s7
	v_add_co_u32_e32 v8, vcc, s6, v0
	global_load_dword v32, v[0:1], off offset:128
	v_addc_co_u32_e32 v9, vcc, v1, v5, vcc
	v_mad_u64_u32 v[0:1], s[6:7], s2, 12, v[0:1]
	global_load_dword v33, v[2:3], off offset:128
	global_load_dword v34, v[8:9], off offset:128
	v_mov_b32_e32 v2, v1
	v_mad_u64_u32 v[2:3], s[6:7], s3, 12, v[2:3]
	v_mov_b32_e32 v1, v2
	global_load_dword v35, v[0:1], off offset:128
	v_mad_u64_u32 v[0:1], s[6:7], v4, s12, 0
	v_mov_b32_e32 v2, v1
	v_mad_u64_u32 v[2:3], s[6:7], v4, s13, v[2:3]
	v_mov_b32_e32 v1, v2
	v_lshlrev_b64 v[0:1], 2, v[0:1]
	v_mov_b32_e32 v2, s9
	v_add_co_u32_e32 v0, vcc, s8, v0
	v_addc_co_u32_e32 v1, vcc, v2, v1, vcc
	global_load_dword v5, v[0:1], off
	s_branch .LBB146_14
.LBB146_13:
                                        ; implicit-def: $vgpr32
                                        ; implicit-def: $vgpr33
                                        ; implicit-def: $vgpr34
                                        ; implicit-def: $vgpr35
.LBB146_14:
	s_load_dwordx4 s[8:11], s[4:5], 0x60
	s_mov_b32 s33, 0
	v_mov_b32_e32 v27, 0
	v_or_b32_e32 v30, 16, v4
	v_lshlrev_b32_e32 v24, 2, v4
	s_waitcnt lgkmcnt(0)
	s_lshl_b64 s[6:7], s[8:9], 2
	s_mul_i32 s8, s25, s11
	s_mul_hi_u32 s9, s25, s10
	s_add_u32 s19, s22, s6
	s_mul_i32 s18, s26, s10
	s_addc_u32 s22, s23, s7
	s_add_i32 s6, s9, s8
	s_add_i32 s7, s6, s18
	s_mul_i32 s6, s25, s10
	s_lshl_b64 s[6:7], s[6:7], 2
	s_add_u32 s25, s19, s6
	s_addc_u32 s26, s22, s7
	s_mul_i32 s6, s20, s11
	s_mul_hi_u32 s7, s20, s10
	s_add_i32 s6, s7, s6
	s_mul_i32 s7, s21, s10
	s_add_i32 s7, s6, s7
	s_mul_i32 s6, s20, s10
	s_lshl_b64 s[6:7], s[6:7], 2
	s_add_u32 s18, s25, s6
	s_addc_u32 s19, s26, s7
	s_cmp_lt_i32 s29, 1
	s_cbranch_scc1 .LBB146_24
; %bb.15:
	v_mad_u64_u32 v[0:1], s[6:7], v30, s12, 0
	v_mov_b32_e32 v2, v1
	v_mad_u64_u32 v[2:3], s[6:7], v30, s13, v[2:3]
	v_mov_b32_e32 v1, v2
	;; [unrolled: 2-line block ×4, first 2 shown]
	v_lshl_or_b32 v8, v23, 7, v24
	v_mad_u64_u32 v[16:17], s[8:9], v22, s10, 0
	v_add_u32_e32 v37, 0x800, v8
	v_mov_b32_e32 v8, v17
	v_mad_u64_u32 v[8:9], s[8:9], v22, s11, v[8:9]
	s_add_i32 s34, s29, -1
	s_lshl_b64 s[6:7], s[10:11], 7
	v_mov_b32_e32 v17, v8
	v_mov_b32_e32 v8, 0xc00
	s_lshl_b64 s[8:9], s[2:3], 2
	s_lshl_b64 s[20:21], s[2:3], 3
	v_lshl_add_u32 v38, v25, 2, v8
	v_mov_b32_e32 v8, 0x800
	s_sub_u32 s35, 0, s20
	v_lshl_add_u32 v39, v22, 2, v8
	s_subb_u32 s36, 0, s21
	v_pk_mov_b32 v[8:9], s[18:19], s[18:19] op_sel:[0,1]
	v_mov_b32_e32 v26, 0
	s_lshl_b64 s[18:19], s[16:17], 2
	v_lshlrev_b64 v[10:11], 2, v[0:1]
	v_lshlrev_b64 v[12:13], 2, v[6:7]
	v_mov_b32_e32 v40, s9
	v_lshlrev_b64 v[14:15], 2, v[2:3]
	v_lshlrev_b64 v[16:17], 2, v[16:17]
	v_mov_b32_e32 v29, 0
	v_mov_b32_e32 v28, 0
	;; [unrolled: 1-line block ×3, first 2 shown]
	s_waitcnt vmcnt(4)
	v_mov_b32_e32 v41, v32
	s_waitcnt vmcnt(3)
	v_mov_b32_e32 v42, v33
	;; [unrolled: 2-line block ×4, first 2 shown]
.LBB146_16:                             ; =>This Loop Header: Depth=1
                                        ;     Child Loop BB146_20 Depth 2
	s_add_u32 s30, s30, s18
	s_addc_u32 s31, s31, s19
	v_mov_b32_e32 v1, s31
	v_add_co_u32_e32 v0, vcc, s30, v10
	v_addc_co_u32_e32 v1, vcc, v1, v11, vcc
	global_load_dword v31, v[0:1], off
	v_mov_b32_e32 v0, s28
	v_add_co_u32_e32 v18, vcc, s27, v12
	v_addc_co_u32_e32 v19, vcc, v0, v13, vcc
	v_add_co_u32_e32 v0, vcc, s8, v18
	v_addc_co_u32_e32 v1, vcc, v19, v40, vcc
	;; [unrolled: 2-line block ×3, first 2 shown]
	v_add_co_u32_e32 v20, vcc, s8, v2
	global_load_dword v45, v[0:1], off offset:192
	global_load_dword v46, v[2:3], off offset:192
	v_addc_co_u32_e32 v21, vcc, v3, v40, vcc
	global_load_dword v48, v[18:19], off offset:192
	global_load_dword v47, v[20:21], off offset:192
	ds_read_b128 v[0:3], v38
	s_cmp_eq_u32 s33, s34
	s_waitcnt vmcnt(5)
	v_mov_b32_e32 v36, v5
	s_cbranch_scc1 .LBB146_18
; %bb.17:                               ;   in Loop: Header=BB146_16 Depth=1
	v_mov_b32_e32 v36, s36
	v_add_co_u32_e32 v20, vcc, s35, v20
	v_addc_co_u32_e32 v21, vcc, v21, v36, vcc
	global_load_dword v41, v[18:19], off offset:256
	global_load_dword v42, v[20:21], off offset:256
	v_mov_b32_e32 v36, s9
	v_add_co_u32_e32 v18, vcc, s8, v20
	v_addc_co_u32_e32 v19, vcc, v21, v36, vcc
	s_add_u32 s20, s30, s18
	global_load_dword v43, v[18:19], off offset:256
	v_add_co_u32_e32 v18, vcc, s8, v18
	s_addc_u32 s21, s31, s19
	v_addc_co_u32_e32 v19, vcc, v19, v36, vcc
	global_load_dword v44, v[18:19], off offset:256
	v_mov_b32_e32 v19, s21
	v_add_co_u32_e32 v18, vcc, s20, v14
	v_addc_co_u32_e32 v19, vcc, v19, v15, vcc
	global_load_dword v36, v[18:19], off
.LBB146_18:                             ;   in Loop: Header=BB146_16 Depth=1
	s_waitcnt lgkmcnt(0)
	v_fma_f32 v18, v32, v0, 0
	s_waitcnt vmcnt(1)
	v_fma_f32 v0, v48, v0, 0
	v_fmac_f32_e32 v18, v33, v1
	v_fmac_f32_e32 v0, v45, v1
	;; [unrolled: 1-line block ×5, first 2 shown]
	s_waitcnt vmcnt(0)
	v_fmac_f32_e32 v0, v47, v3
	s_barrier
	ds_write2_b32 v37, v18, v0 offset1:16
	s_waitcnt lgkmcnt(0)
	s_barrier
	s_and_saveexec_b64 s[20:21], s[0:1]
	s_cbranch_execz .LBB146_22
; %bb.19:                               ;   in Loop: Header=BB146_16 Depth=1
	v_mov_b32_e32 v0, s7
	v_add_co_u32_e32 v8, vcc, s6, v8
	v_addc_co_u32_e32 v9, vcc, v9, v0, vcc
	v_add_co_u32_e32 v0, vcc, v8, v16
	v_addc_co_u32_e32 v1, vcc, v9, v17, vcc
	global_load_dword v3, v[0:1], off
	ds_read2_b32 v[18:19], v39 offset1:32
	ds_read2_b32 v[20:21], v39 offset0:64 offset1:96
	ds_read2_b32 v[50:51], v39 offset0:128 offset1:160
	s_mov_b64 s[22:23], 0
	s_waitcnt lgkmcnt(2)
	v_add_f32_e32 v2, 0, v18
	v_add_f32_e32 v2, v2, v19
	ds_read2_b32 v[18:19], v39 offset0:192 offset1:224
	s_waitcnt lgkmcnt(2)
	v_add_f32_e32 v2, v2, v20
	v_add_f32_e32 v2, v2, v21
	s_waitcnt lgkmcnt(1)
	v_add_f32_e32 v2, v2, v50
	v_add_f32_e32 v2, v2, v51
	;; [unrolled: 3-line block ×3, first 2 shown]
	v_mul_f32_e32 v18, s24, v2
.LBB146_20:                             ;   Parent Loop BB146_16 Depth=1
                                        ; =>  This Inner Loop Header: Depth=2
	s_waitcnt vmcnt(0)
	v_add_f32_e32 v2, v3, v18
	global_atomic_cmpswap v2, v[0:1], v[2:3], off glc
	s_waitcnt vmcnt(0)
	v_cmp_eq_u32_e32 vcc, v2, v3
	s_or_b64 s[22:23], vcc, s[22:23]
	v_mov_b32_e32 v3, v2
	s_andn2_b64 exec, exec, s[22:23]
	s_cbranch_execnz .LBB146_20
; %bb.21:                               ;   in Loop: Header=BB146_16 Depth=1
	s_or_b64 exec, exec, s[22:23]
.LBB146_22:                             ;   in Loop: Header=BB146_16 Depth=1
	s_or_b64 exec, exec, s[20:21]
	s_add_u32 s27, s27, 0x80
	v_fmac_f32_e32 v26, v5, v32
	v_fmac_f32_e32 v29, v5, v33
	;; [unrolled: 1-line block ×4, first 2 shown]
	s_addc_u32 s28, s28, 0
	s_add_i32 s33, s33, 1
	v_fmac_f32_e32 v26, v31, v48
	v_fmac_f32_e32 v29, v31, v45
	;; [unrolled: 1-line block ×4, first 2 shown]
	s_cmp_eq_u32 s33, s29
	s_cbranch_scc1 .LBB146_25
; %bb.23:                               ;   in Loop: Header=BB146_16 Depth=1
	v_mov_b32_e32 v5, v36
	v_mov_b32_e32 v32, v41
	;; [unrolled: 1-line block ×5, first 2 shown]
	s_branch .LBB146_16
.LBB146_24:
	v_pk_mov_b32 v[8:9], s[18:19], s[18:19] op_sel:[0,1]
	v_mov_b32_e32 v28, 0
	v_mov_b32_e32 v29, 0
	;; [unrolled: 1-line block ×4, first 2 shown]
	s_waitcnt vmcnt(0)
	v_mov_b32_e32 v36, v5
.LBB146_25:
	s_and_b64 vcc, exec, s[14:15]
	s_cbranch_vccz .LBB146_34
; %bb.26:
	s_load_dword s6, s[4:5], 0x78
	s_lshl_b64 s[4:5], s[16:17], 2
	s_add_u32 s7, s30, s4
	v_mov_b32_e32 v5, 0
	s_addc_u32 s8, s31, s5
	s_waitcnt lgkmcnt(0)
	v_cmp_gt_i32_e32 vcc, s6, v4
	v_mov_b32_e32 v0, 0
	v_mov_b32_e32 v1, 0
	;; [unrolled: 1-line block ×4, first 2 shown]
	s_and_saveexec_b64 s[4:5], vcc
	s_cbranch_execz .LBB146_28
; %bb.27:
	v_lshlrev_b64 v[0:1], 2, v[6:7]
	v_mov_b32_e32 v2, s28
	v_add_co_u32_e32 v10, vcc, s27, v0
	v_addc_co_u32_e32 v11, vcc, v2, v1, vcc
	s_lshl_b64 s[14:15], s[2:3], 2
	v_mov_b32_e32 v0, s15
	v_add_co_u32_e32 v12, vcc, s14, v10
	v_addc_co_u32_e32 v13, vcc, v11, v0, vcc
	s_lshl_b64 s[14:15], s[2:3], 3
	v_mov_b32_e32 v0, s15
	v_add_co_u32_e32 v14, vcc, s14, v10
	v_addc_co_u32_e32 v15, vcc, v11, v0, vcc
	global_load_dword v0, v[10:11], off offset:128
	global_load_dword v1, v[12:13], off offset:128
	;; [unrolled: 1-line block ×3, first 2 shown]
	v_mad_u64_u32 v[10:11], s[14:15], s2, 12, v[10:11]
	v_mov_b32_e32 v12, v11
	v_mad_u64_u32 v[12:13], s[14:15], s3, 12, v[12:13]
	v_mov_b32_e32 v11, v12
	global_load_dword v3, v[10:11], off offset:128
	v_mad_u64_u32 v[10:11], s[14:15], v4, s12, 0
	v_mov_b32_e32 v12, v11
	v_mad_u64_u32 v[12:13], s[14:15], v4, s13, v[12:13]
	v_mov_b32_e32 v11, v12
	v_lshlrev_b64 v[10:11], 2, v[10:11]
	v_mov_b32_e32 v12, s8
	v_add_co_u32_e32 v10, vcc, s7, v10
	v_addc_co_u32_e32 v11, vcc, v12, v11, vcc
	global_load_dword v36, v[10:11], off
.LBB146_28:
	s_or_b64 exec, exec, s[4:5]
	v_cmp_gt_i32_e32 vcc, s6, v30
	v_mov_b32_e32 v10, 0
	v_mov_b32_e32 v11, 0
	v_mov_b32_e32 v12, 0
	s_and_saveexec_b64 s[4:5], vcc
	s_cbranch_execz .LBB146_30
; %bb.29:
	v_lshlrev_b64 v[6:7], 2, v[6:7]
	v_mov_b32_e32 v5, s28
	v_add_co_u32_e32 v6, vcc, s27, v6
	v_addc_co_u32_e32 v7, vcc, v5, v7, vcc
	v_add_co_u32_e32 v12, vcc, 0x80, v6
	v_addc_co_u32_e32 v13, vcc, 0, v7, vcc
	s_lshl_b64 s[14:15], s[2:3], 2
	v_mov_b32_e32 v5, s15
	v_add_co_u32_e32 v14, vcc, s14, v12
	v_addc_co_u32_e32 v15, vcc, v13, v5, vcc
	s_lshl_b64 s[14:15], s[2:3], 3
	v_mov_b32_e32 v5, s15
	v_add_co_u32_e32 v16, vcc, s14, v12
	v_addc_co_u32_e32 v17, vcc, v13, v5, vcc
	global_load_dword v5, v[6:7], off offset:192
	global_load_dword v10, v[14:15], off offset:64
	global_load_dword v11, v[16:17], off offset:64
	v_mad_u64_u32 v[6:7], s[14:15], s2, 12, v[12:13]
	v_mov_b32_e32 v12, v7
	v_mad_u64_u32 v[12:13], s[2:3], s3, 12, v[12:13]
	v_mov_b32_e32 v7, v12
	global_load_dword v12, v[6:7], off offset:64
	v_mad_u64_u32 v[6:7], s[2:3], v30, s12, 0
	v_mov_b32_e32 v14, v7
	v_mad_u64_u32 v[14:15], s[2:3], v30, s13, v[14:15]
	v_mov_b32_e32 v7, v14
	v_lshlrev_b64 v[6:7], 2, v[6:7]
	v_mov_b32_e32 v13, s8
	v_add_co_u32_e32 v6, vcc, s7, v6
	v_addc_co_u32_e32 v7, vcc, v13, v7, vcc
	global_load_dword v31, v[6:7], off
.LBB146_30:
	s_or_b64 exec, exec, s[4:5]
	v_lshlrev_b32_e32 v6, 2, v25
	ds_read_b128 v[14:17], v6 offset:3072
	s_waitcnt vmcnt(0)
	v_fmac_f32_e32 v26, v36, v0
	v_fmac_f32_e32 v29, v36, v1
	v_cmp_gt_i32_e32 vcc, s6, v22
	v_fmac_f32_e32 v28, v36, v2
	s_waitcnt lgkmcnt(0)
	v_fma_f32 v6, v5, v14, 0
	v_fma_f32 v0, v0, v14, 0
	v_fmac_f32_e32 v6, v10, v15
	v_fmac_f32_e32 v0, v1, v15
	;; [unrolled: 1-line block ×4, first 2 shown]
	v_lshl_or_b32 v1, v23, 7, v24
	v_fmac_f32_e32 v27, v36, v3
	v_fmac_f32_e32 v6, v12, v17
	;; [unrolled: 1-line block ×3, first 2 shown]
	v_add_u32_e32 v1, 0x800, v1
	s_and_b64 s[4:5], s[0:1], vcc
	s_barrier
	ds_write2_b32 v1, v0, v6 offset1:16
	s_waitcnt lgkmcnt(0)
	s_barrier
	s_and_saveexec_b64 s[2:3], s[4:5]
	s_cbranch_execz .LBB146_33
; %bb.31:
	s_lshl_b64 s[4:5], s[10:11], 7
	v_mov_b32_e32 v0, s5
	v_add_co_u32_e32 v6, vcc, s4, v8
	v_addc_co_u32_e32 v7, vcc, v9, v0, vcc
	v_mad_u64_u32 v[0:1], s[4:5], v22, s10, 0
	v_mov_b32_e32 v2, v1
	v_mad_u64_u32 v[2:3], s[4:5], v22, s11, v[2:3]
	v_mov_b32_e32 v1, v2
	v_lshlrev_b64 v[0:1], 2, v[0:1]
	v_add_co_u32_e32 v0, vcc, v6, v0
	v_addc_co_u32_e32 v1, vcc, v7, v1, vcc
	global_load_dword v3, v[0:1], off
	v_lshlrev_b32_e32 v2, 2, v22
	v_add_u32_e32 v2, 0x800, v2
	ds_read2_b32 v[6:7], v2 offset1:32
	ds_read2_b32 v[8:9], v2 offset0:64 offset1:96
	ds_read2_b32 v[14:15], v2 offset0:128 offset1:160
	s_mov_b64 s[4:5], 0
	s_waitcnt lgkmcnt(2)
	v_add_f32_e32 v6, 0, v6
	v_add_f32_e32 v13, v6, v7
	ds_read2_b32 v[6:7], v2 offset0:192 offset1:224
	s_waitcnt lgkmcnt(2)
	v_add_f32_e32 v2, v13, v8
	v_add_f32_e32 v2, v2, v9
	s_waitcnt lgkmcnt(1)
	v_add_f32_e32 v2, v2, v14
	v_add_f32_e32 v2, v2, v15
	;; [unrolled: 3-line block ×3, first 2 shown]
	v_mul_f32_e32 v6, s24, v2
.LBB146_32:                             ; =>This Inner Loop Header: Depth=1
	s_waitcnt vmcnt(0)
	v_add_f32_e32 v2, v3, v6
	global_atomic_cmpswap v2, v[0:1], v[2:3], off glc
	s_waitcnt vmcnt(0)
	v_cmp_eq_u32_e32 vcc, v2, v3
	s_or_b64 s[4:5], vcc, s[4:5]
	v_mov_b32_e32 v3, v2
	s_andn2_b64 exec, exec, s[4:5]
	s_cbranch_execnz .LBB146_32
.LBB146_33:
	s_or_b64 exec, exec, s[2:3]
	v_fmac_f32_e32 v26, v31, v5
	v_fmac_f32_e32 v29, v31, v10
	;; [unrolled: 1-line block ×4, first 2 shown]
.LBB146_34:
	v_lshl_or_b32 v0, v23, 8, v24
	ds_write2_b32 v0, v26, v29 offset1:16
	ds_write2_b32 v0, v28, v27 offset0:32 offset1:48
	s_waitcnt lgkmcnt(0)
	s_barrier
	s_and_saveexec_b64 s[2:3], s[0:1]
	s_cbranch_execz .LBB146_37
; %bb.35:
	v_mad_u64_u32 v[0:1], s[0:1], v22, s10, 0
	v_mov_b32_e32 v2, v1
	v_mad_u64_u32 v[2:3], s[0:1], v22, s11, v[2:3]
	v_mov_b32_e32 v1, v2
	v_lshlrev_b64 v[0:1], 2, v[0:1]
	v_mov_b32_e32 v2, s26
	v_add_co_u32_e32 v0, vcc, s25, v0
	v_addc_co_u32_e32 v1, vcc, v2, v1, vcc
	global_load_dword v3, v[0:1], off
	v_lshlrev_b32_e32 v5, 4, v22
	v_add_u32_e32 v6, 1, v22
	v_add_u32_e32 v7, 2, v22
	;; [unrolled: 1-line block ×7, first 2 shown]
	v_or_b32_e32 v4, v4, v5
	v_and_or_b32 v6, v6, 15, v5
	v_and_or_b32 v7, v7, 15, v5
	v_and_or_b32 v8, v8, 15, v5
	v_and_or_b32 v9, v9, 15, v5
	v_and_or_b32 v10, v10, 15, v5
	v_and_or_b32 v11, v11, 15, v5
	v_and_or_b32 v12, v12, 15, v5
	v_lshlrev_b32_e32 v2, 2, v4
	v_lshlrev_b32_e32 v6, 2, v6
	;; [unrolled: 1-line block ×8, first 2 shown]
	ds_read_b32 v2, v2
	ds_read_b32 v6, v6
	;; [unrolled: 1-line block ×8, first 2 shown]
	s_waitcnt lgkmcnt(7)
	v_add_f32_e32 v2, 0, v2
	s_waitcnt lgkmcnt(6)
	v_add_f32_e32 v2, v2, v6
	;; [unrolled: 2-line block ×8, first 2 shown]
	v_add_u32_e32 v6, 9, v22
	v_add_u32_e32 v7, 10, v22
	;; [unrolled: 1-line block ×6, first 2 shown]
	v_add_u32_e32 v12, -1, v22
	v_xor_b32_e32 v4, 8, v4
	v_and_or_b32 v6, v6, 15, v5
	v_and_or_b32 v7, v7, 15, v5
	;; [unrolled: 1-line block ×7, first 2 shown]
	v_lshlrev_b32_e32 v4, 2, v4
	v_lshlrev_b32_e32 v6, 2, v6
	;; [unrolled: 1-line block ×8, first 2 shown]
	ds_read_b32 v4, v4
	ds_read_b32 v6, v6
	;; [unrolled: 1-line block ×8, first 2 shown]
	s_waitcnt lgkmcnt(7)
	v_add_f32_e32 v2, v2, v4
	s_waitcnt lgkmcnt(6)
	v_add_f32_e32 v2, v2, v6
	;; [unrolled: 2-line block ×8, first 2 shown]
	v_mul_f32_e32 v4, s24, v2
	s_mov_b64 s[0:1], 0
.LBB146_36:                             ; =>This Inner Loop Header: Depth=1
	s_waitcnt vmcnt(0)
	v_add_f32_e32 v2, v3, v4
	global_atomic_cmpswap v2, v[0:1], v[2:3], off glc
	s_waitcnt vmcnt(0)
	v_cmp_eq_u32_e32 vcc, v2, v3
	s_or_b64 s[0:1], vcc, s[0:1]
	v_mov_b32_e32 v3, v2
	s_andn2_b64 exec, exec, s[0:1]
	s_cbranch_execnz .LBB146_36
.LBB146_37:
	s_endpgm
	.section	.rodata,"a",@progbits
	.p2align	6, 0x0
	.amdhsa_kernel _ZL62rocblas_symv_kernel_lower_double_buffered_non_diagonal_genericILi32ELi4ELi4E24rocblas_internal_val_ptrIfEPKPKfPKPfEvbiT2_lT3_lllSA_lllT4_lllii
		.amdhsa_group_segment_fixed_size 3200
		.amdhsa_private_segment_fixed_size 0
		.amdhsa_kernarg_size 384
		.amdhsa_user_sgpr_count 6
		.amdhsa_user_sgpr_private_segment_buffer 1
		.amdhsa_user_sgpr_dispatch_ptr 0
		.amdhsa_user_sgpr_queue_ptr 0
		.amdhsa_user_sgpr_kernarg_segment_ptr 1
		.amdhsa_user_sgpr_dispatch_id 0
		.amdhsa_user_sgpr_flat_scratch_init 0
		.amdhsa_user_sgpr_kernarg_preload_length 0
		.amdhsa_user_sgpr_kernarg_preload_offset 0
		.amdhsa_user_sgpr_private_segment_size 0
		.amdhsa_uses_dynamic_stack 0
		.amdhsa_system_sgpr_private_segment_wavefront_offset 0
		.amdhsa_system_sgpr_workgroup_id_x 1
		.amdhsa_system_sgpr_workgroup_id_y 1
		.amdhsa_system_sgpr_workgroup_id_z 1
		.amdhsa_system_sgpr_workgroup_info 0
		.amdhsa_system_vgpr_workitem_id 1
		.amdhsa_next_free_vgpr 52
		.amdhsa_next_free_sgpr 37
		.amdhsa_accum_offset 52
		.amdhsa_reserve_vcc 1
		.amdhsa_reserve_flat_scratch 0
		.amdhsa_float_round_mode_32 0
		.amdhsa_float_round_mode_16_64 0
		.amdhsa_float_denorm_mode_32 3
		.amdhsa_float_denorm_mode_16_64 3
		.amdhsa_dx10_clamp 1
		.amdhsa_ieee_mode 1
		.amdhsa_fp16_overflow 0
		.amdhsa_tg_split 0
		.amdhsa_exception_fp_ieee_invalid_op 0
		.amdhsa_exception_fp_denorm_src 0
		.amdhsa_exception_fp_ieee_div_zero 0
		.amdhsa_exception_fp_ieee_overflow 0
		.amdhsa_exception_fp_ieee_underflow 0
		.amdhsa_exception_fp_ieee_inexact 0
		.amdhsa_exception_int_div_zero 0
	.end_amdhsa_kernel
	.section	.text._ZL62rocblas_symv_kernel_lower_double_buffered_non_diagonal_genericILi32ELi4ELi4E24rocblas_internal_val_ptrIfEPKPKfPKPfEvbiT2_lT3_lllSA_lllT4_lllii,"axG",@progbits,_ZL62rocblas_symv_kernel_lower_double_buffered_non_diagonal_genericILi32ELi4ELi4E24rocblas_internal_val_ptrIfEPKPKfPKPfEvbiT2_lT3_lllSA_lllT4_lllii,comdat
.Lfunc_end146:
	.size	_ZL62rocblas_symv_kernel_lower_double_buffered_non_diagonal_genericILi32ELi4ELi4E24rocblas_internal_val_ptrIfEPKPKfPKPfEvbiT2_lT3_lllSA_lllT4_lllii, .Lfunc_end146-_ZL62rocblas_symv_kernel_lower_double_buffered_non_diagonal_genericILi32ELi4ELi4E24rocblas_internal_val_ptrIfEPKPKfPKPfEvbiT2_lT3_lllSA_lllT4_lllii
                                        ; -- End function
	.section	.AMDGPU.csdata,"",@progbits
; Kernel info:
; codeLenInByte = 3252
; NumSgprs: 41
; NumVgprs: 52
; NumAgprs: 0
; TotalNumVgprs: 52
; ScratchSize: 0
; MemoryBound: 0
; FloatMode: 240
; IeeeMode: 1
; LDSByteSize: 3200 bytes/workgroup (compile time only)
; SGPRBlocks: 5
; VGPRBlocks: 6
; NumSGPRsForWavesPerEU: 41
; NumVGPRsForWavesPerEU: 52
; AccumOffset: 52
; Occupancy: 8
; WaveLimiterHint : 1
; COMPUTE_PGM_RSRC2:SCRATCH_EN: 0
; COMPUTE_PGM_RSRC2:USER_SGPR: 6
; COMPUTE_PGM_RSRC2:TRAP_HANDLER: 0
; COMPUTE_PGM_RSRC2:TGID_X_EN: 1
; COMPUTE_PGM_RSRC2:TGID_Y_EN: 1
; COMPUTE_PGM_RSRC2:TGID_Z_EN: 1
; COMPUTE_PGM_RSRC2:TIDIG_COMP_CNT: 1
; COMPUTE_PGM_RSRC3_GFX90A:ACCUM_OFFSET: 12
; COMPUTE_PGM_RSRC3_GFX90A:TG_SPLIT: 0
	.section	.text._ZL26rocblas_hemvn_kernel_lowerILb0ELi64ELi4ELi33ELi32ELi16ElPKfPKS1_PfEviT6_lT7_lT5_lS6_lS7_lS5_lT8_i,"axG",@progbits,_ZL26rocblas_hemvn_kernel_lowerILb0ELi64ELi4ELi33ELi32ELi16ElPKfPKS1_PfEviT6_lT7_lT5_lS6_lS7_lS5_lT8_i,comdat
	.globl	_ZL26rocblas_hemvn_kernel_lowerILb0ELi64ELi4ELi33ELi32ELi16ElPKfPKS1_PfEviT6_lT7_lT5_lS6_lS7_lS5_lT8_i ; -- Begin function _ZL26rocblas_hemvn_kernel_lowerILb0ELi64ELi4ELi33ELi32ELi16ElPKfPKS1_PfEviT6_lT7_lT5_lS6_lS7_lS5_lT8_i
	.p2align	8
	.type	_ZL26rocblas_hemvn_kernel_lowerILb0ELi64ELi4ELi33ELi32ELi16ElPKfPKS1_PfEviT6_lT7_lT5_lS6_lS7_lS5_lT8_i,@function
_ZL26rocblas_hemvn_kernel_lowerILb0ELi64ELi4ELi33ELi32ELi16ElPKfPKS1_PfEviT6_lT7_lT5_lS6_lS7_lS5_lT8_i: ; @_ZL26rocblas_hemvn_kernel_lowerILb0ELi64ELi4ELi33ELi32ELi16ElPKfPKS1_PfEviT6_lT7_lT5_lS6_lS7_lS5_lT8_i
; %bb.0:
	s_load_dwordx2 s[0:1], s[4:5], 0x84
	s_add_u32 s2, s4, 0x78
	s_mov_b32 s26, s7
	s_addc_u32 s3, s5, 0
	s_waitcnt lgkmcnt(0)
	s_lshr_b32 s7, s0, 16
	s_and_b32 s0, s0, 0xffff
	s_and_b32 s1, s1, 0xffff
	s_mul_i32 s0, s7, s0
	s_mul_i32 s0, s0, s1
	s_cmpk_lg_i32 s0, 0x100
	s_cbranch_scc1 .LBB147_80
; %bb.1:
	s_load_dwordx8 s[8:15], s[4:5], 0x8
	s_load_dwordx4 s[16:19], s[4:5], 0x58
	s_waitcnt lgkmcnt(0)
	s_mul_i32 s1, s26, s11
	s_mul_hi_u32 s7, s26, s10
	s_mul_i32 s0, s26, s10
	s_add_i32 s1, s7, s1
	s_lshl_b64 s[0:1], s[0:1], 2
	s_add_u32 s0, s8, s0
	s_addc_u32 s1, s9, s1
	s_mul_i32 s10, s26, s19
	s_load_dword s7, s[0:1], 0x0
	s_mul_hi_u32 s0, s26, s18
	s_add_i32 s1, s0, s10
	s_mul_i32 s0, s26, s18
	s_lshl_b64 s[0:1], s[0:1], 2
	s_add_u32 s0, s16, s0
	s_addc_u32 s1, s17, s1
	s_load_dword s8, s[0:1], 0x0
	s_waitcnt lgkmcnt(0)
	v_cmp_eq_f32_e64 s[0:1], s7, 0
	v_cmp_eq_f32_e64 s[8:9], s8, 1.0
	s_and_b64 s[8:9], s[0:1], s[8:9]
	s_and_b64 vcc, exec, s[8:9]
	s_cbranch_vccnz .LBB147_80
; %bb.2:
	s_load_dwordx2 s[24:25], s[4:5], 0x28
	s_mov_b32 s27, 0
	v_cmp_neq_f32_e64 s[22:23], s7, 0
	s_mov_b64 s[18:19], 0
	s_and_b64 vcc, exec, s[0:1]
	s_mov_b64 s[16:17], 0
	s_cbranch_vccnz .LBB147_4
; %bb.3:
	s_lshl_b64 s[0:1], s[26:27], 3
	s_add_u32 s0, s12, s0
	s_addc_u32 s1, s13, s1
	s_load_dwordx2 s[0:1], s[0:1], 0x0
	s_lshl_b64 s[8:9], s[14:15], 2
	s_waitcnt lgkmcnt(0)
	s_add_u32 s16, s0, s8
	s_addc_u32 s17, s1, s9
.LBB147_4:
	s_load_dwordx4 s[8:11], s[4:5], 0x38
	s_load_dwordx2 s[20:21], s[4:5], 0x48
	v_cndmask_b32_e64 v1, 0, 1, s[22:23]
	v_cmp_ne_u32_e64 s[0:1], 1, v1
	s_andn2_b64 vcc, exec, s[22:23]
	s_cbranch_vccnz .LBB147_6
; %bb.5:
	s_lshl_b64 s[12:13], s[26:27], 3
	s_waitcnt lgkmcnt(0)
	s_add_u32 s8, s8, s12
	s_addc_u32 s9, s9, s13
	s_load_dwordx2 s[8:9], s[8:9], 0x0
	s_lshl_b64 s[10:11], s[10:11], 2
	s_waitcnt lgkmcnt(0)
	s_add_u32 s18, s8, s10
	s_addc_u32 s19, s9, s11
.LBB147_6:
	s_and_b64 vcc, exec, s[0:1]
	s_cbranch_vccnz .LBB147_80
; %bb.7:
	s_load_dword s27, s[2:3], 0x0
	s_load_dwordx2 s[34:35], s[4:5], 0x68
	s_load_dword s7, s[4:5], 0x0
	v_and_b32_e32 v18, 0x3ff, v0
	s_lshl_b32 s30, s6, 6
	s_waitcnt lgkmcnt(0)
	s_add_i32 s0, s27, -1
	v_add_u32_e32 v4, s30, v18
	s_ashr_i32 s33, s7, 31
	s_lshr_b32 s1, s33, 26
	s_add_i32 s1, s7, s1
	s_andn2_b32 s1, s1, 63
	s_sub_i32 s1, s7, s1
	s_cmp_eq_u32 s6, s0
	v_ashrrev_i32_e32 v5, 31, v4
	v_bfe_u32 v16, v0, 10, 10
	s_cselect_b32 s28, s1, 0
	v_mul_lo_u32 v2, v5, s20
	v_mul_lo_u32 v3, v4, s21
	v_mad_u64_u32 v[0:1], s[0:1], v4, s20, 0
	v_add3_u32 v1, v1, v3, v2
	v_lshlrev_b64 v[0:1], 2, v[0:1]
	v_mov_b32_e32 v2, s19
	v_add_co_u32_e32 v6, vcc, s18, v0
	v_addc_co_u32_e32 v7, vcc, v2, v1, vcc
	v_cmp_ne_u32_e64 s[0:1], 0, v16
	v_cmp_eq_u32_e64 s[2:3], 0, v16
	s_and_saveexec_b64 s[4:5], s[2:3]
	s_cbranch_execz .LBB147_11
; %bb.8:
	s_cmp_eq_u32 s28, 0
	s_cselect_b64 s[8:9], -1, 0
	v_cmp_gt_i32_e32 vcc, s28, v18
	s_or_b64 s[10:11], s[8:9], vcc
	v_mov_b32_e32 v0, 0
	s_and_saveexec_b64 s[8:9], s[10:11]
	s_cbranch_execz .LBB147_10
; %bb.9:
	flat_load_dword v0, v[6:7]
.LBB147_10:
	s_or_b64 exec, exec, s[8:9]
	v_lshlrev_b32_e32 v1, 2, v18
	s_waitcnt vmcnt(0) lgkmcnt(0)
	ds_write_b32 v1, v0 offset:4544
.LBB147_11:
	s_or_b64 exec, exec, s[4:5]
	s_ashr_i32 s31, s30, 31
	v_lshl_add_u32 v19, v16, 6, v18
	s_lshl_b64 s[4:5], s[30:31], 2
	v_and_b32_e32 v0, 31, v18
	v_lshrrev_b32_e32 v12, 5, v19
	s_add_u32 s8, s16, s4
	v_mov_b32_e32 v1, 0
	s_addc_u32 s9, s17, s5
	v_mad_u64_u32 v[2:3], s[4:5], v12, s24, v[0:1]
	v_mov_b32_e32 v8, v3
	v_mad_u64_u32 v[8:9], s[4:5], v12, s25, v[8:9]
	s_mul_i32 s4, s30, s25
	s_mul_hi_u32 s5, s30, s24
	s_add_i32 s4, s5, s4
	s_mul_i32 s5, s31, s24
	s_add_i32 s5, s4, s5
	s_mul_i32 s4, s30, s24
	s_lshl_b64 s[36:37], s[4:5], 2
	v_mov_b32_e32 v3, v8
	s_add_u32 s4, s36, s8
	v_lshlrev_b64 v[8:9], 2, v[2:3]
	s_addc_u32 s5, s37, s9
	v_mov_b32_e32 v1, s5
	v_add_co_u32_e32 v2, vcc, s4, v8
	s_cmp_lg_u32 s28, 0
	v_addc_co_u32_e32 v3, vcc, v1, v9, vcc
	s_cselect_b64 s[38:39], -1, 0
	s_cmp_eq_u32 s28, 0
	s_cselect_b64 s[42:43], -1, 0
	s_and_b64 vcc, exec, s[38:39]
	s_cbranch_vccnz .LBB147_13
; %bb.12:
	flat_load_dword v1, v[2:3]
	v_mul_u32_u24_e32 v10, 33, v12
	s_lshl_b64 s[4:5], s[24:25], 5
	v_add_lshl_u32 v13, v10, v0, 2
	v_mov_b32_e32 v14, s5
	v_add_co_u32_e32 v10, vcc, s4, v2
	v_addc_co_u32_e32 v11, vcc, v3, v14, vcc
	s_mul_i32 s8, s25, 0x60
	s_waitcnt vmcnt(0) lgkmcnt(0)
	ds_write_b32 v13, v1
	flat_load_dword v1, v[10:11]
	v_add_co_u32_e32 v10, vcc, s4, v10
	v_addc_co_u32_e32 v11, vcc, v11, v14, vcc
	s_waitcnt vmcnt(0) lgkmcnt(0)
	ds_write_b32 v13, v1 offset:1056
	flat_load_dword v1, v[10:11]
	v_mov_b32_e32 v10, 0x60
	v_mad_u64_u32 v[10:11], s[4:5], s24, v10, v[2:3]
	v_add_u32_e32 v11, s8, v11
	s_waitcnt vmcnt(0) lgkmcnt(0)
	ds_write_b32 v13, v1 offset:2112
	flat_load_dword v1, v[10:11]
	s_waitcnt vmcnt(0) lgkmcnt(0)
	ds_write_b32 v13, v1 offset:3168
	s_cbranch_execz .LBB147_14
	s_branch .LBB147_23
.LBB147_13:
.LBB147_14:
	v_lshlrev_b32_e32 v1, 2, v0
	v_sub_co_u32_e32 v10, vcc, v2, v1
	s_ashr_i32 s29, s28, 31
	v_subbrev_co_u32_e32 v11, vcc, 0, v3, vcc
	s_lshl_b64 s[8:9], s[28:29], 2
	v_mov_b32_e32 v13, s9
	v_add_co_u32_e32 v10, vcc, s8, v10
	v_addc_co_u32_e32 v11, vcc, v11, v13, vcc
	v_add_co_u32_e32 v10, vcc, -4, v10
	v_addc_co_u32_e32 v11, vcc, -1, v11, vcc
	v_cmp_gt_i32_e32 vcc, s28, v0
	v_mov_b32_e32 v14, 0
	v_cndmask_b32_e32 v11, v11, v3, vcc
	v_cndmask_b32_e32 v10, v10, v2, vcc
	v_cmp_gt_i32_e64 s[4:5], s28, v12
	v_mov_b32_e32 v15, 0
	s_and_saveexec_b64 s[10:11], s[4:5]
	s_cbranch_execz .LBB147_16
; %bb.15:
	flat_load_dword v15, v[10:11]
.LBB147_16:
	s_or_b64 exec, exec, s[10:11]
	v_mul_u32_u24_e32 v13, 33, v12
	v_add_lshl_u32 v13, v13, v0, 2
	s_waitcnt vmcnt(0) lgkmcnt(0)
	ds_write_b32 v13, v15
	v_add_u32_e32 v15, 8, v12
	v_cmp_gt_i32_e64 s[4:5], s28, v15
	s_and_saveexec_b64 s[10:11], s[4:5]
	s_cbranch_execz .LBB147_18
; %bb.17:
	s_lshl_b64 s[4:5], s[24:25], 5
	v_mov_b32_e32 v15, s5
	v_add_co_u32_e64 v14, s[4:5], s4, v10
	v_addc_co_u32_e64 v15, s[4:5], v11, v15, s[4:5]
	flat_load_dword v14, v[14:15]
.LBB147_18:
	s_or_b64 exec, exec, s[10:11]
	s_waitcnt vmcnt(0) lgkmcnt(0)
	ds_write_b32 v13, v14 offset:1056
	v_add_u32_e32 v14, 16, v12
	v_cmp_gt_i32_e64 s[4:5], s28, v14
	v_mov_b32_e32 v14, 0
	v_mov_b32_e32 v15, 0
	s_and_saveexec_b64 s[10:11], s[4:5]
	s_cbranch_execz .LBB147_20
; %bb.19:
	s_lshl_b64 s[4:5], s[24:25], 6
	v_mov_b32_e32 v15, s5
	v_add_co_u32_e64 v20, s[4:5], s4, v10
	v_addc_co_u32_e64 v21, s[4:5], v11, v15, s[4:5]
	flat_load_dword v15, v[20:21]
.LBB147_20:
	s_or_b64 exec, exec, s[10:11]
	s_waitcnt vmcnt(0) lgkmcnt(0)
	ds_write_b32 v13, v15 offset:2112
	v_add_u32_e32 v15, 24, v12
	v_cmp_gt_i32_e64 s[4:5], s28, v15
	s_and_saveexec_b64 s[10:11], s[4:5]
	s_cbranch_execz .LBB147_22
; %bb.21:
	v_mov_b32_e32 v14, 0x60
	v_mad_u64_u32 v[14:15], s[4:5], s24, v14, v[10:11]
	s_mul_i32 s4, s25, 0x60
	v_add_u32_e32 v15, s4, v15
	flat_load_dword v14, v[14:15]
.LBB147_22:
	s_or_b64 exec, exec, s[10:11]
	v_add_co_u32_e64 v1, s[4:5], v10, v1
	v_addc_co_u32_e64 v10, s[4:5], 0, v11, s[4:5]
	v_mov_b32_e32 v11, s9
	v_subrev_co_u32_e64 v1, s[4:5], s8, v1
	v_subb_co_u32_e64 v10, s[4:5], v10, v11, s[4:5]
	v_add_co_u32_e64 v1, s[4:5], 4, v1
	v_addc_co_u32_e64 v10, s[4:5], 0, v10, s[4:5]
	v_cndmask_b32_e32 v3, v10, v3, vcc
	v_cndmask_b32_e32 v2, v1, v2, vcc
	s_waitcnt vmcnt(0) lgkmcnt(0)
	ds_write_b32 v13, v14 offset:3168
.LBB147_23:
	v_lshlrev_b32_e32 v14, 2, v12
	v_mul_u32_u24_e32 v20, 33, v0
	v_cmp_lt_u32_e64 s[18:19], v14, v0
	v_add_lshl_u32 v13, v14, v20, 2
	s_waitcnt lgkmcnt(0)
	s_barrier
	s_and_saveexec_b64 s[4:5], s[18:19]
	s_cbranch_execz .LBB147_25
; %bb.24:
	v_mul_u32_u24_e32 v1, 0x84, v12
	v_add_lshl_u32 v1, v1, v0, 2
	ds_read_b32 v1, v1
	s_waitcnt lgkmcnt(0)
	ds_write_b32 v13, v1
.LBB147_25:
	s_or_b64 exec, exec, s[4:5]
	v_or_b32_e32 v1, 1, v14
	v_cmp_lt_u32_e64 s[8:9], v1, v0
	s_and_saveexec_b64 s[4:5], s[8:9]
	s_cbranch_execz .LBB147_27
; %bb.26:
	v_mul_u32_u24_e32 v1, 33, v1
	v_add_lshl_u32 v1, v1, v0, 2
	ds_read_b32 v1, v1
	s_waitcnt lgkmcnt(0)
	ds_write_b32 v13, v1 offset:4
.LBB147_27:
	s_or_b64 exec, exec, s[4:5]
	v_or_b32_e32 v1, 2, v14
	v_cmp_lt_u32_e64 s[10:11], v1, v0
	s_and_saveexec_b64 s[4:5], s[10:11]
	s_cbranch_execz .LBB147_29
; %bb.28:
	v_mul_u32_u24_e32 v1, 33, v1
	v_add_lshl_u32 v1, v1, v0, 2
	ds_read_b32 v1, v1
	s_waitcnt lgkmcnt(0)
	ds_write_b32 v13, v1 offset:8
.LBB147_29:
	s_or_b64 exec, exec, s[4:5]
	v_or_b32_e32 v1, 3, v14
	v_cmp_lt_u32_e64 s[12:13], v1, v0
	v_mad_u32_u24 v1, v1, 33, v0
	v_lshlrev_b32_e32 v15, 2, v1
	s_and_saveexec_b64 s[4:5], s[12:13]
	s_cbranch_execz .LBB147_31
; %bb.30:
	ds_read_b32 v1, v15
	s_waitcnt lgkmcnt(0)
	ds_write_b32 v13, v1 offset:12
.LBB147_31:
	s_or_b64 exec, exec, s[4:5]
	v_mul_u32_u24_e32 v1, 0x84, v12
	v_add_u32_e32 v24, 0xfffffef8, v15
	s_waitcnt lgkmcnt(0)
	s_barrier
	v_add_lshl_u32 v23, v1, v0, 2
	v_lshlrev_b32_e32 v22, 2, v14
	ds_read2_b32 v[10:11], v24 offset1:33
	ds_read_b32 v30, v23
	ds_read_b128 v[26:29], v22 offset:4544
	ds_read_b32 v33, v15
	v_add_lshl_u32 v21, v12, v20, 2
	s_waitcnt lgkmcnt(3)
	v_mov_b32_e32 v31, v10
	v_mov_b32_e32 v32, v11
	s_waitcnt lgkmcnt(1)
	v_pk_mul_f32 v[26:27], v[30:31], v[26:27]
	v_add_f32_e32 v1, 0, v26
	v_add_f32_e32 v1, v1, v27
	s_waitcnt lgkmcnt(0)
	v_pk_mul_f32 v[10:11], v[32:33], v[28:29]
	v_add_f32_e32 v1, v1, v10
	v_add_f32_e32 v1, v1, v11
	v_cmp_gt_u32_e64 s[4:5], 32, v19
	v_mov_b32_e32 v17, 0
	s_barrier
	ds_write_b32 v21, v1
	s_waitcnt lgkmcnt(0)
	s_barrier
	s_and_saveexec_b64 s[14:15], s[4:5]
	s_cbranch_execz .LBB147_33
; %bb.32:
	v_lshlrev_b32_e32 v1, 2, v20
	ds_read2_b32 v[10:11], v1 offset1:1
	ds_read2_b32 v[26:27], v1 offset0:2 offset1:3
	ds_read2_b32 v[28:29], v1 offset0:4 offset1:5
	;; [unrolled: 1-line block ×3, first 2 shown]
	s_waitcnt lgkmcnt(3)
	v_add_f32_e32 v1, v10, v11
	s_waitcnt lgkmcnt(2)
	v_add_f32_e32 v1, v1, v26
	v_add_f32_e32 v1, v1, v27
	s_waitcnt lgkmcnt(1)
	v_add_f32_e32 v1, v1, v28
	;; [unrolled: 3-line block ×3, first 2 shown]
	v_add_f32_e32 v17, v1, v31
.LBB147_33:
	s_or_b64 exec, exec, s[14:15]
	s_lshl_b64 s[22:23], s[24:25], 7
	v_mov_b32_e32 v1, s23
	v_add_co_u32_e32 v10, vcc, s22, v2
	v_addc_co_u32_e32 v11, vcc, v3, v1, vcc
	v_add_co_u32_e32 v2, vcc, 0x80, v10
	v_cndmask_b32_e64 v1, 0, 1, s[42:43]
	s_mov_b64 s[16:17], vcc
	s_lshl_b64 s[40:41], s[24:25], 5
	v_cmp_ne_u32_e64 s[14:15], 1, v1
	s_andn2_b64 vcc, exec, s[42:43]
	v_addc_co_u32_e64 v1, s[16:17], 0, v11, s[16:17]
	s_barrier
	s_cbranch_vccnz .LBB147_35
; %bb.34:
	flat_load_dword v3, v[10:11] offset:128
	v_mul_u32_u24_e32 v25, 33, v12
	v_mov_b32_e32 v28, s41
	v_add_lshl_u32 v25, v25, v0, 2
	v_add_co_u32_e32 v26, vcc, s40, v10
	v_addc_co_u32_e32 v27, vcc, v11, v28, vcc
	s_mul_i32 s29, s25, 0x60
	s_waitcnt vmcnt(0) lgkmcnt(0)
	ds_write_b32 v25, v3
	flat_load_dword v3, v[26:27] offset:128
	v_add_co_u32_e32 v26, vcc, s40, v26
	v_addc_co_u32_e32 v27, vcc, v27, v28, vcc
	s_waitcnt vmcnt(0) lgkmcnt(0)
	ds_write_b32 v25, v3 offset:1056
	flat_load_dword v3, v[26:27] offset:128
	v_mov_b32_e32 v26, 0x60
	v_mad_u64_u32 v[10:11], s[16:17], s24, v26, v[10:11]
	v_add_u32_e32 v11, s29, v11
	s_waitcnt vmcnt(0) lgkmcnt(0)
	ds_write_b32 v25, v3 offset:2112
	flat_load_dword v3, v[10:11] offset:128
	s_waitcnt vmcnt(0) lgkmcnt(0)
	ds_write_b32 v25, v3 offset:3168
	s_cbranch_execz .LBB147_36
	s_branch .LBB147_45
.LBB147_35:
.LBB147_36:
	v_or_b32_e32 v3, 32, v0
	v_lshlrev_b32_e32 v10, 2, v3
	v_sub_co_u32_e32 v10, vcc, v2, v10
	s_ashr_i32 s29, s28, 31
	v_subbrev_co_u32_e32 v11, vcc, 0, v1, vcc
	s_lshl_b64 s[42:43], s[28:29], 2
	v_mov_b32_e32 v26, s43
	v_add_co_u32_e32 v10, vcc, s42, v10
	v_addc_co_u32_e32 v11, vcc, v11, v26, vcc
	v_add_co_u32_e32 v10, vcc, -4, v10
	v_addc_co_u32_e32 v11, vcc, -1, v11, vcc
	v_cmp_gt_i32_e64 s[16:17], s28, v3
	s_sub_i32 s29, s28, 32
	v_mov_b32_e32 v25, 0
	v_cndmask_b32_e64 v11, v11, v1, s[16:17]
	v_cndmask_b32_e64 v10, v10, v2, s[16:17]
	v_cmp_gt_i32_e32 vcc, s29, v12
	v_mov_b32_e32 v26, 0
	s_and_saveexec_b64 s[44:45], vcc
	s_cbranch_execz .LBB147_38
; %bb.37:
	flat_load_dword v26, v[10:11]
.LBB147_38:
	s_or_b64 exec, exec, s[44:45]
	v_mul_u32_u24_e32 v3, 33, v12
	v_add_lshl_u32 v3, v3, v0, 2
	s_waitcnt vmcnt(0) lgkmcnt(0)
	ds_write_b32 v3, v26
	v_add_u32_e32 v26, 8, v12
	v_cmp_gt_i32_e32 vcc, s29, v26
	s_and_saveexec_b64 s[44:45], vcc
	s_cbranch_execz .LBB147_40
; %bb.39:
	v_mov_b32_e32 v25, s41
	v_add_co_u32_e32 v26, vcc, s40, v10
	v_addc_co_u32_e32 v27, vcc, v11, v25, vcc
	flat_load_dword v25, v[26:27]
.LBB147_40:
	s_or_b64 exec, exec, s[44:45]
	s_waitcnt vmcnt(0) lgkmcnt(0)
	ds_write_b32 v3, v25 offset:1056
	v_add_u32_e32 v25, 16, v12
	v_cmp_gt_i32_e32 vcc, s29, v25
	v_mov_b32_e32 v25, 0
	v_mov_b32_e32 v26, 0
	s_and_saveexec_b64 s[44:45], vcc
	s_cbranch_execz .LBB147_42
; %bb.41:
	s_lshl_b64 s[46:47], s[24:25], 6
	v_mov_b32_e32 v27, s47
	v_add_co_u32_e32 v26, vcc, s46, v10
	v_addc_co_u32_e32 v27, vcc, v11, v27, vcc
	flat_load_dword v26, v[26:27]
.LBB147_42:
	s_or_b64 exec, exec, s[44:45]
	s_waitcnt vmcnt(0) lgkmcnt(0)
	ds_write_b32 v3, v26 offset:2112
	v_add_u32_e32 v26, 24, v12
	v_cmp_gt_i32_e32 vcc, s29, v26
	s_and_saveexec_b64 s[44:45], vcc
	s_cbranch_execz .LBB147_44
; %bb.43:
	v_mov_b32_e32 v25, 0x60
	v_mad_u64_u32 v[26:27], s[46:47], s24, v25, v[10:11]
	s_mul_i32 s29, s25, 0x60
	v_add_u32_e32 v27, s29, v27
	flat_load_dword v25, v[26:27]
.LBB147_44:
	s_or_b64 exec, exec, s[44:45]
	s_waitcnt vmcnt(0) lgkmcnt(0)
	ds_write_b32 v3, v25 offset:3168
	v_lshlrev_b32_e32 v3, 2, v0
	v_add_co_u32_e32 v3, vcc, v10, v3
	v_addc_co_u32_e32 v10, vcc, 0, v11, vcc
	v_mov_b32_e32 v11, s43
	v_subrev_co_u32_e32 v3, vcc, s42, v3
	v_subb_co_u32_e32 v10, vcc, v10, v11, vcc
	v_add_co_u32_e32 v3, vcc, 0x84, v3
	v_addc_co_u32_e32 v10, vcc, 0, v10, vcc
	v_cndmask_b32_e64 v1, v10, v1, s[16:17]
	v_cndmask_b32_e64 v2, v3, v2, s[16:17]
.LBB147_45:
	v_add_u32_e32 v22, 0x11c0, v22
	s_waitcnt lgkmcnt(0)
	s_barrier
	s_and_saveexec_b64 s[16:17], s[18:19]
	s_cbranch_execnz .LBB147_54
; %bb.46:
	s_or_b64 exec, exec, s[16:17]
	s_and_saveexec_b64 s[16:17], s[8:9]
	s_cbranch_execnz .LBB147_55
.LBB147_47:
	s_or_b64 exec, exec, s[16:17]
	s_and_saveexec_b64 s[8:9], s[10:11]
	s_cbranch_execnz .LBB147_56
.LBB147_48:
	s_or_b64 exec, exec, s[8:9]
	s_and_saveexec_b64 s[8:9], s[12:13]
	s_cbranch_execz .LBB147_50
.LBB147_49:
	ds_read_b32 v3, v15
	s_waitcnt lgkmcnt(0)
	ds_write_b32 v13, v3 offset:12
.LBB147_50:
	s_or_b64 exec, exec, s[8:9]
	s_waitcnt lgkmcnt(0)
	s_barrier
	ds_read_b32 v3, v23
	ds_read_b128 v[26:29], v22 offset:128
	ds_read2_b32 v[10:11], v24 offset1:33
	ds_read_b32 v15, v15
	v_cmp_eq_u32_e64 s[10:11], 1, v12
	s_waitcnt lgkmcnt(0)
	v_fma_f32 v3, v3, v26, 0
	v_fmac_f32_e32 v3, v10, v27
	v_fmac_f32_e32 v3, v11, v28
	;; [unrolled: 1-line block ×3, first 2 shown]
	s_barrier
	ds_write_b32 v21, v3
	s_waitcnt lgkmcnt(0)
	s_barrier
	s_and_saveexec_b64 s[8:9], s[10:11]
	s_cbranch_execz .LBB147_52
; %bb.51:
	v_lshlrev_b32_e32 v3, 2, v20
	ds_read2_b32 v[10:11], v3 offset1:1
	ds_read2_b32 v[24:25], v3 offset0:2 offset1:3
	ds_read2_b32 v[26:27], v3 offset0:4 offset1:5
	;; [unrolled: 1-line block ×3, first 2 shown]
	s_waitcnt lgkmcnt(3)
	v_add_f32_e32 v3, v10, v11
	s_waitcnt lgkmcnt(2)
	v_add_f32_e32 v3, v3, v24
	v_add_f32_e32 v3, v3, v25
	s_waitcnt lgkmcnt(1)
	v_add_f32_e32 v3, v3, v26
	;; [unrolled: 3-line block ×3, first 2 shown]
	v_add_f32_e32 v17, v3, v29
.LBB147_52:
	s_or_b64 exec, exec, s[8:9]
	s_lshl_b64 s[8:9], s[40:41], 2
	v_mov_b32_e32 v3, s9
	v_subrev_co_u32_e64 v10, s[8:9], s8, v2
	s_and_b64 vcc, exec, s[14:15]
	v_subb_co_u32_e64 v11, s[8:9], v1, v3, s[8:9]
	s_barrier
	s_cbranch_vccnz .LBB147_57
; %bb.53:
	flat_load_dword v15, v[10:11]
	v_mad_u32_u24 v1, v12, 33, v0
	v_mov_b32_e32 v23, s41
	v_lshlrev_b32_e32 v28, 2, v1
	v_add_co_u32_e32 v2, vcc, s40, v10
	v_addc_co_u32_e32 v3, vcc, v11, v23, vcc
	s_mul_i32 s12, s25, 0x60
	v_add_u32_e32 v24, 24, v12
	v_add_u32_e32 v27, 0x108, v1
	v_add_u32_e32 v25, 0x210, v1
	v_add_u32_e32 v26, 0x318, v1
	s_waitcnt vmcnt(0) lgkmcnt(0)
	ds_write_b32 v28, v15
	flat_load_dword v15, v[2:3]
	v_add_co_u32_e32 v2, vcc, s40, v2
	v_addc_co_u32_e32 v3, vcc, v3, v23, vcc
	v_add_u32_e32 v23, 16, v12
	s_waitcnt vmcnt(0) lgkmcnt(0)
	ds_write_b32 v28, v15 offset:1056
	flat_load_dword v15, v[2:3]
	v_mov_b32_e32 v2, 0x60
	v_mad_u64_u32 v[2:3], s[8:9], s24, v2, v[10:11]
	v_add_u32_e32 v3, s12, v3
	s_waitcnt vmcnt(0) lgkmcnt(0)
	ds_write_b32 v28, v15 offset:2112
	flat_load_dword v2, v[2:3]
	v_add_u32_e32 v15, 8, v12
	s_waitcnt vmcnt(0) lgkmcnt(0)
	ds_write_b32 v28, v2 offset:3168
	s_cbranch_execz .LBB147_58
	s_branch .LBB147_67
.LBB147_54:
	ds_read_b32 v3, v23
	s_waitcnt lgkmcnt(0)
	ds_write_b32 v13, v3
	s_or_b64 exec, exec, s[16:17]
	s_and_saveexec_b64 s[16:17], s[8:9]
	s_cbranch_execz .LBB147_47
.LBB147_55:
	ds_read_b32 v3, v24
	s_waitcnt lgkmcnt(0)
	ds_write_b32 v13, v3 offset:4
	s_or_b64 exec, exec, s[16:17]
	s_and_saveexec_b64 s[8:9], s[10:11]
	s_cbranch_execz .LBB147_48
.LBB147_56:
	ds_read_b32 v3, v24 offset:132
	s_waitcnt lgkmcnt(0)
	ds_write_b32 v13, v3 offset:8
	s_or_b64 exec, exec, s[8:9]
	s_and_saveexec_b64 s[8:9], s[12:13]
	s_cbranch_execnz .LBB147_49
	s_branch .LBB147_50
.LBB147_57:
                                        ; implicit-def: $vgpr1
                                        ; implicit-def: $vgpr15
                                        ; implicit-def: $vgpr27
                                        ; implicit-def: $vgpr23
                                        ; implicit-def: $vgpr25
                                        ; implicit-def: $vgpr24
                                        ; implicit-def: $vgpr26
.LBB147_58:
	v_or_b32_e32 v1, 32, v0
	v_lshlrev_b32_e32 v2, 2, v1
	v_sub_co_u32_e32 v2, vcc, v10, v2
	s_ashr_i32 s29, s28, 31
	v_subbrev_co_u32_e32 v3, vcc, 0, v11, vcc
	s_lshl_b64 s[12:13], s[28:29], 2
	v_mov_b32_e32 v15, s13
	v_add_co_u32_e32 v2, vcc, s12, v2
	v_addc_co_u32_e32 v3, vcc, v3, v15, vcc
	v_add_co_u32_e32 v2, vcc, -4, v2
	v_addc_co_u32_e32 v3, vcc, -1, v3, vcc
	v_cmp_gt_i32_e64 s[8:9], s28, v1
	v_mov_b32_e32 v23, 0
	v_cndmask_b32_e64 v3, v3, v11, s[8:9]
	v_cndmask_b32_e64 v2, v2, v10, s[8:9]
	v_cmp_gt_i32_e32 vcc, s28, v12
	v_mov_b32_e32 v15, 0
	s_and_saveexec_b64 s[14:15], vcc
	s_cbranch_execz .LBB147_60
; %bb.59:
	flat_load_dword v15, v[2:3]
.LBB147_60:
	s_or_b64 exec, exec, s[14:15]
	v_mad_u32_u24 v1, v12, 33, v0
	v_lshlrev_b32_e32 v28, 2, v1
	s_waitcnt vmcnt(0) lgkmcnt(0)
	ds_write_b32 v28, v15
	v_add_u32_e32 v15, 8, v12
	v_cmp_gt_i32_e32 vcc, s28, v15
	s_and_saveexec_b64 s[14:15], vcc
	s_cbranch_execz .LBB147_62
; %bb.61:
	v_mov_b32_e32 v23, s41
	v_add_co_u32_e32 v24, vcc, s40, v2
	v_addc_co_u32_e32 v25, vcc, v3, v23, vcc
	flat_load_dword v23, v[24:25]
.LBB147_62:
	s_or_b64 exec, exec, s[14:15]
	s_waitcnt vmcnt(0) lgkmcnt(0)
	ds_write_b32 v28, v23 offset:1056
	v_add_u32_e32 v23, 16, v12
	v_cmp_gt_i32_e32 vcc, s28, v23
	v_mov_b32_e32 v29, 0
	v_mov_b32_e32 v24, 0
	s_and_saveexec_b64 s[14:15], vcc
	s_cbranch_execz .LBB147_64
; %bb.63:
	s_lshl_b64 s[16:17], s[24:25], 6
	v_mov_b32_e32 v25, s17
	v_add_co_u32_e32 v24, vcc, s16, v2
	v_addc_co_u32_e32 v25, vcc, v3, v25, vcc
	flat_load_dword v24, v[24:25]
.LBB147_64:
	s_or_b64 exec, exec, s[14:15]
	s_waitcnt vmcnt(0) lgkmcnt(0)
	ds_write_b32 v28, v24 offset:2112
	v_add_u32_e32 v24, 24, v12
	v_cmp_gt_i32_e32 vcc, s28, v24
	s_and_saveexec_b64 s[14:15], vcc
	s_cbranch_execz .LBB147_66
; %bb.65:
	v_mov_b32_e32 v12, 0x60
	v_mad_u64_u32 v[26:27], s[16:17], s24, v12, v[2:3]
	s_mul_i32 s16, s25, 0x60
	v_add_u32_e32 v27, s16, v27
	flat_load_dword v29, v[26:27]
.LBB147_66:
	s_or_b64 exec, exec, s[14:15]
	v_lshlrev_b32_e32 v0, 2, v0
	v_add_co_u32_e32 v0, vcc, v2, v0
	v_addc_co_u32_e32 v2, vcc, 0, v3, vcc
	v_mov_b32_e32 v3, s13
	v_subrev_co_u32_e32 v0, vcc, s12, v0
	v_subb_co_u32_e32 v2, vcc, v2, v3, vcc
	v_add_co_u32_e32 v0, vcc, 0x84, v0
	v_addc_co_u32_e32 v2, vcc, 0, v2, vcc
	v_add_u32_e32 v27, 0x108, v1
	v_add_u32_e32 v25, 0x210, v1
	;; [unrolled: 1-line block ×3, first 2 shown]
	v_cndmask_b32_e64 v11, v2, v11, s[8:9]
	v_cndmask_b32_e64 v10, v0, v10, s[8:9]
	s_waitcnt vmcnt(0) lgkmcnt(0)
	ds_write_b32 v28, v29 offset:3168
.LBB147_67:
	s_waitcnt lgkmcnt(0)
	s_barrier
	v_lshlrev_b32_e32 v0, 2, v1
	ds_read_b32 v28, v14 offset:4544
	v_lshlrev_b32_e32 v1, 2, v27
	ds_read_b32 v27, v0
	ds_read_b32 v29, v1
	v_lshlrev_b32_e32 v0, 2, v15
	v_lshlrev_b32_e32 v1, 2, v25
	;; [unrolled: 1-line block ×5, first 2 shown]
	ds_read_b32 v23, v0 offset:4544
	ds_read_b32 v24, v1
	ds_read_b32 v25, v2 offset:4544
	ds_read_b32 v26, v3
	ds_read_b32 v30, v12 offset:4544
	ds_read2_b32 v[14:15], v13 offset1:1
	ds_read_b128 v[0:3], v22 offset:128
	ds_read2_b32 v[12:13], v13 offset0:2 offset1:3
	s_waitcnt lgkmcnt(9)
	v_fma_f32 v22, v27, v28, 0
	s_waitcnt lgkmcnt(7)
	v_fmac_f32_e32 v22, v29, v23
	s_waitcnt lgkmcnt(5)
	v_fmac_f32_e32 v22, v24, v25
	;; [unrolled: 2-line block ×3, first 2 shown]
	s_waitcnt lgkmcnt(0)
	s_barrier
	ds_write_b32 v21, v22
	s_waitcnt lgkmcnt(0)
	s_barrier
	s_and_saveexec_b64 s[8:9], s[10:11]
	s_cbranch_execz .LBB147_69
; %bb.68:
	v_lshlrev_b32_e32 v28, 2, v20
	ds_read2_b32 v[22:23], v28 offset1:1
	ds_read2_b32 v[24:25], v28 offset0:2 offset1:3
	ds_read2_b32 v[26:27], v28 offset0:4 offset1:5
	;; [unrolled: 1-line block ×3, first 2 shown]
	s_waitcnt lgkmcnt(3)
	v_add_f32_e32 v17, v17, v22
	v_add_f32_e32 v17, v17, v23
	s_waitcnt lgkmcnt(2)
	v_add_f32_e32 v17, v17, v24
	v_add_f32_e32 v17, v17, v25
	;; [unrolled: 3-line block ×4, first 2 shown]
.LBB147_69:
	s_or_b64 exec, exec, s[8:9]
	v_fma_f32 v0, v14, v0, 0
	v_fmac_f32_e32 v0, v15, v1
	v_fmac_f32_e32 v0, v12, v2
	v_fmac_f32_e32 v0, v13, v3
	s_barrier
	ds_write_b32 v21, v0
	s_waitcnt lgkmcnt(0)
	s_barrier
	s_and_saveexec_b64 s[8:9], s[4:5]
	s_cbranch_execz .LBB147_71
; %bb.70:
	v_lshlrev_b32_e32 v14, 2, v20
	ds_read2_b32 v[0:1], v14 offset1:1
	ds_read2_b32 v[2:3], v14 offset0:2 offset1:3
	ds_read2_b32 v[12:13], v14 offset0:4 offset1:5
	;; [unrolled: 1-line block ×3, first 2 shown]
	s_waitcnt lgkmcnt(3)
	v_add_f32_e32 v0, v17, v0
	v_add_f32_e32 v0, v0, v1
	s_waitcnt lgkmcnt(2)
	v_add_f32_e32 v0, v0, v2
	v_add_f32_e32 v0, v0, v3
	;; [unrolled: 3-line block ×4, first 2 shown]
.LBB147_71:
	s_or_b64 exec, exec, s[8:9]
	s_mul_hi_u32 s4, s7, s26
	s_mul_i32 s33, s33, s26
	s_add_i32 s4, s4, s33
	s_mul_i32 s8, s7, s26
	s_mul_i32 s4, s4, s27
	s_mul_hi_u32 s5, s8, s27
	s_add_i32 s5, s5, s4
	s_mul_i32 s4, s8, s27
	s_lshl_b64 s[4:5], s[4:5], 2
	s_add_u32 s8, s34, s4
	s_mul_i32 s4, s6, s7
	s_addc_u32 s9, s35, s5
	s_ashr_i32 s5, s4, 31
	s_lshl_b64 s[4:5], s[4:5], 2
	s_add_u32 s7, s8, s4
	v_cmp_le_i32_e32 vcc, s28, v18
	s_addc_u32 s26, s9, s5
	s_and_b64 vcc, s[38:39], vcc
	s_cmp_lt_i32 s6, 1
	v_lshlrev_b32_e32 v12, 2, v18
	s_barrier
	s_cbranch_scc1 .LBB147_78
; %bb.72:
	s_mul_i32 s4, s30, s21
	s_mul_hi_u32 s5, s30, s20
	s_add_i32 s4, s5, s4
	s_mul_i32 s5, s31, s20
	s_add_i32 s5, s4, s5
	s_mul_i32 s4, s30, s20
	s_lshl_b64 s[4:5], s[4:5], 2
	v_mov_b32_e32 v0, s5
	v_subrev_co_u32_e64 v6, s[4:5], s4, v6
	v_subb_co_u32_e64 v7, s[4:5], v7, v0, s[4:5]
	v_mov_b32_e32 v0, s37
	v_subrev_co_u32_e64 v1, s[4:5], s36, v10
	v_subb_co_u32_e64 v0, s[4:5], v11, v0, s[4:5]
	v_lshlrev_b32_e32 v3, 2, v16
	v_sub_co_u32_e64 v8, s[4:5], v1, v8
	v_subb_co_u32_e64 v9, s[4:5], v0, v9, s[4:5]
	v_mad_u64_u32 v[0:1], s[4:5], v3, s24, 0
	v_mov_b32_e32 v2, v1
	v_mad_u64_u32 v[2:3], s[4:5], v3, s25, v[2:3]
	v_mov_b32_e32 v1, v2
	v_lshlrev_b64 v[0:1], 2, v[0:1]
	v_add_co_u32_e64 v0, s[4:5], v8, v0
	v_addc_co_u32_e64 v1, s[4:5], v9, v1, s[4:5]
	s_movk_i32 s4, 0xff80
	v_add_co_u32_e64 v0, s[4:5], s4, v0
	v_addc_co_u32_e64 v2, s[4:5], -1, v1, s[4:5]
	s_ashr_i32 s29, s28, 31
	s_lshl_b64 s[4:5], s[28:29], 2
	v_mov_b32_e32 v1, s5
	v_add_co_u32_e64 v3, s[4:5], s4, v0
	v_addc_co_u32_e64 v1, s[4:5], v2, v1, s[4:5]
	v_add_co_u32_e64 v8, s[4:5], -4, v3
	v_addc_co_u32_e64 v3, s[4:5], -1, v1, s[4:5]
	v_add_co_u32_e64 v0, s[4:5], v0, v12
	v_addc_co_u32_e64 v2, s[4:5], 0, v2, s[4:5]
	v_cndmask_b32_e32 v3, v2, v3, vcc
	v_cndmask_b32_e32 v2, v0, v8, vcc
	v_lshrrev_b32_e32 v0, 2, v19
	v_and_b32_e32 v21, 48, v18
	s_mul_i32 s31, s25, 0x8c
	s_mul_hi_u32 s33, s24, 0x8c
	v_and_b32_e32 v20, 15, v18
	v_and_b32_e32 v0, 0x7ffc, v0
	v_lshlrev_b32_e32 v10, 2, v21
	s_movk_i32 s8, 0x10c
	v_or_b32_e32 v11, 60, v12
	v_and_b32_e32 v13, 0x1fff0, v19
	s_movk_i32 s9, 0x430
	s_add_i32 s38, s33, s31
	s_mul_i32 s33, s25, 0xc0
	s_mul_hi_u32 s34, s24, 0xc0
	v_mad_u32_u24 v10, v20, s8, v10
	v_mad_u32_u24 v11, v20, s8, v11
	;; [unrolled: 1-line block ×5, first 2 shown]
	s_mul_i32 s8, s25, 12
	s_mul_hi_u32 s9, s24, 12
	s_add_i32 s39, s34, s33
	s_mul_i32 s34, s25, 0xc8
	s_mul_hi_u32 s35, s24, 0xc8
	s_add_i32 s8, s9, s8
	;; [unrolled: 3-line block ×5, first 2 shown]
	s_mul_i32 s36, s25, 0xc4
	s_mul_hi_u32 s37, s24, 0xc4
	s_lshl_b64 s[10:11], s[24:25], 2
	s_lshl_b64 s[12:13], s[24:25], 3
	;; [unrolled: 1-line block ×4, first 2 shown]
	s_add_i32 s18, s19, s18
	s_mul_i32 s19, s25, 0x88
	s_mul_hi_u32 s30, s24, 0x88
	s_add_i32 s42, s37, s36
	s_mul_i32 s37, s25, 0x84
	s_mul_hi_u32 s43, s24, 0x84
	s_mulk_i32 s25, 0x44
	s_mul_hi_u32 s44, s24, 0x44
	v_mov_b32_e32 v14, 0x10c0
	s_add_i32 s19, s30, s19
	s_add_i32 s43, s43, s37
	;; [unrolled: 1-line block ×3, first 2 shown]
	v_mov_b32_e32 v1, 0
	v_add_u32_e32 v8, 0x10c0, v12
	v_add_u32_e32 v9, 0x11c0, v12
	v_cmp_gt_u32_e64 s[4:5], 64, v19
	v_lshl_add_u32 v14, v16, 4, v14
	s_mul_i32 s27, s24, 12
	s_mul_i32 s28, s24, 0x48
	;; [unrolled: 1-line block ×10, first 2 shown]
	s_mulk_i32 s24, 0x44
	v_or_b32_e32 v19, v21, v20
	s_mov_b32 s25, 0
	v_mov_b32_e32 v20, s11
	v_mov_b32_e32 v21, s13
	;; [unrolled: 1-line block ×15, first 2 shown]
	s_branch .LBB147_74
.LBB147_73:                             ;   in Loop: Header=BB147_74 Depth=1
	s_or_b64 exec, exec, s[18:19]
	v_fmac_f32_e32 v17, v35, v39
	v_fmac_f32_e32 v17, v36, v40
	v_fmac_f32_e32 v17, v37, v41
	v_fmac_f32_e32 v17, v38, v42
	v_fmac_f32_e32 v17, v46, v47
	v_fmac_f32_e32 v17, v44, v48
	v_fmac_f32_e32 v17, v43, v49
	v_fmac_f32_e32 v17, v45, v50
	v_fmac_f32_e32 v17, v54, v55
	v_fmac_f32_e32 v17, v52, v56
	v_fmac_f32_e32 v17, v51, v57
	v_fmac_f32_e32 v17, v53, v58
	v_fmac_f32_e32 v17, v62, v63
	v_fmac_f32_e32 v17, v60, v64
	v_fmac_f32_e32 v17, v59, v65
	v_mov_b32_e32 v0, s15
	s_add_i32 s25, s25, 64
	s_add_i32 s6, s6, -1
	v_add_co_u32_e64 v2, s[8:9], s14, v2
	v_fmac_f32_e32 v17, v61, v66
	s_cmp_eq_u32 s6, 0
	v_addc_co_u32_e64 v3, s[8:9], v3, v0, s[8:9]
	s_barrier
	s_cbranch_scc1 .LBB147_78
.LBB147_74:                             ; =>This Inner Loop Header: Depth=1
	s_and_saveexec_b64 s[18:19], s[2:3]
	s_cbranch_execz .LBB147_76
; %bb.75:                               ;   in Loop: Header=BB147_74 Depth=1
	s_mul_i32 s8, s25, s21
	s_mul_hi_u32 s9, s25, s20
	s_add_i32 s9, s9, s8
	s_mul_i32 s8, s25, s20
	s_lshl_b64 s[8:9], s[8:9], 2
	v_mov_b32_e32 v0, s9
	v_add_co_u32_e64 v36, s[8:9], s8, v6
	v_addc_co_u32_e64 v37, s[8:9], v7, v0, s[8:9]
	flat_load_dword v0, v[36:37]
	s_waitcnt vmcnt(0) lgkmcnt(0)
	ds_write_b32 v8, v0
.LBB147_76:                             ;   in Loop: Header=BB147_74 Depth=1
	s_or_b64 exec, exec, s[18:19]
	v_add_co_u32_e64 v38, s[8:9], s10, v2
	v_addc_co_u32_e64 v39, s[8:9], v3, v20, s[8:9]
	v_add_co_u32_e64 v40, s[8:9], s12, v2
	s_waitcnt lgkmcnt(0)
	s_barrier
	flat_load_dword v35, v[2:3]
	v_addc_co_u32_e64 v41, s[8:9], v3, v21, s[8:9]
	flat_load_dword v36, v[38:39]
	flat_load_dword v37, v[40:41]
	v_add_co_u32_e64 v38, s[8:9], s27, v2
	v_addc_co_u32_e64 v39, s[8:9], v3, v22, s[8:9]
	flat_load_dword v38, v[38:39]
	ds_read_b32 v0, v9
	ds_read_b32 v39, v14
	v_add_co_u32_e64 v48, s[8:9], s16, v2
	v_addc_co_u32_e64 v49, s[8:9], v3, v23, s[8:9]
	v_add_co_u32_e64 v50, s[8:9], s24, v2
	v_addc_co_u32_e64 v51, s[8:9], v3, v24, s[8:9]
	v_add_co_u32_e64 v52, s[8:9], s28, v2
	v_addc_co_u32_e64 v53, s[8:9], v3, v25, s[8:9]
	v_add_co_u32_e64 v54, s[8:9], s29, v2
	v_addc_co_u32_e64 v55, s[8:9], v3, v26, s[8:9]
	v_add_co_u32_e64 v56, s[8:9], s22, v2
	v_addc_co_u32_e64 v57, s[8:9], v3, v27, s[8:9]
	v_add_co_u32_e64 v58, s[8:9], s37, v2
	v_addc_co_u32_e64 v59, s[8:9], v3, v28, s[8:9]
	v_add_co_u32_e64 v60, s[8:9], s30, v2
	v_addc_co_u32_e64 v61, s[8:9], v3, v29, s[8:9]
	v_add_co_u32_e64 v62, s[8:9], s31, v2
	v_addc_co_u32_e64 v63, s[8:9], v3, v30, s[8:9]
	v_add_co_u32_e64 v72, s[8:9], s33, v2
	v_addc_co_u32_e64 v73, s[8:9], v3, v31, s[8:9]
	v_add_co_u32_e64 v74, s[8:9], s36, v2
	v_addc_co_u32_e64 v75, s[8:9], v3, v32, s[8:9]
	v_add_co_u32_e64 v76, s[8:9], s34, v2
	v_addc_co_u32_e64 v77, s[8:9], v3, v33, s[8:9]
	v_add_co_u32_e64 v78, s[8:9], s35, v2
	v_addc_co_u32_e64 v79, s[8:9], v3, v34, s[8:9]
	s_waitcnt vmcnt(0) lgkmcnt(0)
	v_mul_f32_e32 v40, v35, v0
	ds_write_b32 v15, v40
	v_mul_f32_e32 v41, v36, v0
	v_mul_f32_e32 v42, v37, v0
	ds_read_b32 v40, v14 offset:4
	ds_write_b32 v15, v41 offset:268
	ds_read_b32 v41, v14 offset:8
	ds_write_b32 v15, v42 offset:536
	v_mul_f32_e32 v0, v38, v0
	ds_read_b32 v42, v14 offset:12
	ds_write_b32 v15, v0 offset:804
	s_waitcnt lgkmcnt(0)
	s_barrier
	ds_read2_b32 v[64:65], v13 offset1:1
	ds_read2_b32 v[66:67], v13 offset0:2 offset1:3
	s_waitcnt lgkmcnt(0)
	s_barrier
	flat_load_dword v46, v[48:49]
	flat_load_dword v44, v[50:51]
	;; [unrolled: 1-line block ×4, first 2 shown]
	ds_read_b32 v0, v9
	ds_read_b32 v47, v14 offset:64
	s_waitcnt vmcnt(0) lgkmcnt(0)
	v_mul_f32_e32 v48, v46, v0
	v_mul_f32_e32 v49, v44, v0
	ds_write_b32 v15, v48
	v_mul_f32_e32 v50, v43, v0
	ds_read_b32 v48, v14 offset:68
	ds_write_b32 v15, v49 offset:268
	v_mul_f32_e32 v0, v45, v0
	ds_read_b32 v49, v14 offset:72
	ds_write_b32 v15, v50 offset:536
	ds_read_b32 v50, v14 offset:76
	ds_write_b32 v15, v0 offset:804
	s_waitcnt lgkmcnt(0)
	s_barrier
	ds_read2_b32 v[68:69], v13 offset1:1
	ds_read2_b32 v[70:71], v13 offset0:2 offset1:3
	s_waitcnt lgkmcnt(0)
	s_barrier
	flat_load_dword v54, v[56:57]
	flat_load_dword v52, v[58:59]
	;; [unrolled: 1-line block ×4, first 2 shown]
	ds_read_b32 v0, v9
	ds_read_b32 v55, v14 offset:128
	v_add_f32_e32 v63, 0, v68
	v_add_f32_e32 v63, v63, v69
	;; [unrolled: 1-line block ×3, first 2 shown]
	s_waitcnt vmcnt(0) lgkmcnt(0)
	v_mul_f32_e32 v56, v54, v0
	v_mul_f32_e32 v57, v52, v0
	ds_write_b32 v15, v56
	v_mul_f32_e32 v58, v51, v0
	ds_read_b32 v56, v14 offset:132
	ds_write_b32 v15, v57 offset:268
	v_mul_f32_e32 v0, v53, v0
	ds_read_b32 v57, v14 offset:136
	ds_write_b32 v15, v58 offset:536
	ds_read_b32 v58, v14 offset:140
	ds_write_b32 v15, v0 offset:804
	s_waitcnt lgkmcnt(0)
	s_barrier
	ds_read2_b32 v[80:81], v13 offset1:1
	ds_read2_b32 v[82:83], v13 offset0:2 offset1:3
	s_waitcnt lgkmcnt(0)
	s_barrier
	flat_load_dword v62, v[72:73]
	flat_load_dword v60, v[74:75]
	;; [unrolled: 1-line block ×4, first 2 shown]
	v_add_f32_e32 v0, 0, v64
	v_add_f32_e32 v0, v0, v65
	;; [unrolled: 1-line block ×5, first 2 shown]
	ds_read_b32 v64, v9
	ds_read_b32 v63, v14 offset:192
	v_add_f32_e32 v65, 0, v80
	v_add_f32_e32 v65, v65, v81
	;; [unrolled: 1-line block ×4, first 2 shown]
	s_waitcnt vmcnt(0) lgkmcnt(0)
	v_mul_f32_e32 v65, v62, v64
	v_mul_f32_e32 v66, v60, v64
	ds_write_b32 v15, v65
	v_mul_f32_e32 v68, v59, v64
	v_mul_f32_e32 v69, v61, v64
	ds_read_b32 v64, v14 offset:196
	ds_write_b32 v15, v66 offset:268
	ds_read_b32 v65, v14 offset:200
	ds_write_b32 v15, v68 offset:536
	;; [unrolled: 2-line block ×3, first 2 shown]
	s_waitcnt lgkmcnt(0)
	s_barrier
	ds_read2_b32 v[68:69], v13 offset1:1
	ds_read2_b32 v[70:71], v13 offset0:2 offset1:3
	s_waitcnt lgkmcnt(0)
	s_barrier
	ds_write2_b32 v18, v0, v67 offset1:16
	v_add_f32_e32 v0, 0, v68
	v_add_f32_e32 v0, v0, v69
	;; [unrolled: 1-line block ×4, first 2 shown]
	ds_write2_b32 v18, v72, v0 offset0:32 offset1:48
	s_waitcnt lgkmcnt(0)
	s_barrier
	s_and_saveexec_b64 s[18:19], s[4:5]
	s_cbranch_execz .LBB147_73
; %bb.77:                               ;   in Loop: Header=BB147_74 Depth=1
	ds_read2_b32 v[68:69], v10 offset1:1
	ds_read2_b32 v[70:71], v10 offset0:2 offset1:3
	ds_read2_b32 v[72:73], v10 offset0:4 offset1:5
	;; [unrolled: 1-line block ×3, first 2 shown]
	s_waitcnt lgkmcnt(3)
	v_add_f32_e32 v0, v68, v69
	s_waitcnt lgkmcnt(2)
	v_add_f32_e32 v0, v0, v70
	v_add_f32_e32 v0, v0, v71
	ds_read2_b32 v[68:69], v10 offset0:8 offset1:9
	s_waitcnt lgkmcnt(2)
	v_add_f32_e32 v0, v0, v72
	v_add_f32_e32 v0, v0, v73
	s_waitcnt lgkmcnt(1)
	v_add_f32_e32 v0, v0, v74
	v_add_f32_e32 v0, v0, v75
	ds_read2_b32 v[70:71], v10 offset0:10 offset1:11
	ds_read2_b32 v[72:73], v10 offset0:12 offset1:13
	ds_read_b32 v67, v10 offset:56
	s_waitcnt lgkmcnt(3)
	v_add_f32_e32 v0, v0, v68
	v_add_f32_e32 v0, v0, v69
	s_waitcnt lgkmcnt(2)
	v_add_f32_e32 v0, v0, v70
	ds_read_b32 v68, v11
	v_add_f32_e32 v0, v0, v71
	s_waitcnt lgkmcnt(2)
	v_add_f32_e32 v0, v0, v72
	v_add_f32_e32 v0, v0, v73
	s_waitcnt lgkmcnt(1)
	v_add_f32_e32 v0, v0, v67
	s_waitcnt lgkmcnt(0)
	v_add_f32_e32 v67, v0, v68
	v_add_u32_e32 v0, s25, v19
	v_lshlrev_b64 v[68:69], 2, v[0:1]
	v_mov_b32_e32 v0, s26
	v_add_co_u32_e64 v68, s[8:9], s7, v68
	v_addc_co_u32_e64 v69, s[8:9], v0, v69, s[8:9]
	global_store_dword v[68:69], v67, off
	s_branch .LBB147_73
.LBB147_78:
	s_movk_i32 s2, 0x10c
	s_or_b64 s[0:1], s[0:1], vcc
	v_mad_u32_u24 v0, v16, s2, v12
	s_xor_b64 s[0:1], s[0:1], -1
	ds_write_b32 v0, v17
	s_waitcnt lgkmcnt(0)
	s_barrier
	s_and_saveexec_b64 s[2:3], s[0:1]
	s_cbranch_execz .LBB147_80
; %bb.79:
	ds_read2_b32 v[0:1], v12 offset1:67
	ds_read2_b32 v[2:3], v12 offset0:134 offset1:201
	v_lshlrev_b64 v[4:5], 2, v[4:5]
	v_mov_b32_e32 v6, s26
	s_waitcnt lgkmcnt(1)
	v_add_f32_e32 v0, v0, v1
	s_waitcnt lgkmcnt(0)
	v_add_f32_e32 v0, v0, v2
	v_add_f32_e32 v2, v0, v3
	v_add_co_u32_e32 v0, vcc, s7, v4
	v_addc_co_u32_e32 v1, vcc, v6, v5, vcc
	global_store_dword v[0:1], v2, off
.LBB147_80:
	s_endpgm
	.section	.rodata,"a",@progbits
	.p2align	6, 0x0
	.amdhsa_kernel _ZL26rocblas_hemvn_kernel_lowerILb0ELi64ELi4ELi33ELi32ELi16ElPKfPKS1_PfEviT6_lT7_lT5_lS6_lS7_lS5_lT8_i
		.amdhsa_group_segment_fixed_size 4800
		.amdhsa_private_segment_fixed_size 0
		.amdhsa_kernarg_size 376
		.amdhsa_user_sgpr_count 6
		.amdhsa_user_sgpr_private_segment_buffer 1
		.amdhsa_user_sgpr_dispatch_ptr 0
		.amdhsa_user_sgpr_queue_ptr 0
		.amdhsa_user_sgpr_kernarg_segment_ptr 1
		.amdhsa_user_sgpr_dispatch_id 0
		.amdhsa_user_sgpr_flat_scratch_init 0
		.amdhsa_user_sgpr_kernarg_preload_length 0
		.amdhsa_user_sgpr_kernarg_preload_offset 0
		.amdhsa_user_sgpr_private_segment_size 0
		.amdhsa_uses_dynamic_stack 0
		.amdhsa_system_sgpr_private_segment_wavefront_offset 0
		.amdhsa_system_sgpr_workgroup_id_x 1
		.amdhsa_system_sgpr_workgroup_id_y 0
		.amdhsa_system_sgpr_workgroup_id_z 1
		.amdhsa_system_sgpr_workgroup_info 0
		.amdhsa_system_vgpr_workitem_id 1
		.amdhsa_next_free_vgpr 84
		.amdhsa_next_free_sgpr 48
		.amdhsa_accum_offset 84
		.amdhsa_reserve_vcc 1
		.amdhsa_reserve_flat_scratch 0
		.amdhsa_float_round_mode_32 0
		.amdhsa_float_round_mode_16_64 0
		.amdhsa_float_denorm_mode_32 3
		.amdhsa_float_denorm_mode_16_64 3
		.amdhsa_dx10_clamp 1
		.amdhsa_ieee_mode 1
		.amdhsa_fp16_overflow 0
		.amdhsa_tg_split 0
		.amdhsa_exception_fp_ieee_invalid_op 0
		.amdhsa_exception_fp_denorm_src 0
		.amdhsa_exception_fp_ieee_div_zero 0
		.amdhsa_exception_fp_ieee_overflow 0
		.amdhsa_exception_fp_ieee_underflow 0
		.amdhsa_exception_fp_ieee_inexact 0
		.amdhsa_exception_int_div_zero 0
	.end_amdhsa_kernel
	.section	.text._ZL26rocblas_hemvn_kernel_lowerILb0ELi64ELi4ELi33ELi32ELi16ElPKfPKS1_PfEviT6_lT7_lT5_lS6_lS7_lS5_lT8_i,"axG",@progbits,_ZL26rocblas_hemvn_kernel_lowerILb0ELi64ELi4ELi33ELi32ELi16ElPKfPKS1_PfEviT6_lT7_lT5_lS6_lS7_lS5_lT8_i,comdat
.Lfunc_end147:
	.size	_ZL26rocblas_hemvn_kernel_lowerILb0ELi64ELi4ELi33ELi32ELi16ElPKfPKS1_PfEviT6_lT7_lT5_lS6_lS7_lS5_lT8_i, .Lfunc_end147-_ZL26rocblas_hemvn_kernel_lowerILb0ELi64ELi4ELi33ELi32ELi16ElPKfPKS1_PfEviT6_lT7_lT5_lS6_lS7_lS5_lT8_i
                                        ; -- End function
	.section	.AMDGPU.csdata,"",@progbits
; Kernel info:
; codeLenInByte = 6008
; NumSgprs: 52
; NumVgprs: 84
; NumAgprs: 0
; TotalNumVgprs: 84
; ScratchSize: 0
; MemoryBound: 0
; FloatMode: 240
; IeeeMode: 1
; LDSByteSize: 4800 bytes/workgroup (compile time only)
; SGPRBlocks: 6
; VGPRBlocks: 10
; NumSGPRsForWavesPerEU: 52
; NumVGPRsForWavesPerEU: 84
; AccumOffset: 84
; Occupancy: 5
; WaveLimiterHint : 1
; COMPUTE_PGM_RSRC2:SCRATCH_EN: 0
; COMPUTE_PGM_RSRC2:USER_SGPR: 6
; COMPUTE_PGM_RSRC2:TRAP_HANDLER: 0
; COMPUTE_PGM_RSRC2:TGID_X_EN: 1
; COMPUTE_PGM_RSRC2:TGID_Y_EN: 0
; COMPUTE_PGM_RSRC2:TGID_Z_EN: 1
; COMPUTE_PGM_RSRC2:TIDIG_COMP_CNT: 1
; COMPUTE_PGM_RSRC3_GFX90A:ACCUM_OFFSET: 20
; COMPUTE_PGM_RSRC3_GFX90A:TG_SPLIT: 0
	.section	.text._ZL36rocblas_hemvn_kernel_lower_block_sumILi64ElPKfPKPffEviT1_lS5_lT2_lT0_lPT3_i,"axG",@progbits,_ZL36rocblas_hemvn_kernel_lower_block_sumILi64ElPKfPKPffEviT1_lS5_lT2_lT0_lPT3_i,comdat
	.globl	_ZL36rocblas_hemvn_kernel_lower_block_sumILi64ElPKfPKPffEviT1_lS5_lT2_lT0_lPT3_i ; -- Begin function _ZL36rocblas_hemvn_kernel_lower_block_sumILi64ElPKfPKPffEviT1_lS5_lT2_lT0_lPT3_i
	.p2align	8
	.type	_ZL36rocblas_hemvn_kernel_lower_block_sumILi64ElPKfPKPffEviT1_lS5_lT2_lT0_lPT3_i,@function
_ZL36rocblas_hemvn_kernel_lower_block_sumILi64ElPKfPKPffEviT1_lS5_lT2_lT0_lPT3_i: ; @_ZL36rocblas_hemvn_kernel_lower_block_sumILi64ElPKfPKPffEviT1_lS5_lT2_lT0_lPT3_i
; %bb.0:
	s_load_dwordx8 s[12:19], s[4:5], 0x8
	s_mov_b32 s10, s7
	s_waitcnt lgkmcnt(0)
	s_mul_i32 s0, s7, s15
	s_mul_hi_u32 s1, s7, s14
	s_add_i32 s1, s1, s0
	s_mul_i32 s0, s7, s14
	s_lshl_b64 s[0:1], s[0:1], 2
	s_add_u32 s0, s12, s0
	s_addc_u32 s1, s13, s1
	s_load_dword s7, s[0:1], 0x0
	s_mul_i32 s0, s10, s19
	s_mul_hi_u32 s1, s10, s18
	s_add_i32 s1, s1, s0
	s_mul_i32 s0, s10, s18
	s_lshl_b64 s[0:1], s[0:1], 2
	s_add_u32 s0, s16, s0
	s_addc_u32 s1, s17, s1
	s_load_dword s19, s[0:1], 0x0
	s_waitcnt lgkmcnt(0)
	v_cmp_eq_f32_e64 s[0:1], s7, 0
	v_cmp_eq_f32_e64 s[2:3], s19, 1.0
	s_and_b64 s[0:1], s[0:1], s[2:3]
	s_and_b64 vcc, exec, s[0:1]
	s_cbranch_vccnz .LBB148_19
; %bb.1:
	s_load_dwordx2 s[8:9], s[4:5], 0x28
	s_mov_b32 s11, 0
	s_lshl_b64 s[14:15], s[10:11], 3
	s_load_dword s12, s[4:5], 0x0
	s_load_dwordx4 s[0:3], s[4:5], 0x30
	v_lshl_or_b32 v2, s6, 6, v0
	s_waitcnt lgkmcnt(0)
	s_add_u32 s8, s8, s14
	s_addc_u32 s9, s9, s15
	s_load_dwordx2 s[8:9], s[8:9], 0x0
	s_lshl_b64 s[0:1], s[0:1], 2
	v_cmp_neq_f32_e64 s[14:15], s7, 0
	s_waitcnt lgkmcnt(0)
	s_add_u32 s11, s8, s0
	s_addc_u32 s18, s9, s1
	s_and_b64 vcc, exec, s[14:15]
	v_cmp_gt_i32_e64 s[0:1], s12, v2
	s_cbranch_vccnz .LBB148_6
; %bb.2:
	s_mov_b64 s[14:15], 0
	s_mov_b64 s[8:9], 0
                                        ; implicit-def: $vgpr3
                                        ; implicit-def: $vgpr0_vgpr1
	s_and_saveexec_b64 s[16:17], s[0:1]
	s_cbranch_execz .LBB148_7
; %bb.3:
	v_ashrrev_i32_e32 v0, 31, v2
	v_cmp_eq_f32_e64 s[0:1], s19, 0
	v_mul_lo_u32 v4, v2, s3
	v_mul_lo_u32 v5, v0, s2
	v_mad_u64_u32 v[0:1], s[8:9], v2, s2, 0
	v_mov_b32_e32 v3, 0
	v_add3_u32 v1, v1, v4, v5
	s_and_b64 vcc, exec, s[0:1]
	s_cbranch_vccnz .LBB148_5
; %bb.4:
	v_lshlrev_b64 v[4:5], 2, v[0:1]
	v_mov_b32_e32 v3, s18
	v_add_co_u32_e32 v4, vcc, s11, v4
	v_addc_co_u32_e32 v5, vcc, v3, v5, vcc
	global_load_dword v3, v[4:5], off
	s_waitcnt vmcnt(0)
	v_mul_f32_e32 v3, s19, v3
.LBB148_5:
	s_mov_b64 s[8:9], exec
	s_or_b64 exec, exec, s[16:17]
	s_and_b64 vcc, exec, s[14:15]
	s_cbranch_vccnz .LBB148_8
	s_branch .LBB148_17
.LBB148_6:
	s_mov_b64 s[8:9], 0
                                        ; implicit-def: $vgpr3
                                        ; implicit-def: $vgpr0_vgpr1
	s_cbranch_execnz .LBB148_8
	s_branch .LBB148_17
.LBB148_7:
	s_or_b64 exec, exec, s[16:17]
	s_and_b64 vcc, exec, s[14:15]
	s_cbranch_vccz .LBB148_17
.LBB148_8:
	v_cmp_gt_i32_e32 vcc, s12, v2
                                        ; implicit-def: $vgpr3
                                        ; implicit-def: $vgpr0_vgpr1
	s_and_saveexec_b64 s[0:1], vcc
	s_cbranch_execz .LBB148_16
; %bb.9:
	s_load_dword s14, s[4:5], 0x58
	v_mov_b32_e32 v4, 0
	s_waitcnt lgkmcnt(0)
	s_cmp_ge_i32 s6, s14
	s_cbranch_scc1 .LBB148_12
; %bb.10:
	s_ashr_i32 s13, s12, 31
	s_mul_i32 s15, s6, s12
	s_load_dwordx2 s[4:5], s[4:5], 0x48
	v_add_u32_e32 v0, s15, v2
	s_mul_hi_u32 s15, s12, s10
	s_mul_i32 s16, s13, s10
	s_add_i32 s15, s15, s16
	s_mul_i32 s10, s12, s10
	s_mul_i32 s15, s15, s14
	s_mul_hi_u32 s16, s10, s14
	s_add_i32 s17, s16, s15
	s_mul_i32 s16, s10, s14
	s_lshl_b64 s[16:17], s[16:17], 2
	v_ashrrev_i32_e32 v1, 31, v0
	s_waitcnt lgkmcnt(0)
	s_add_u32 s4, s4, s16
	v_lshlrev_b64 v[0:1], 2, v[0:1]
	s_addc_u32 s5, s5, s17
	v_mov_b32_e32 v3, s5
	v_add_co_u32_e32 v0, vcc, s4, v0
	s_lshl_b64 s[4:5], s[12:13], 2
	v_addc_co_u32_e32 v1, vcc, v3, v1, vcc
	v_mov_b32_e32 v4, 0
	v_mov_b32_e32 v3, s5
.LBB148_11:                             ; =>This Inner Loop Header: Depth=1
	global_load_dword v5, v[0:1], off
	s_add_i32 s6, s6, 1
	v_add_co_u32_e32 v0, vcc, s4, v0
	v_addc_co_u32_e32 v1, vcc, v1, v3, vcc
	s_cmp_ge_i32 s6, s14
	s_waitcnt vmcnt(0)
	v_add_f32_e32 v4, v4, v5
	s_cbranch_scc0 .LBB148_11
.LBB148_12:
	v_cmp_eq_f32_e64 s[4:5], s19, 0
	v_ashrrev_i32_e32 v0, 31, v2
	s_and_b64 vcc, exec, s[4:5]
	v_mul_lo_u32 v5, v2, s3
	v_mul_lo_u32 v6, v0, s2
	s_cbranch_vccz .LBB148_20
; %bb.13:
	v_mad_u64_u32 v[0:1], s[4:5], v2, s2, 0
	v_mul_f32_e32 v3, s7, v4
	v_add3_u32 v1, v1, v5, v6
	s_cbranch_execnz .LBB148_15
.LBB148_14:
	v_mad_u64_u32 v[0:1], s[2:3], v2, s2, 0
	v_add3_u32 v1, v1, v5, v6
	v_lshlrev_b64 v[2:3], 2, v[0:1]
	v_mov_b32_e32 v5, s18
	v_add_co_u32_e32 v2, vcc, s11, v2
	v_addc_co_u32_e32 v3, vcc, v5, v3, vcc
	global_load_dword v2, v[2:3], off
	s_waitcnt vmcnt(0)
	v_mul_f32_e32 v3, s19, v2
	v_fmac_f32_e32 v3, s7, v4
.LBB148_15:
	s_or_b64 s[8:9], s[8:9], exec
.LBB148_16:
	s_or_b64 exec, exec, s[0:1]
.LBB148_17:
	s_and_saveexec_b64 s[0:1], s[8:9]
	s_cbranch_execz .LBB148_19
; %bb.18:
	v_lshlrev_b64 v[0:1], 2, v[0:1]
	v_mov_b32_e32 v2, s18
	v_add_co_u32_e32 v0, vcc, s11, v0
	v_addc_co_u32_e32 v1, vcc, v2, v1, vcc
	global_store_dword v[0:1], v3, off
.LBB148_19:
	s_endpgm
.LBB148_20:
                                        ; implicit-def: $vgpr3
                                        ; implicit-def: $vgpr0_vgpr1
	s_branch .LBB148_14
	.section	.rodata,"a",@progbits
	.p2align	6, 0x0
	.amdhsa_kernel _ZL36rocblas_hemvn_kernel_lower_block_sumILi64ElPKfPKPffEviT1_lS5_lT2_lT0_lPT3_i
		.amdhsa_group_segment_fixed_size 0
		.amdhsa_private_segment_fixed_size 0
		.amdhsa_kernarg_size 344
		.amdhsa_user_sgpr_count 6
		.amdhsa_user_sgpr_private_segment_buffer 1
		.amdhsa_user_sgpr_dispatch_ptr 0
		.amdhsa_user_sgpr_queue_ptr 0
		.amdhsa_user_sgpr_kernarg_segment_ptr 1
		.amdhsa_user_sgpr_dispatch_id 0
		.amdhsa_user_sgpr_flat_scratch_init 0
		.amdhsa_user_sgpr_kernarg_preload_length 0
		.amdhsa_user_sgpr_kernarg_preload_offset 0
		.amdhsa_user_sgpr_private_segment_size 0
		.amdhsa_uses_dynamic_stack 0
		.amdhsa_system_sgpr_private_segment_wavefront_offset 0
		.amdhsa_system_sgpr_workgroup_id_x 1
		.amdhsa_system_sgpr_workgroup_id_y 0
		.amdhsa_system_sgpr_workgroup_id_z 1
		.amdhsa_system_sgpr_workgroup_info 0
		.amdhsa_system_vgpr_workitem_id 0
		.amdhsa_next_free_vgpr 7
		.amdhsa_next_free_sgpr 20
		.amdhsa_accum_offset 8
		.amdhsa_reserve_vcc 1
		.amdhsa_reserve_flat_scratch 0
		.amdhsa_float_round_mode_32 0
		.amdhsa_float_round_mode_16_64 0
		.amdhsa_float_denorm_mode_32 3
		.amdhsa_float_denorm_mode_16_64 3
		.amdhsa_dx10_clamp 1
		.amdhsa_ieee_mode 1
		.amdhsa_fp16_overflow 0
		.amdhsa_tg_split 0
		.amdhsa_exception_fp_ieee_invalid_op 0
		.amdhsa_exception_fp_denorm_src 0
		.amdhsa_exception_fp_ieee_div_zero 0
		.amdhsa_exception_fp_ieee_overflow 0
		.amdhsa_exception_fp_ieee_underflow 0
		.amdhsa_exception_fp_ieee_inexact 0
		.amdhsa_exception_int_div_zero 0
	.end_amdhsa_kernel
	.section	.text._ZL36rocblas_hemvn_kernel_lower_block_sumILi64ElPKfPKPffEviT1_lS5_lT2_lT0_lPT3_i,"axG",@progbits,_ZL36rocblas_hemvn_kernel_lower_block_sumILi64ElPKfPKPffEviT1_lS5_lT2_lT0_lPT3_i,comdat
.Lfunc_end148:
	.size	_ZL36rocblas_hemvn_kernel_lower_block_sumILi64ElPKfPKPffEviT1_lS5_lT2_lT0_lPT3_i, .Lfunc_end148-_ZL36rocblas_hemvn_kernel_lower_block_sumILi64ElPKfPKPffEviT1_lS5_lT2_lT0_lPT3_i
                                        ; -- End function
	.section	.AMDGPU.csdata,"",@progbits
; Kernel info:
; codeLenInByte = 716
; NumSgprs: 24
; NumVgprs: 7
; NumAgprs: 0
; TotalNumVgprs: 7
; ScratchSize: 0
; MemoryBound: 0
; FloatMode: 240
; IeeeMode: 1
; LDSByteSize: 0 bytes/workgroup (compile time only)
; SGPRBlocks: 2
; VGPRBlocks: 0
; NumSGPRsForWavesPerEU: 24
; NumVGPRsForWavesPerEU: 7
; AccumOffset: 8
; Occupancy: 8
; WaveLimiterHint : 1
; COMPUTE_PGM_RSRC2:SCRATCH_EN: 0
; COMPUTE_PGM_RSRC2:USER_SGPR: 6
; COMPUTE_PGM_RSRC2:TRAP_HANDLER: 0
; COMPUTE_PGM_RSRC2:TGID_X_EN: 1
; COMPUTE_PGM_RSRC2:TGID_Y_EN: 0
; COMPUTE_PGM_RSRC2:TGID_Z_EN: 1
; COMPUTE_PGM_RSRC2:TIDIG_COMP_CNT: 0
; COMPUTE_PGM_RSRC3_GFX90A:ACCUM_OFFSET: 1
; COMPUTE_PGM_RSRC3_GFX90A:TG_SPLIT: 0
	.section	.text._ZL26rocblas_hemvn_kernel_lowerILb0ELi64ELi4ELi33ELi32ELi16EiPKfPKS1_PfEviT6_lT7_lT5_lS6_lS7_lS5_lT8_i,"axG",@progbits,_ZL26rocblas_hemvn_kernel_lowerILb0ELi64ELi4ELi33ELi32ELi16EiPKfPKS1_PfEviT6_lT7_lT5_lS6_lS7_lS5_lT8_i,comdat
	.globl	_ZL26rocblas_hemvn_kernel_lowerILb0ELi64ELi4ELi33ELi32ELi16EiPKfPKS1_PfEviT6_lT7_lT5_lS6_lS7_lS5_lT8_i ; -- Begin function _ZL26rocblas_hemvn_kernel_lowerILb0ELi64ELi4ELi33ELi32ELi16EiPKfPKS1_PfEviT6_lT7_lT5_lS6_lS7_lS5_lT8_i
	.p2align	8
	.type	_ZL26rocblas_hemvn_kernel_lowerILb0ELi64ELi4ELi33ELi32ELi16EiPKfPKS1_PfEviT6_lT7_lT5_lS6_lS7_lS5_lT8_i,@function
_ZL26rocblas_hemvn_kernel_lowerILb0ELi64ELi4ELi33ELi32ELi16EiPKfPKS1_PfEviT6_lT7_lT5_lS6_lS7_lS5_lT8_i: ; @_ZL26rocblas_hemvn_kernel_lowerILb0ELi64ELi4ELi33ELi32ELi16EiPKfPKS1_PfEviT6_lT7_lT5_lS6_lS7_lS5_lT8_i
; %bb.0:
	s_load_dwordx2 s[0:1], s[4:5], 0x84
	s_add_u32 s2, s4, 0x78
	s_mov_b32 s20, s7
	s_addc_u32 s3, s5, 0
	s_waitcnt lgkmcnt(0)
	s_lshr_b32 s7, s0, 16
	s_and_b32 s0, s0, 0xffff
	s_and_b32 s1, s1, 0xffff
	s_mul_i32 s0, s7, s0
	s_mul_i32 s0, s0, s1
	s_cmpk_lg_i32 s0, 0x100
	s_cbranch_scc1 .LBB149_80
; %bb.1:
	s_load_dwordx8 s[8:15], s[4:5], 0x8
	s_load_dwordx4 s[16:19], s[4:5], 0x58
	s_waitcnt lgkmcnt(0)
	s_mul_i32 s1, s20, s11
	s_mul_hi_u32 s7, s20, s10
	s_mul_i32 s0, s20, s10
	s_add_i32 s1, s7, s1
	s_lshl_b64 s[0:1], s[0:1], 2
	s_add_u32 s0, s8, s0
	s_addc_u32 s1, s9, s1
	s_mul_i32 s10, s20, s19
	s_load_dword s7, s[0:1], 0x0
	s_mul_hi_u32 s0, s20, s18
	s_add_i32 s1, s0, s10
	s_mul_i32 s0, s20, s18
	s_lshl_b64 s[0:1], s[0:1], 2
	s_add_u32 s0, s16, s0
	s_addc_u32 s1, s17, s1
	s_load_dword s8, s[0:1], 0x0
	s_waitcnt lgkmcnt(0)
	v_cmp_eq_f32_e64 s[0:1], s7, 0
	v_cmp_eq_f32_e64 s[8:9], s8, 1.0
	s_and_b64 s[8:9], s[0:1], s[8:9]
	s_and_b64 vcc, exec, s[8:9]
	s_cbranch_vccnz .LBB149_80
; %bb.2:
	s_mov_b32 s21, 0
	v_cmp_neq_f32_e64 s[16:17], s7, 0
	s_mov_b64 s[10:11], 0
	s_and_b64 vcc, exec, s[0:1]
	s_mov_b64 s[8:9], 0
	s_cbranch_vccnz .LBB149_4
; %bb.3:
	s_lshl_b64 s[0:1], s[20:21], 3
	s_add_u32 s0, s12, s0
	s_addc_u32 s1, s13, s1
	s_load_dwordx2 s[0:1], s[0:1], 0x0
	s_lshl_b64 s[8:9], s[14:15], 2
	s_waitcnt lgkmcnt(0)
	s_add_u32 s8, s0, s8
	s_addc_u32 s9, s1, s9
.LBB149_4:
	v_cndmask_b32_e64 v1, 0, 1, s[16:17]
	v_cmp_ne_u32_e64 s[0:1], 1, v1
	s_andn2_b64 vcc, exec, s[16:17]
	s_cbranch_vccnz .LBB149_6
; %bb.5:
	s_load_dwordx4 s[12:15], s[4:5], 0x38
	s_lshl_b64 s[10:11], s[20:21], 3
	s_waitcnt lgkmcnt(0)
	s_add_u32 s10, s12, s10
	s_addc_u32 s11, s13, s11
	s_load_dwordx2 s[10:11], s[10:11], 0x0
	s_lshl_b64 s[12:13], s[14:15], 2
	s_waitcnt lgkmcnt(0)
	s_add_u32 s10, s10, s12
	s_addc_u32 s11, s11, s13
.LBB149_6:
	s_and_b64 vcc, exec, s[0:1]
	s_cbranch_vccnz .LBB149_80
; %bb.7:
	s_load_dword s33, s[2:3], 0x0
	s_load_dword s21, s[4:5], 0x0
	s_load_dwordx2 s[28:29], s[4:5], 0x68
	s_load_dword s7, s[4:5], 0x48
	v_and_b32_e32 v17, 0x3ff, v0
	s_lshl_b32 s26, s6, 6
	s_waitcnt lgkmcnt(0)
	s_ashr_i32 s42, s21, 31
	s_lshr_b32 s1, s42, 26
	v_add_u32_e32 v4, s26, v17
	v_bfe_u32 v5, v0, 10, 10
	s_add_i32 s1, s21, s1
	v_mul_lo_u32 v0, v4, s7
	s_andn2_b32 s1, s1, 63
	v_ashrrev_i32_e32 v1, 31, v0
	s_add_i32 s0, s33, -1
	s_sub_i32 s1, s21, s1
	v_lshlrev_b64 v[0:1], 2, v[0:1]
	s_cmp_eq_u32 s6, s0
	v_mov_b32_e32 v2, s11
	v_add_co_u32_e32 v6, vcc, s10, v0
	s_cselect_b32 s24, s1, 0
	v_addc_co_u32_e32 v7, vcc, v2, v1, vcc
	v_cmp_ne_u32_e64 s[0:1], 0, v5
	v_cmp_eq_u32_e64 s[2:3], 0, v5
	s_and_saveexec_b64 s[10:11], s[2:3]
	s_cbranch_execz .LBB149_11
; %bb.8:
	s_cmp_eq_u32 s24, 0
	s_cselect_b64 s[12:13], -1, 0
	v_cmp_gt_i32_e32 vcc, s24, v17
	s_or_b64 s[14:15], s[12:13], vcc
	v_mov_b32_e32 v0, 0
	s_and_saveexec_b64 s[12:13], s[14:15]
	s_cbranch_execz .LBB149_10
; %bb.9:
	flat_load_dword v0, v[6:7]
.LBB149_10:
	s_or_b64 exec, exec, s[12:13]
	v_lshlrev_b32_e32 v1, 2, v17
	s_waitcnt vmcnt(0) lgkmcnt(0)
	ds_write_b32 v1, v0 offset:4544
.LBB149_11:
	s_or_b64 exec, exec, s[10:11]
	s_load_dword s22, s[4:5], 0x28
	s_ashr_i32 s27, s26, 31
	v_lshl_add_u32 v18, v5, 6, v17
	s_lshl_b64 s[4:5], s[26:27], 2
	v_and_b32_e32 v0, 31, v17
	v_lshrrev_b32_e32 v12, 5, v18
	s_add_u32 s8, s8, s4
	s_addc_u32 s9, s9, s5
	s_waitcnt lgkmcnt(0)
	v_mad_u64_u32 v[2:3], s[4:5], v12, s22, v[0:1]
	s_mul_i32 s4, s26, s22
	s_ashr_i32 s5, s4, 31
	s_lshl_b64 s[30:31], s[4:5], 2
	v_ashrrev_i32_e32 v3, 31, v2
	s_add_u32 s4, s30, s8
	v_lshlrev_b64 v[8:9], 2, v[2:3]
	s_addc_u32 s5, s31, s9
	v_mov_b32_e32 v1, s5
	v_add_co_u32_e32 v2, vcc, s4, v8
	s_cmp_lg_u32 s24, 0
	v_addc_co_u32_e32 v3, vcc, v1, v9, vcc
	s_cselect_b64 s[34:35], -1, 0
	s_cmp_eq_u32 s24, 0
	s_cselect_b64 s[36:37], -1, 0
	s_and_b64 vcc, exec, s[34:35]
	s_cbranch_vccnz .LBB149_13
; %bb.12:
	flat_load_dword v1, v[2:3]
	s_lshl_b32 s4, s22, 3
	s_ashr_i32 s5, s4, 31
	v_mul_u32_u24_e32 v10, 33, v12
	s_lshl_b64 s[4:5], s[4:5], 2
	v_add_lshl_u32 v13, v10, v0, 2
	v_mov_b32_e32 v11, s5
	v_add_co_u32_e32 v10, vcc, s4, v2
	v_addc_co_u32_e32 v11, vcc, v3, v11, vcc
	s_ashr_i32 s23, s22, 31
	s_lshl_b64 s[4:5], s[22:23], 5
	v_mov_b32_e32 v14, s5
	s_waitcnt vmcnt(0) lgkmcnt(0)
	ds_write_b32 v13, v1
	flat_load_dword v1, v[10:11]
	v_add_co_u32_e32 v10, vcc, s4, v10
	v_addc_co_u32_e32 v11, vcc, v11, v14, vcc
	s_waitcnt vmcnt(0) lgkmcnt(0)
	ds_write_b32 v13, v1 offset:1056
	flat_load_dword v1, v[10:11]
	v_add_co_u32_e32 v10, vcc, s4, v10
	v_addc_co_u32_e32 v11, vcc, v11, v14, vcc
	s_waitcnt vmcnt(0) lgkmcnt(0)
	ds_write_b32 v13, v1 offset:2112
	flat_load_dword v1, v[10:11]
	s_waitcnt vmcnt(0) lgkmcnt(0)
	ds_write_b32 v13, v1 offset:3168
	s_cbranch_execz .LBB149_14
	s_branch .LBB149_23
.LBB149_13:
.LBB149_14:
	v_lshlrev_b32_e32 v1, 2, v0
	v_sub_co_u32_e32 v10, vcc, v2, v1
	s_ashr_i32 s25, s24, 31
	v_subbrev_co_u32_e32 v11, vcc, 0, v3, vcc
	s_lshl_b64 s[8:9], s[24:25], 2
	v_mov_b32_e32 v13, s9
	v_add_co_u32_e32 v10, vcc, s8, v10
	v_addc_co_u32_e32 v11, vcc, v11, v13, vcc
	v_add_co_u32_e32 v10, vcc, -4, v10
	v_addc_co_u32_e32 v11, vcc, -1, v11, vcc
	v_cmp_gt_i32_e32 vcc, s24, v0
	v_cndmask_b32_e32 v11, v11, v3, vcc
	v_cndmask_b32_e32 v10, v10, v2, vcc
	v_cmp_gt_i32_e64 s[4:5], s24, v12
	v_mov_b32_e32 v14, 0
	v_mov_b32_e32 v15, 0
	s_and_saveexec_b64 s[10:11], s[4:5]
	s_cbranch_execz .LBB149_16
; %bb.15:
	flat_load_dword v15, v[10:11]
.LBB149_16:
	s_or_b64 exec, exec, s[10:11]
	v_mul_u32_u24_e32 v13, 33, v12
	v_add_lshl_u32 v13, v13, v0, 2
	s_waitcnt vmcnt(0) lgkmcnt(0)
	ds_write_b32 v13, v15
	v_add_u32_e32 v15, 8, v12
	v_cmp_gt_i32_e64 s[4:5], s24, v15
	s_and_saveexec_b64 s[10:11], s[4:5]
	s_cbranch_execz .LBB149_18
; %bb.17:
	s_lshl_b32 s4, s22, 3
	s_ashr_i32 s5, s4, 31
	s_lshl_b64 s[4:5], s[4:5], 2
	v_mov_b32_e32 v15, s5
	v_add_co_u32_e64 v14, s[4:5], s4, v10
	v_addc_co_u32_e64 v15, s[4:5], v11, v15, s[4:5]
	flat_load_dword v14, v[14:15]
.LBB149_18:
	s_or_b64 exec, exec, s[10:11]
	s_waitcnt vmcnt(0) lgkmcnt(0)
	ds_write_b32 v13, v14 offset:1056
	v_add_u32_e32 v14, 16, v12
	v_cmp_gt_i32_e64 s[4:5], s24, v14
	v_mov_b32_e32 v14, 0
	v_mov_b32_e32 v15, 0
	s_and_saveexec_b64 s[10:11], s[4:5]
	s_cbranch_execz .LBB149_20
; %bb.19:
	s_lshl_b32 s4, s22, 4
	s_ashr_i32 s5, s4, 31
	s_lshl_b64 s[4:5], s[4:5], 2
	v_mov_b32_e32 v15, s5
	v_add_co_u32_e64 v20, s[4:5], s4, v10
	v_addc_co_u32_e64 v21, s[4:5], v11, v15, s[4:5]
	flat_load_dword v15, v[20:21]
.LBB149_20:
	s_or_b64 exec, exec, s[10:11]
	s_waitcnt vmcnt(0) lgkmcnt(0)
	ds_write_b32 v13, v15 offset:2112
	v_add_u32_e32 v15, 24, v12
	v_cmp_gt_i32_e64 s[4:5], s24, v15
	s_and_saveexec_b64 s[10:11], s[4:5]
	s_cbranch_execz .LBB149_22
; %bb.21:
	s_mul_i32 s4, s22, 24
	s_ashr_i32 s5, s4, 31
	s_lshl_b64 s[4:5], s[4:5], 2
	v_mov_b32_e32 v15, s5
	v_add_co_u32_e64 v14, s[4:5], s4, v10
	v_addc_co_u32_e64 v15, s[4:5], v11, v15, s[4:5]
	flat_load_dword v14, v[14:15]
.LBB149_22:
	s_or_b64 exec, exec, s[10:11]
	v_add_co_u32_e64 v1, s[4:5], v10, v1
	v_addc_co_u32_e64 v10, s[4:5], 0, v11, s[4:5]
	v_mov_b32_e32 v11, s9
	v_subrev_co_u32_e64 v1, s[4:5], s8, v1
	v_subb_co_u32_e64 v10, s[4:5], v10, v11, s[4:5]
	v_add_co_u32_e64 v1, s[4:5], 4, v1
	v_addc_co_u32_e64 v10, s[4:5], 0, v10, s[4:5]
	v_cndmask_b32_e32 v3, v10, v3, vcc
	v_cndmask_b32_e32 v2, v1, v2, vcc
	s_waitcnt vmcnt(0) lgkmcnt(0)
	ds_write_b32 v13, v14 offset:3168
.LBB149_23:
	v_lshlrev_b32_e32 v14, 2, v12
	v_mul_u32_u24_e32 v19, 33, v0
	v_cmp_lt_u32_e64 s[18:19], v14, v0
	v_add_lshl_u32 v13, v14, v19, 2
	s_waitcnt lgkmcnt(0)
	s_barrier
	s_and_saveexec_b64 s[4:5], s[18:19]
	s_cbranch_execz .LBB149_25
; %bb.24:
	v_mul_u32_u24_e32 v1, 0x84, v12
	v_add_lshl_u32 v1, v1, v0, 2
	ds_read_b32 v1, v1
	s_waitcnt lgkmcnt(0)
	ds_write_b32 v13, v1
.LBB149_25:
	s_or_b64 exec, exec, s[4:5]
	v_or_b32_e32 v1, 1, v14
	v_cmp_lt_u32_e64 s[8:9], v1, v0
	s_and_saveexec_b64 s[4:5], s[8:9]
	s_cbranch_execz .LBB149_27
; %bb.26:
	v_mul_u32_u24_e32 v1, 33, v1
	v_add_lshl_u32 v1, v1, v0, 2
	ds_read_b32 v1, v1
	s_waitcnt lgkmcnt(0)
	ds_write_b32 v13, v1 offset:4
.LBB149_27:
	s_or_b64 exec, exec, s[4:5]
	v_or_b32_e32 v1, 2, v14
	v_cmp_lt_u32_e64 s[10:11], v1, v0
	s_and_saveexec_b64 s[4:5], s[10:11]
	s_cbranch_execz .LBB149_29
; %bb.28:
	v_mul_u32_u24_e32 v1, 33, v1
	v_add_lshl_u32 v1, v1, v0, 2
	ds_read_b32 v1, v1
	s_waitcnt lgkmcnt(0)
	ds_write_b32 v13, v1 offset:8
.LBB149_29:
	s_or_b64 exec, exec, s[4:5]
	v_or_b32_e32 v1, 3, v14
	v_cmp_lt_u32_e64 s[12:13], v1, v0
	v_mad_u32_u24 v1, v1, 33, v0
	v_lshlrev_b32_e32 v15, 2, v1
	s_and_saveexec_b64 s[4:5], s[12:13]
	s_cbranch_execz .LBB149_31
; %bb.30:
	ds_read_b32 v1, v15
	s_waitcnt lgkmcnt(0)
	ds_write_b32 v13, v1 offset:12
.LBB149_31:
	s_or_b64 exec, exec, s[4:5]
	v_mul_u32_u24_e32 v1, 0x84, v12
	v_add_u32_e32 v23, 0xfffffef8, v15
	s_waitcnt lgkmcnt(0)
	s_barrier
	v_add_lshl_u32 v22, v1, v0, 2
	v_lshlrev_b32_e32 v21, 2, v14
	ds_read2_b32 v[10:11], v23 offset1:33
	ds_read_b32 v28, v22
	ds_read_b128 v[24:27], v21 offset:4544
	ds_read_b32 v31, v15
	v_add_lshl_u32 v20, v12, v19, 2
	s_waitcnt lgkmcnt(3)
	v_mov_b32_e32 v29, v10
	v_mov_b32_e32 v30, v11
	s_waitcnt lgkmcnt(1)
	v_pk_mul_f32 v[24:25], v[28:29], v[24:25]
	v_add_f32_e32 v1, 0, v24
	v_add_f32_e32 v1, v1, v25
	s_waitcnt lgkmcnt(0)
	v_pk_mul_f32 v[10:11], v[30:31], v[26:27]
	v_add_f32_e32 v1, v1, v10
	v_add_f32_e32 v1, v1, v11
	v_cmp_gt_u32_e64 s[4:5], 32, v18
	v_mov_b32_e32 v16, 0
	s_barrier
	ds_write_b32 v20, v1
	s_waitcnt lgkmcnt(0)
	s_barrier
	s_and_saveexec_b64 s[14:15], s[4:5]
	s_cbranch_execz .LBB149_33
; %bb.32:
	v_lshlrev_b32_e32 v1, 2, v19
	ds_read2_b32 v[10:11], v1 offset1:1
	ds_read2_b32 v[24:25], v1 offset0:2 offset1:3
	ds_read2_b32 v[26:27], v1 offset0:4 offset1:5
	;; [unrolled: 1-line block ×3, first 2 shown]
	s_waitcnt lgkmcnt(3)
	v_add_f32_e32 v1, v10, v11
	s_waitcnt lgkmcnt(2)
	v_add_f32_e32 v1, v1, v24
	v_add_f32_e32 v1, v1, v25
	s_waitcnt lgkmcnt(1)
	v_add_f32_e32 v1, v1, v26
	v_add_f32_e32 v1, v1, v27
	s_waitcnt lgkmcnt(0)
	v_add_f32_e32 v1, v1, v28
	v_add_f32_e32 v16, v1, v29
.LBB149_33:
	s_or_b64 exec, exec, s[14:15]
	s_lshl_b32 s14, s22, 5
	s_ashr_i32 s15, s14, 31
	s_lshl_b64 s[38:39], s[14:15], 2
	v_mov_b32_e32 v1, s39
	v_add_co_u32_e32 v10, vcc, s38, v2
	v_addc_co_u32_e32 v11, vcc, v3, v1, vcc
	v_add_co_u32_e32 v2, vcc, 0x80, v10
	v_cndmask_b32_e64 v1, 0, 1, s[36:37]
	s_mov_b64 s[16:17], vcc
	v_cmp_ne_u32_e64 s[14:15], 1, v1
	s_andn2_b64 vcc, exec, s[36:37]
	v_addc_co_u32_e64 v1, s[16:17], 0, v11, s[16:17]
	s_barrier
	s_cbranch_vccnz .LBB149_35
; %bb.34:
	flat_load_dword v3, v[10:11] offset:128
	s_lshl_b32 s16, s22, 3
	s_ashr_i32 s17, s16, 31
	v_mul_u32_u24_e32 v24, 33, v12
	s_lshl_b64 s[16:17], s[16:17], 2
	v_add_lshl_u32 v24, v24, v0, 2
	v_mov_b32_e32 v25, s17
	v_add_co_u32_e32 v10, vcc, s16, v10
	v_addc_co_u32_e32 v11, vcc, v11, v25, vcc
	s_ashr_i32 s23, s22, 31
	s_lshl_b64 s[16:17], s[22:23], 5
	v_mov_b32_e32 v25, s17
	s_waitcnt vmcnt(0) lgkmcnt(0)
	ds_write_b32 v24, v3
	flat_load_dword v3, v[10:11] offset:128
	v_add_co_u32_e32 v10, vcc, s16, v10
	v_addc_co_u32_e32 v11, vcc, v11, v25, vcc
	s_waitcnt vmcnt(0) lgkmcnt(0)
	ds_write_b32 v24, v3 offset:1056
	flat_load_dword v3, v[10:11] offset:128
	v_add_co_u32_e32 v10, vcc, s16, v10
	v_addc_co_u32_e32 v11, vcc, v11, v25, vcc
	s_waitcnt vmcnt(0) lgkmcnt(0)
	ds_write_b32 v24, v3 offset:2112
	flat_load_dword v3, v[10:11] offset:128
	s_waitcnt vmcnt(0) lgkmcnt(0)
	ds_write_b32 v24, v3 offset:3168
	s_cbranch_execz .LBB149_36
	s_branch .LBB149_45
.LBB149_35:
.LBB149_36:
	v_or_b32_e32 v3, 32, v0
	v_lshlrev_b32_e32 v10, 2, v3
	v_sub_co_u32_e32 v10, vcc, v2, v10
	s_ashr_i32 s25, s24, 31
	v_subbrev_co_u32_e32 v11, vcc, 0, v1, vcc
	s_lshl_b64 s[36:37], s[24:25], 2
	v_mov_b32_e32 v25, s37
	v_add_co_u32_e32 v10, vcc, s36, v10
	v_addc_co_u32_e32 v11, vcc, v11, v25, vcc
	v_add_co_u32_e32 v10, vcc, -4, v10
	v_addc_co_u32_e32 v11, vcc, -1, v11, vcc
	v_cmp_gt_i32_e64 s[16:17], s24, v3
	s_sub_i32 s23, s24, 32
	v_mov_b32_e32 v24, 0
	v_cndmask_b32_e64 v11, v11, v1, s[16:17]
	v_cndmask_b32_e64 v10, v10, v2, s[16:17]
	v_cmp_gt_i32_e32 vcc, s23, v12
	v_mov_b32_e32 v25, 0
	s_and_saveexec_b64 s[40:41], vcc
	s_cbranch_execz .LBB149_38
; %bb.37:
	flat_load_dword v25, v[10:11]
.LBB149_38:
	s_or_b64 exec, exec, s[40:41]
	v_mul_u32_u24_e32 v3, 33, v12
	v_add_lshl_u32 v3, v3, v0, 2
	s_waitcnt vmcnt(0) lgkmcnt(0)
	ds_write_b32 v3, v25
	v_add_u32_e32 v25, 8, v12
	v_cmp_gt_i32_e32 vcc, s23, v25
	s_and_saveexec_b64 s[40:41], vcc
	s_cbranch_execz .LBB149_40
; %bb.39:
	s_lshl_b32 s44, s22, 3
	s_ashr_i32 s45, s44, 31
	s_lshl_b64 s[44:45], s[44:45], 2
	v_mov_b32_e32 v25, s45
	v_add_co_u32_e32 v24, vcc, s44, v10
	v_addc_co_u32_e32 v25, vcc, v11, v25, vcc
	flat_load_dword v24, v[24:25]
.LBB149_40:
	s_or_b64 exec, exec, s[40:41]
	s_waitcnt vmcnt(0) lgkmcnt(0)
	ds_write_b32 v3, v24 offset:1056
	v_add_u32_e32 v24, 16, v12
	v_cmp_gt_i32_e32 vcc, s23, v24
	v_mov_b32_e32 v24, 0
	v_mov_b32_e32 v25, 0
	s_and_saveexec_b64 s[40:41], vcc
	s_cbranch_execz .LBB149_42
; %bb.41:
	s_lshl_b32 s44, s22, 4
	s_ashr_i32 s45, s44, 31
	s_lshl_b64 s[44:45], s[44:45], 2
	v_mov_b32_e32 v25, s45
	v_add_co_u32_e32 v26, vcc, s44, v10
	v_addc_co_u32_e32 v27, vcc, v11, v25, vcc
	flat_load_dword v25, v[26:27]
.LBB149_42:
	s_or_b64 exec, exec, s[40:41]
	s_waitcnt vmcnt(0) lgkmcnt(0)
	ds_write_b32 v3, v25 offset:2112
	v_add_u32_e32 v25, 24, v12
	v_cmp_gt_i32_e32 vcc, s23, v25
	s_and_saveexec_b64 s[40:41], vcc
	s_cbranch_execz .LBB149_44
; %bb.43:
	s_mul_i32 s44, s22, 24
	s_ashr_i32 s45, s44, 31
	s_lshl_b64 s[44:45], s[44:45], 2
	v_mov_b32_e32 v25, s45
	v_add_co_u32_e32 v24, vcc, s44, v10
	v_addc_co_u32_e32 v25, vcc, v11, v25, vcc
	flat_load_dword v24, v[24:25]
.LBB149_44:
	s_or_b64 exec, exec, s[40:41]
	s_waitcnt vmcnt(0) lgkmcnt(0)
	ds_write_b32 v3, v24 offset:3168
	v_lshlrev_b32_e32 v3, 2, v0
	v_add_co_u32_e32 v3, vcc, v10, v3
	v_addc_co_u32_e32 v10, vcc, 0, v11, vcc
	v_mov_b32_e32 v11, s37
	v_subrev_co_u32_e32 v3, vcc, s36, v3
	v_subb_co_u32_e32 v10, vcc, v10, v11, vcc
	v_add_co_u32_e32 v3, vcc, 0x84, v3
	v_addc_co_u32_e32 v10, vcc, 0, v10, vcc
	v_cndmask_b32_e64 v1, v10, v1, s[16:17]
	v_cndmask_b32_e64 v2, v3, v2, s[16:17]
.LBB149_45:
	v_add_u32_e32 v21, 0x11c0, v21
	s_waitcnt lgkmcnt(0)
	s_barrier
	s_and_saveexec_b64 s[16:17], s[18:19]
	s_cbranch_execnz .LBB149_54
; %bb.46:
	s_or_b64 exec, exec, s[16:17]
	s_and_saveexec_b64 s[16:17], s[8:9]
	s_cbranch_execnz .LBB149_55
.LBB149_47:
	s_or_b64 exec, exec, s[16:17]
	s_and_saveexec_b64 s[8:9], s[10:11]
	s_cbranch_execnz .LBB149_56
.LBB149_48:
	s_or_b64 exec, exec, s[8:9]
	s_and_saveexec_b64 s[8:9], s[12:13]
	s_cbranch_execz .LBB149_50
.LBB149_49:
	ds_read_b32 v3, v15
	s_waitcnt lgkmcnt(0)
	ds_write_b32 v13, v3 offset:12
.LBB149_50:
	s_or_b64 exec, exec, s[8:9]
	s_waitcnt lgkmcnt(0)
	s_barrier
	ds_read_b32 v3, v22
	ds_read_b128 v[24:27], v21 offset:128
	ds_read2_b32 v[10:11], v23 offset1:33
	ds_read_b32 v15, v15
	v_cmp_eq_u32_e64 s[10:11], 1, v12
	s_waitcnt lgkmcnt(0)
	v_fma_f32 v3, v3, v24, 0
	v_fmac_f32_e32 v3, v10, v25
	v_fmac_f32_e32 v3, v11, v26
	;; [unrolled: 1-line block ×3, first 2 shown]
	s_barrier
	ds_write_b32 v20, v3
	s_waitcnt lgkmcnt(0)
	s_barrier
	s_and_saveexec_b64 s[8:9], s[10:11]
	s_cbranch_execz .LBB149_52
; %bb.51:
	v_lshlrev_b32_e32 v3, 2, v19
	ds_read2_b32 v[10:11], v3 offset1:1
	ds_read2_b32 v[22:23], v3 offset0:2 offset1:3
	ds_read2_b32 v[24:25], v3 offset0:4 offset1:5
	;; [unrolled: 1-line block ×3, first 2 shown]
	s_waitcnt lgkmcnt(3)
	v_add_f32_e32 v3, v10, v11
	s_waitcnt lgkmcnt(2)
	v_add_f32_e32 v3, v3, v22
	v_add_f32_e32 v3, v3, v23
	s_waitcnt lgkmcnt(1)
	v_add_f32_e32 v3, v3, v24
	;; [unrolled: 3-line block ×3, first 2 shown]
	v_add_f32_e32 v16, v3, v27
.LBB149_52:
	s_or_b64 exec, exec, s[8:9]
	v_mov_b32_e32 v3, s39
	v_subrev_co_u32_e64 v10, s[8:9], s38, v2
	s_and_b64 vcc, exec, s[14:15]
	v_subb_co_u32_e64 v11, s[8:9], v1, v3, s[8:9]
	s_barrier
	s_cbranch_vccnz .LBB149_57
; %bb.53:
	flat_load_dword v15, v[10:11]
	s_lshl_b32 s8, s22, 3
	s_ashr_i32 s9, s8, 31
	v_mad_u32_u24 v1, v12, 33, v0
	s_lshl_b64 s[8:9], s[8:9], 2
	v_lshlrev_b32_e32 v27, 2, v1
	v_mov_b32_e32 v3, s9
	v_add_co_u32_e32 v2, vcc, s8, v10
	v_addc_co_u32_e32 v3, vcc, v11, v3, vcc
	s_ashr_i32 s23, s22, 31
	s_lshl_b64 s[8:9], s[22:23], 5
	v_mov_b32_e32 v22, s9
	v_add_u32_e32 v23, 24, v12
	v_add_u32_e32 v26, 0x108, v1
	;; [unrolled: 1-line block ×4, first 2 shown]
	s_waitcnt vmcnt(0) lgkmcnt(0)
	ds_write_b32 v27, v15
	flat_load_dword v15, v[2:3]
	v_add_co_u32_e32 v2, vcc, s8, v2
	v_addc_co_u32_e32 v3, vcc, v3, v22, vcc
	s_waitcnt vmcnt(0) lgkmcnt(0)
	ds_write_b32 v27, v15 offset:1056
	flat_load_dword v15, v[2:3]
	v_add_co_u32_e32 v2, vcc, s8, v2
	v_addc_co_u32_e32 v3, vcc, v3, v22, vcc
	v_add_u32_e32 v22, 16, v12
	s_waitcnt vmcnt(0) lgkmcnt(0)
	ds_write_b32 v27, v15 offset:2112
	flat_load_dword v2, v[2:3]
	v_add_u32_e32 v15, 8, v12
	s_waitcnt vmcnt(0) lgkmcnt(0)
	ds_write_b32 v27, v2 offset:3168
	s_cbranch_execz .LBB149_58
	s_branch .LBB149_67
.LBB149_54:
	ds_read_b32 v3, v22
	s_waitcnt lgkmcnt(0)
	ds_write_b32 v13, v3
	s_or_b64 exec, exec, s[16:17]
	s_and_saveexec_b64 s[16:17], s[8:9]
	s_cbranch_execz .LBB149_47
.LBB149_55:
	ds_read_b32 v3, v23
	s_waitcnt lgkmcnt(0)
	ds_write_b32 v13, v3 offset:4
	s_or_b64 exec, exec, s[16:17]
	s_and_saveexec_b64 s[8:9], s[10:11]
	s_cbranch_execz .LBB149_48
.LBB149_56:
	ds_read_b32 v3, v23 offset:132
	s_waitcnt lgkmcnt(0)
	ds_write_b32 v13, v3 offset:8
	s_or_b64 exec, exec, s[8:9]
	s_and_saveexec_b64 s[8:9], s[12:13]
	s_cbranch_execnz .LBB149_49
	s_branch .LBB149_50
.LBB149_57:
                                        ; implicit-def: $vgpr1
                                        ; implicit-def: $vgpr15
                                        ; implicit-def: $vgpr26
                                        ; implicit-def: $vgpr22
                                        ; implicit-def: $vgpr24
                                        ; implicit-def: $vgpr23
                                        ; implicit-def: $vgpr25
.LBB149_58:
	v_or_b32_e32 v1, 32, v0
	v_lshlrev_b32_e32 v2, 2, v1
	v_sub_co_u32_e32 v2, vcc, v10, v2
	s_ashr_i32 s25, s24, 31
	v_subbrev_co_u32_e32 v3, vcc, 0, v11, vcc
	s_lshl_b64 s[12:13], s[24:25], 2
	v_mov_b32_e32 v15, s13
	v_add_co_u32_e32 v2, vcc, s12, v2
	v_addc_co_u32_e32 v3, vcc, v3, v15, vcc
	v_add_co_u32_e32 v2, vcc, -4, v2
	v_addc_co_u32_e32 v3, vcc, -1, v3, vcc
	v_cmp_gt_i32_e64 s[8:9], s24, v1
	v_mov_b32_e32 v22, 0
	v_cndmask_b32_e64 v3, v3, v11, s[8:9]
	v_cndmask_b32_e64 v2, v2, v10, s[8:9]
	v_cmp_gt_i32_e32 vcc, s24, v12
	v_mov_b32_e32 v15, 0
	s_and_saveexec_b64 s[14:15], vcc
	s_cbranch_execz .LBB149_60
; %bb.59:
	flat_load_dword v15, v[2:3]
.LBB149_60:
	s_or_b64 exec, exec, s[14:15]
	v_mad_u32_u24 v1, v12, 33, v0
	v_lshlrev_b32_e32 v27, 2, v1
	s_waitcnt vmcnt(0) lgkmcnt(0)
	ds_write_b32 v27, v15
	v_add_u32_e32 v15, 8, v12
	v_cmp_gt_i32_e32 vcc, s24, v15
	s_and_saveexec_b64 s[14:15], vcc
	s_cbranch_execz .LBB149_62
; %bb.61:
	s_lshl_b32 s16, s22, 3
	s_ashr_i32 s17, s16, 31
	s_lshl_b64 s[16:17], s[16:17], 2
	v_mov_b32_e32 v23, s17
	v_add_co_u32_e32 v22, vcc, s16, v2
	v_addc_co_u32_e32 v23, vcc, v3, v23, vcc
	flat_load_dword v22, v[22:23]
.LBB149_62:
	s_or_b64 exec, exec, s[14:15]
	s_waitcnt vmcnt(0) lgkmcnt(0)
	ds_write_b32 v27, v22 offset:1056
	v_add_u32_e32 v22, 16, v12
	v_cmp_gt_i32_e32 vcc, s24, v22
	v_mov_b32_e32 v28, 0
	v_mov_b32_e32 v23, 0
	s_and_saveexec_b64 s[14:15], vcc
	s_cbranch_execz .LBB149_64
; %bb.63:
	s_lshl_b32 s16, s22, 4
	s_ashr_i32 s17, s16, 31
	s_lshl_b64 s[16:17], s[16:17], 2
	v_mov_b32_e32 v23, s17
	v_add_co_u32_e32 v24, vcc, s16, v2
	v_addc_co_u32_e32 v25, vcc, v3, v23, vcc
	flat_load_dword v23, v[24:25]
.LBB149_64:
	s_or_b64 exec, exec, s[14:15]
	s_waitcnt vmcnt(0) lgkmcnt(0)
	ds_write_b32 v27, v23 offset:2112
	v_add_u32_e32 v23, 24, v12
	v_cmp_gt_i32_e32 vcc, s24, v23
	s_and_saveexec_b64 s[14:15], vcc
	s_cbranch_execz .LBB149_66
; %bb.65:
	s_mul_i32 s16, s22, 24
	s_ashr_i32 s17, s16, 31
	s_lshl_b64 s[16:17], s[16:17], 2
	v_mov_b32_e32 v12, s17
	v_add_co_u32_e32 v24, vcc, s16, v2
	v_addc_co_u32_e32 v25, vcc, v3, v12, vcc
	flat_load_dword v28, v[24:25]
.LBB149_66:
	s_or_b64 exec, exec, s[14:15]
	v_lshlrev_b32_e32 v0, 2, v0
	v_add_co_u32_e32 v0, vcc, v2, v0
	v_addc_co_u32_e32 v2, vcc, 0, v3, vcc
	v_mov_b32_e32 v3, s13
	v_subrev_co_u32_e32 v0, vcc, s12, v0
	v_subb_co_u32_e32 v2, vcc, v2, v3, vcc
	v_add_co_u32_e32 v0, vcc, 0x84, v0
	v_addc_co_u32_e32 v2, vcc, 0, v2, vcc
	v_add_u32_e32 v26, 0x108, v1
	v_add_u32_e32 v24, 0x210, v1
	;; [unrolled: 1-line block ×3, first 2 shown]
	v_cndmask_b32_e64 v11, v2, v11, s[8:9]
	v_cndmask_b32_e64 v10, v0, v10, s[8:9]
	s_waitcnt vmcnt(0) lgkmcnt(0)
	ds_write_b32 v27, v28 offset:3168
.LBB149_67:
	s_waitcnt lgkmcnt(0)
	s_barrier
	v_lshlrev_b32_e32 v0, 2, v1
	ds_read_b32 v27, v14 offset:4544
	v_lshlrev_b32_e32 v1, 2, v26
	ds_read_b32 v26, v0
	ds_read_b32 v28, v1
	v_lshlrev_b32_e32 v0, 2, v15
	v_lshlrev_b32_e32 v1, 2, v24
	;; [unrolled: 1-line block ×5, first 2 shown]
	ds_read_b32 v22, v0 offset:4544
	ds_read_b32 v23, v1
	ds_read_b32 v24, v2 offset:4544
	ds_read_b32 v25, v3
	ds_read_b32 v29, v12 offset:4544
	ds_read2_b32 v[14:15], v13 offset1:1
	ds_read_b128 v[0:3], v21 offset:128
	ds_read2_b32 v[12:13], v13 offset0:2 offset1:3
	s_waitcnt lgkmcnt(9)
	v_fma_f32 v21, v26, v27, 0
	s_waitcnt lgkmcnt(7)
	v_fmac_f32_e32 v21, v28, v22
	s_waitcnt lgkmcnt(5)
	v_fmac_f32_e32 v21, v23, v24
	;; [unrolled: 2-line block ×3, first 2 shown]
	s_waitcnt lgkmcnt(0)
	s_barrier
	ds_write_b32 v20, v21
	s_waitcnt lgkmcnt(0)
	s_barrier
	s_and_saveexec_b64 s[8:9], s[10:11]
	s_cbranch_execz .LBB149_69
; %bb.68:
	v_lshlrev_b32_e32 v21, 2, v19
	ds_read2_b32 v[22:23], v21 offset1:1
	ds_read2_b32 v[24:25], v21 offset0:2 offset1:3
	ds_read2_b32 v[26:27], v21 offset0:4 offset1:5
	;; [unrolled: 1-line block ×3, first 2 shown]
	s_waitcnt lgkmcnt(3)
	v_add_f32_e32 v16, v16, v22
	v_add_f32_e32 v16, v16, v23
	s_waitcnt lgkmcnt(2)
	v_add_f32_e32 v16, v16, v24
	v_add_f32_e32 v16, v16, v25
	;; [unrolled: 3-line block ×4, first 2 shown]
.LBB149_69:
	s_or_b64 exec, exec, s[8:9]
	v_fma_f32 v0, v14, v0, 0
	v_fmac_f32_e32 v0, v15, v1
	v_fmac_f32_e32 v0, v12, v2
	;; [unrolled: 1-line block ×3, first 2 shown]
	s_barrier
	ds_write_b32 v20, v0
	s_waitcnt lgkmcnt(0)
	s_barrier
	s_and_saveexec_b64 s[8:9], s[4:5]
	s_cbranch_execz .LBB149_71
; %bb.70:
	v_lshlrev_b32_e32 v14, 2, v19
	ds_read2_b32 v[0:1], v14 offset1:1
	ds_read2_b32 v[2:3], v14 offset0:2 offset1:3
	ds_read2_b32 v[12:13], v14 offset0:4 offset1:5
	;; [unrolled: 1-line block ×3, first 2 shown]
	s_waitcnt lgkmcnt(3)
	v_add_f32_e32 v0, v16, v0
	v_add_f32_e32 v0, v0, v1
	s_waitcnt lgkmcnt(2)
	v_add_f32_e32 v0, v0, v2
	v_add_f32_e32 v0, v0, v3
	;; [unrolled: 3-line block ×4, first 2 shown]
.LBB149_71:
	s_or_b64 exec, exec, s[8:9]
	s_mul_hi_u32 s4, s21, s20
	s_mul_i32 s42, s42, s20
	s_add_i32 s4, s4, s42
	s_mul_i32 s8, s21, s20
	s_mul_i32 s4, s4, s33
	s_mul_hi_u32 s5, s8, s33
	s_add_i32 s5, s5, s4
	s_mul_i32 s4, s8, s33
	s_lshl_b64 s[4:5], s[4:5], 2
	s_add_u32 s8, s28, s4
	s_mul_i32 s4, s6, s21
	s_addc_u32 s9, s29, s5
	s_ashr_i32 s5, s4, 31
	s_lshl_b64 s[4:5], s[4:5], 2
	s_add_u32 s27, s8, s4
	v_cmp_le_i32_e32 vcc, s24, v17
	s_addc_u32 s28, s9, s5
	s_and_b64 vcc, s[34:35], vcc
	s_cmp_lt_i32 s6, 1
	v_lshlrev_b32_e32 v12, 2, v17
	s_barrier
	s_cbranch_scc1 .LBB149_78
; %bb.72:
	s_mul_i32 s4, s26, s7
	s_ashr_i32 s5, s4, 31
	s_lshl_b64 s[4:5], s[4:5], 2
	v_mov_b32_e32 v0, s5
	v_subrev_co_u32_e64 v6, s[4:5], s4, v6
	v_subb_co_u32_e64 v7, s[4:5], v7, v0, s[4:5]
	v_mov_b32_e32 v0, s31
	v_subrev_co_u32_e64 v1, s[4:5], s30, v10
	v_subb_co_u32_e64 v0, s[4:5], v11, v0, s[4:5]
	v_sub_co_u32_e64 v2, s[4:5], v1, v8
	v_subb_co_u32_e64 v3, s[4:5], v0, v9, s[4:5]
	v_mul_lo_u32 v0, v5, s22
	v_lshl_add_u32 v0, v0, 2, v17
	v_ashrrev_i32_e32 v1, 31, v0
	v_lshlrev_b64 v[0:1], 2, v[0:1]
	v_add_co_u32_e64 v0, s[4:5], v2, v0
	v_addc_co_u32_e64 v1, s[4:5], v3, v1, s[4:5]
	s_movk_i32 s4, 0xff80
	v_add_co_u32_e64 v0, s[4:5], s4, v0
	v_addc_co_u32_e64 v2, s[4:5], -1, v1, s[4:5]
	v_sub_co_u32_e64 v3, s[4:5], v0, v12
	v_subbrev_co_u32_e64 v8, s[4:5], 0, v2, s[4:5]
	s_ashr_i32 s25, s24, 31
	s_lshl_b64 s[4:5], s[24:25], 2
	v_mov_b32_e32 v9, s5
	v_add_co_u32_e64 v3, s[4:5], s4, v3
	v_addc_co_u32_e64 v8, s[4:5], v8, v9, s[4:5]
	v_add_co_u32_e64 v9, s[4:5], -4, v3
	v_addc_co_u32_e64 v3, s[4:5], -1, v8, s[4:5]
	v_cndmask_b32_e32 v3, v2, v3, vcc
	v_cndmask_b32_e32 v2, v0, v9, vcc
	v_lshrrev_b32_e32 v0, 2, v18
	v_and_b32_e32 v20, 48, v17
	v_and_b32_e32 v19, 15, v17
	;; [unrolled: 1-line block ×3, first 2 shown]
	v_lshlrev_b32_e32 v10, 2, v20
	s_movk_i32 s8, 0x10c
	v_or_b32_e32 v11, 60, v12
	v_and_b32_e32 v13, 0x1fff0, v18
	s_ashr_i32 s23, s22, 31
	s_movk_i32 s9, 0x430
	v_mad_u32_u24 v10, v19, s8, v10
	v_mad_u32_u24 v11, v19, s8, v11
	;; [unrolled: 1-line block ×3, first 2 shown]
	v_mov_b32_e32 v14, 0x10c0
	v_mad_u32_u24 v15, v5, s9, v12
	v_mad_u32_u24 v17, v19, s8, v0
	s_lshl_b64 s[10:11], s[22:23], 2
	s_lshl_b64 s[12:13], s[22:23], 3
	;; [unrolled: 1-line block ×3, first 2 shown]
	s_mul_hi_i32 s8, s22, 12
	s_lshl_b64 s[16:17], s[22:23], 6
	s_mul_hi_i32 s9, s22, 0x48
	s_mul_hi_i32 s21, s22, 0x4c
	s_lshl_b64 s[18:19], s[22:23], 7
	s_mul_hi_i32 s23, s22, 0x88
	s_mul_hi_i32 s38, s22, 0x8c
	s_mul_hi_i32 s39, s22, 0xc0
	s_mul_hi_i32 s40, s22, 0xc8
	s_mul_hi_i32 s41, s22, 0xcc
	s_mul_hi_i32 s42, s22, 0xc4
	s_mul_hi_i32 s43, s22, 0x84
	s_mul_hi_i32 s44, s22, 0x44
	v_mov_b32_e32 v1, 0
	s_lshl_b32 s7, s7, 6
	v_add_u32_e32 v8, 0x10c0, v12
	v_add_u32_e32 v9, 0x11c0, v12
	v_cmp_gt_u32_e64 s[4:5], 64, v18
	v_lshl_add_u32 v14, v5, 4, v14
	s_mul_i32 s24, s22, 12
	s_mul_i32 s25, s22, 0x48
	;; [unrolled: 1-line block ×11, first 2 shown]
	v_or_b32_e32 v0, v20, v19
	s_mov_b32 s20, 0
	v_mov_b32_e32 v18, s11
	v_mov_b32_e32 v19, s13
	;; [unrolled: 1-line block ×15, first 2 shown]
	s_branch .LBB149_74
.LBB149_73:                             ;   in Loop: Header=BB149_74 Depth=1
	s_or_b64 exec, exec, s[22:23]
	v_fmac_f32_e32 v16, v33, v37
	v_fmac_f32_e32 v16, v34, v38
	;; [unrolled: 1-line block ×15, first 2 shown]
	v_mov_b32_e32 v33, s15
	v_add_co_u32_e64 v2, s[8:9], s14, v2
	s_add_i32 s6, s6, -1
	s_add_i32 s20, s20, s7
	v_fmac_f32_e32 v16, v59, v64
	v_addc_co_u32_e64 v3, s[8:9], v3, v33, s[8:9]
	s_cmp_eq_u32 s6, 0
	v_add_u32_e32 v0, 64, v0
	s_barrier
	s_cbranch_scc1 .LBB149_78
.LBB149_74:                             ; =>This Inner Loop Header: Depth=1
	s_and_saveexec_b64 s[22:23], s[2:3]
	s_cbranch_execz .LBB149_76
; %bb.75:                               ;   in Loop: Header=BB149_74 Depth=1
	s_ashr_i32 s21, s20, 31
	s_lshl_b64 s[8:9], s[20:21], 2
	v_mov_b32_e32 v33, s9
	v_add_co_u32_e64 v34, s[8:9], s8, v6
	v_addc_co_u32_e64 v35, s[8:9], v7, v33, s[8:9]
	flat_load_dword v33, v[34:35]
	s_waitcnt vmcnt(0) lgkmcnt(0)
	ds_write_b32 v8, v33
.LBB149_76:                             ;   in Loop: Header=BB149_74 Depth=1
	s_or_b64 exec, exec, s[22:23]
	v_add_co_u32_e64 v36, s[8:9], s10, v2
	v_addc_co_u32_e64 v37, s[8:9], v3, v18, s[8:9]
	v_add_co_u32_e64 v38, s[8:9], s12, v2
	v_addc_co_u32_e64 v39, s[8:9], v3, v19, s[8:9]
	s_waitcnt lgkmcnt(0)
	s_barrier
	flat_load_dword v33, v[2:3]
	flat_load_dword v34, v[36:37]
	;; [unrolled: 1-line block ×3, first 2 shown]
	v_add_co_u32_e64 v36, s[8:9], s24, v2
	v_addc_co_u32_e64 v37, s[8:9], v3, v20, s[8:9]
	flat_load_dword v36, v[36:37]
	ds_read_b32 v38, v9
	ds_read_b32 v37, v14
	v_add_co_u32_e64 v46, s[8:9], s16, v2
	v_addc_co_u32_e64 v47, s[8:9], v3, v21, s[8:9]
	v_add_co_u32_e64 v48, s[8:9], s37, v2
	v_addc_co_u32_e64 v49, s[8:9], v3, v22, s[8:9]
	;; [unrolled: 2-line block ×12, first 2 shown]
	s_waitcnt vmcnt(0) lgkmcnt(0)
	v_mul_f32_e32 v39, v33, v38
	ds_write_b32 v15, v39
	v_mul_f32_e32 v39, v34, v38
	v_mul_f32_e32 v40, v35, v38
	;; [unrolled: 1-line block ×3, first 2 shown]
	ds_read_b32 v38, v14 offset:4
	ds_write_b32 v15, v39 offset:268
	ds_read_b32 v39, v14 offset:8
	ds_write_b32 v15, v40 offset:536
	;; [unrolled: 2-line block ×3, first 2 shown]
	s_waitcnt lgkmcnt(0)
	s_barrier
	ds_read2_b32 v[62:63], v13 offset1:1
	ds_read2_b32 v[64:65], v13 offset0:2 offset1:3
	s_waitcnt lgkmcnt(0)
	s_barrier
	flat_load_dword v44, v[46:47]
	flat_load_dword v42, v[48:49]
	;; [unrolled: 1-line block ×4, first 2 shown]
	ds_read_b32 v46, v9
	ds_read_b32 v45, v14 offset:64
	s_waitcnt vmcnt(0) lgkmcnt(0)
	v_mul_f32_e32 v47, v44, v46
	v_mul_f32_e32 v48, v42, v46
	ds_write_b32 v15, v47
	v_mul_f32_e32 v49, v41, v46
	v_mul_f32_e32 v50, v43, v46
	ds_read_b32 v46, v14 offset:68
	ds_write_b32 v15, v48 offset:268
	ds_read_b32 v47, v14 offset:72
	ds_write_b32 v15, v49 offset:536
	;; [unrolled: 2-line block ×3, first 2 shown]
	s_waitcnt lgkmcnt(0)
	s_barrier
	ds_read2_b32 v[66:67], v13 offset1:1
	ds_read2_b32 v[68:69], v13 offset0:2 offset1:3
	s_waitcnt lgkmcnt(0)
	s_barrier
	flat_load_dword v52, v[54:55]
	flat_load_dword v50, v[56:57]
	flat_load_dword v49, v[58:59]
	flat_load_dword v51, v[60:61]
	ds_read_b32 v54, v9
	ds_read_b32 v53, v14 offset:128
	v_add_f32_e32 v61, 0, v62
	v_add_f32_e32 v61, v61, v63
	;; [unrolled: 1-line block ×7, first 2 shown]
	s_waitcnt vmcnt(0) lgkmcnt(0)
	v_mul_f32_e32 v55, v52, v54
	v_mul_f32_e32 v56, v50, v54
	ds_write_b32 v15, v55
	v_mul_f32_e32 v57, v49, v54
	v_mul_f32_e32 v58, v51, v54
	ds_read_b32 v54, v14 offset:132
	ds_write_b32 v15, v56 offset:268
	ds_read_b32 v55, v14 offset:136
	ds_write_b32 v15, v57 offset:536
	;; [unrolled: 2-line block ×3, first 2 shown]
	s_waitcnt lgkmcnt(0)
	s_barrier
	ds_read2_b32 v[78:79], v13 offset1:1
	ds_read2_b32 v[80:81], v13 offset0:2 offset1:3
	s_waitcnt lgkmcnt(0)
	s_barrier
	flat_load_dword v60, v[70:71]
	flat_load_dword v58, v[72:73]
	;; [unrolled: 1-line block ×4, first 2 shown]
	v_add_f32_e32 v70, v61, v69
	ds_read_b32 v62, v9
	ds_read_b32 v61, v14 offset:192
	v_add_f32_e32 v63, 0, v78
	v_add_f32_e32 v63, v63, v79
	;; [unrolled: 1-line block ×4, first 2 shown]
	s_waitcnt vmcnt(0) lgkmcnt(0)
	v_mul_f32_e32 v63, v60, v62
	v_mul_f32_e32 v64, v58, v62
	ds_write_b32 v15, v63
	v_mul_f32_e32 v66, v57, v62
	v_mul_f32_e32 v67, v59, v62
	ds_read_b32 v62, v14 offset:196
	ds_write_b32 v15, v64 offset:268
	ds_read_b32 v63, v14 offset:200
	ds_write_b32 v15, v66 offset:536
	;; [unrolled: 2-line block ×3, first 2 shown]
	s_waitcnt lgkmcnt(0)
	s_barrier
	ds_read2_b32 v[66:67], v13 offset1:1
	ds_read2_b32 v[68:69], v13 offset0:2 offset1:3
	s_waitcnt lgkmcnt(0)
	s_barrier
	ds_write2_b32 v17, v65, v70 offset1:16
	v_add_f32_e32 v65, 0, v66
	v_add_f32_e32 v65, v65, v67
	;; [unrolled: 1-line block ×4, first 2 shown]
	ds_write2_b32 v17, v71, v65 offset0:32 offset1:48
	s_waitcnt lgkmcnt(0)
	s_barrier
	s_and_saveexec_b64 s[22:23], s[4:5]
	s_cbranch_execz .LBB149_73
; %bb.77:                               ;   in Loop: Header=BB149_74 Depth=1
	ds_read2_b32 v[66:67], v10 offset1:1
	ds_read2_b32 v[68:69], v10 offset0:2 offset1:3
	ds_read2_b32 v[70:71], v10 offset0:4 offset1:5
	;; [unrolled: 1-line block ×4, first 2 shown]
	s_waitcnt lgkmcnt(4)
	v_add_f32_e32 v65, v66, v67
	s_waitcnt lgkmcnt(3)
	v_add_f32_e32 v65, v65, v68
	v_add_f32_e32 v65, v65, v69
	s_waitcnt lgkmcnt(2)
	v_add_f32_e32 v65, v65, v70
	v_add_f32_e32 v65, v65, v71
	s_waitcnt lgkmcnt(1)
	v_add_f32_e32 v65, v65, v72
	v_add_f32_e32 v65, v65, v73
	ds_read2_b32 v[66:67], v10 offset0:10 offset1:11
	ds_read2_b32 v[68:69], v10 offset0:12 offset1:13
	ds_read_b32 v70, v10 offset:56
	s_waitcnt lgkmcnt(3)
	v_add_f32_e32 v65, v65, v74
	v_add_f32_e32 v65, v65, v75
	s_waitcnt lgkmcnt(2)
	v_add_f32_e32 v65, v65, v66
	ds_read_b32 v66, v11
	v_add_f32_e32 v65, v65, v67
	s_waitcnt lgkmcnt(2)
	v_add_f32_e32 v65, v65, v68
	v_add_f32_e32 v65, v65, v69
	s_waitcnt lgkmcnt(1)
	v_add_f32_e32 v65, v65, v70
	s_waitcnt lgkmcnt(0)
	v_add_f32_e32 v65, v65, v66
	v_lshlrev_b64 v[66:67], 2, v[0:1]
	v_mov_b32_e32 v68, s28
	v_add_co_u32_e64 v66, s[8:9], s27, v66
	v_addc_co_u32_e64 v67, s[8:9], v68, v67, s[8:9]
	global_store_dword v[66:67], v65, off
	s_branch .LBB149_73
.LBB149_78:
	s_movk_i32 s2, 0x10c
	s_or_b64 s[0:1], s[0:1], vcc
	v_mad_u32_u24 v0, v5, s2, v12
	s_xor_b64 s[0:1], s[0:1], -1
	ds_write_b32 v0, v16
	s_waitcnt lgkmcnt(0)
	s_barrier
	s_and_saveexec_b64 s[2:3], s[0:1]
	s_cbranch_execz .LBB149_80
; %bb.79:
	ds_read2_b32 v[0:1], v12 offset1:67
	ds_read2_b32 v[2:3], v12 offset0:134 offset1:201
	v_ashrrev_i32_e32 v5, 31, v4
	v_lshlrev_b64 v[4:5], 2, v[4:5]
	v_mov_b32_e32 v6, s28
	s_waitcnt lgkmcnt(1)
	v_add_f32_e32 v0, v0, v1
	s_waitcnt lgkmcnt(0)
	v_add_f32_e32 v0, v0, v2
	v_add_f32_e32 v2, v0, v3
	v_add_co_u32_e32 v0, vcc, s27, v4
	v_addc_co_u32_e32 v1, vcc, v6, v5, vcc
	global_store_dword v[0:1], v2, off
.LBB149_80:
	s_endpgm
	.section	.rodata,"a",@progbits
	.p2align	6, 0x0
	.amdhsa_kernel _ZL26rocblas_hemvn_kernel_lowerILb0ELi64ELi4ELi33ELi32ELi16EiPKfPKS1_PfEviT6_lT7_lT5_lS6_lS7_lS5_lT8_i
		.amdhsa_group_segment_fixed_size 4800
		.amdhsa_private_segment_fixed_size 0
		.amdhsa_kernarg_size 376
		.amdhsa_user_sgpr_count 6
		.amdhsa_user_sgpr_private_segment_buffer 1
		.amdhsa_user_sgpr_dispatch_ptr 0
		.amdhsa_user_sgpr_queue_ptr 0
		.amdhsa_user_sgpr_kernarg_segment_ptr 1
		.amdhsa_user_sgpr_dispatch_id 0
		.amdhsa_user_sgpr_flat_scratch_init 0
		.amdhsa_user_sgpr_kernarg_preload_length 0
		.amdhsa_user_sgpr_kernarg_preload_offset 0
		.amdhsa_user_sgpr_private_segment_size 0
		.amdhsa_uses_dynamic_stack 0
		.amdhsa_system_sgpr_private_segment_wavefront_offset 0
		.amdhsa_system_sgpr_workgroup_id_x 1
		.amdhsa_system_sgpr_workgroup_id_y 0
		.amdhsa_system_sgpr_workgroup_id_z 1
		.amdhsa_system_sgpr_workgroup_info 0
		.amdhsa_system_vgpr_workitem_id 1
		.amdhsa_next_free_vgpr 82
		.amdhsa_next_free_sgpr 46
		.amdhsa_accum_offset 84
		.amdhsa_reserve_vcc 1
		.amdhsa_reserve_flat_scratch 0
		.amdhsa_float_round_mode_32 0
		.amdhsa_float_round_mode_16_64 0
		.amdhsa_float_denorm_mode_32 3
		.amdhsa_float_denorm_mode_16_64 3
		.amdhsa_dx10_clamp 1
		.amdhsa_ieee_mode 1
		.amdhsa_fp16_overflow 0
		.amdhsa_tg_split 0
		.amdhsa_exception_fp_ieee_invalid_op 0
		.amdhsa_exception_fp_denorm_src 0
		.amdhsa_exception_fp_ieee_div_zero 0
		.amdhsa_exception_fp_ieee_overflow 0
		.amdhsa_exception_fp_ieee_underflow 0
		.amdhsa_exception_fp_ieee_inexact 0
		.amdhsa_exception_int_div_zero 0
	.end_amdhsa_kernel
	.section	.text._ZL26rocblas_hemvn_kernel_lowerILb0ELi64ELi4ELi33ELi32ELi16EiPKfPKS1_PfEviT6_lT7_lT5_lS6_lS7_lS5_lT8_i,"axG",@progbits,_ZL26rocblas_hemvn_kernel_lowerILb0ELi64ELi4ELi33ELi32ELi16EiPKfPKS1_PfEviT6_lT7_lT5_lS6_lS7_lS5_lT8_i,comdat
.Lfunc_end149:
	.size	_ZL26rocblas_hemvn_kernel_lowerILb0ELi64ELi4ELi33ELi32ELi16EiPKfPKS1_PfEviT6_lT7_lT5_lS6_lS7_lS5_lT8_i, .Lfunc_end149-_ZL26rocblas_hemvn_kernel_lowerILb0ELi64ELi4ELi33ELi32ELi16EiPKfPKS1_PfEviT6_lT7_lT5_lS6_lS7_lS5_lT8_i
                                        ; -- End function
	.section	.AMDGPU.csdata,"",@progbits
; Kernel info:
; codeLenInByte = 5876
; NumSgprs: 50
; NumVgprs: 82
; NumAgprs: 0
; TotalNumVgprs: 82
; ScratchSize: 0
; MemoryBound: 0
; FloatMode: 240
; IeeeMode: 1
; LDSByteSize: 4800 bytes/workgroup (compile time only)
; SGPRBlocks: 6
; VGPRBlocks: 10
; NumSGPRsForWavesPerEU: 50
; NumVGPRsForWavesPerEU: 82
; AccumOffset: 84
; Occupancy: 5
; WaveLimiterHint : 1
; COMPUTE_PGM_RSRC2:SCRATCH_EN: 0
; COMPUTE_PGM_RSRC2:USER_SGPR: 6
; COMPUTE_PGM_RSRC2:TRAP_HANDLER: 0
; COMPUTE_PGM_RSRC2:TGID_X_EN: 1
; COMPUTE_PGM_RSRC2:TGID_Y_EN: 0
; COMPUTE_PGM_RSRC2:TGID_Z_EN: 1
; COMPUTE_PGM_RSRC2:TIDIG_COMP_CNT: 1
; COMPUTE_PGM_RSRC3_GFX90A:ACCUM_OFFSET: 20
; COMPUTE_PGM_RSRC3_GFX90A:TG_SPLIT: 0
	.section	.text._ZL36rocblas_hemvn_kernel_lower_block_sumILi64EiPKfPKPffEviT1_lS5_lT2_lT0_lPT3_i,"axG",@progbits,_ZL36rocblas_hemvn_kernel_lower_block_sumILi64EiPKfPKPffEviT1_lS5_lT2_lT0_lPT3_i,comdat
	.globl	_ZL36rocblas_hemvn_kernel_lower_block_sumILi64EiPKfPKPffEviT1_lS5_lT2_lT0_lPT3_i ; -- Begin function _ZL36rocblas_hemvn_kernel_lower_block_sumILi64EiPKfPKPffEviT1_lS5_lT2_lT0_lPT3_i
	.p2align	8
	.type	_ZL36rocblas_hemvn_kernel_lower_block_sumILi64EiPKfPKPffEviT1_lS5_lT2_lT0_lPT3_i,@function
_ZL36rocblas_hemvn_kernel_lower_block_sumILi64EiPKfPKPffEviT1_lS5_lT2_lT0_lPT3_i: ; @_ZL36rocblas_hemvn_kernel_lower_block_sumILi64EiPKfPKPffEviT1_lS5_lT2_lT0_lPT3_i
; %bb.0:
	s_load_dwordx8 s[12:19], s[4:5], 0x8
	s_mov_b32 s8, s7
	s_waitcnt lgkmcnt(0)
	s_mul_i32 s0, s7, s15
	s_mul_hi_u32 s1, s7, s14
	s_add_i32 s1, s1, s0
	s_mul_i32 s0, s7, s14
	s_lshl_b64 s[0:1], s[0:1], 2
	s_add_u32 s0, s12, s0
	s_addc_u32 s1, s13, s1
	s_load_dword s7, s[0:1], 0x0
	s_mul_i32 s0, s8, s19
	s_mul_hi_u32 s1, s8, s18
	s_add_i32 s1, s1, s0
	s_mul_i32 s0, s8, s18
	s_lshl_b64 s[0:1], s[0:1], 2
	s_add_u32 s0, s16, s0
	s_addc_u32 s1, s17, s1
	s_load_dword s17, s[0:1], 0x0
	s_waitcnt lgkmcnt(0)
	v_cmp_eq_f32_e64 s[0:1], s7, 0
	v_cmp_eq_f32_e64 s[2:3], s17, 1.0
	s_and_b64 s[0:1], s[0:1], s[2:3]
	s_and_b64 vcc, exec, s[0:1]
	s_cbranch_vccnz .LBB150_19
; %bb.1:
	s_load_dwordx4 s[0:3], s[4:5], 0x28
	s_mov_b32 s9, 0
	s_lshl_b64 s[12:13], s[8:9], 3
	s_load_dword s18, s[4:5], 0x38
	s_load_dword s10, s[4:5], 0x0
	v_lshl_or_b32 v2, s6, 6, v0
	s_waitcnt lgkmcnt(0)
	s_add_u32 s0, s0, s12
	s_addc_u32 s1, s1, s13
	s_load_dwordx2 s[0:1], s[0:1], 0x0
	s_lshl_b64 s[2:3], s[2:3], 2
	v_cmp_neq_f32_e64 s[12:13], s7, 0
	s_waitcnt lgkmcnt(0)
	s_add_u32 s9, s0, s2
	s_addc_u32 s16, s1, s3
	s_and_b64 vcc, exec, s[12:13]
	v_cmp_gt_i32_e64 s[0:1], s10, v2
	s_cbranch_vccnz .LBB150_6
; %bb.2:
	s_mov_b64 s[12:13], 0
	s_mov_b64 s[2:3], 0
                                        ; implicit-def: $vgpr3
                                        ; implicit-def: $vgpr0_vgpr1
	s_and_saveexec_b64 s[14:15], s[0:1]
	s_cbranch_execz .LBB150_7
; %bb.3:
	v_cmp_eq_f32_e64 s[0:1], s17, 0
	v_mul_lo_u32 v0, v2, s18
	v_mov_b32_e32 v3, 0
	v_ashrrev_i32_e32 v1, 31, v0
	s_and_b64 vcc, exec, s[0:1]
	s_cbranch_vccnz .LBB150_5
; %bb.4:
	v_lshlrev_b64 v[4:5], 2, v[0:1]
	v_mov_b32_e32 v3, s16
	v_add_co_u32_e32 v4, vcc, s9, v4
	v_addc_co_u32_e32 v5, vcc, v3, v5, vcc
	global_load_dword v3, v[4:5], off
	s_waitcnt vmcnt(0)
	v_mul_f32_e32 v3, s17, v3
.LBB150_5:
	s_mov_b64 s[2:3], exec
	s_or_b64 exec, exec, s[14:15]
	s_and_b64 vcc, exec, s[12:13]
	s_cbranch_vccnz .LBB150_8
	s_branch .LBB150_17
.LBB150_6:
	s_mov_b64 s[2:3], 0
                                        ; implicit-def: $vgpr3
                                        ; implicit-def: $vgpr0_vgpr1
	s_cbranch_execnz .LBB150_8
	s_branch .LBB150_17
.LBB150_7:
	s_or_b64 exec, exec, s[14:15]
	s_and_b64 vcc, exec, s[12:13]
	s_cbranch_vccz .LBB150_17
.LBB150_8:
	v_cmp_gt_i32_e32 vcc, s10, v2
                                        ; implicit-def: $vgpr3
                                        ; implicit-def: $vgpr0_vgpr1
	s_and_saveexec_b64 s[0:1], vcc
	s_cbranch_execz .LBB150_16
; %bb.9:
	s_load_dword s12, s[4:5], 0x58
	v_mov_b32_e32 v4, 0
	s_waitcnt lgkmcnt(0)
	s_cmp_ge_i32 s6, s12
	s_cbranch_scc1 .LBB150_12
; %bb.10:
	s_ashr_i32 s11, s10, 31
	s_mul_i32 s13, s6, s10
	s_load_dwordx2 s[4:5], s[4:5], 0x48
	v_add_u32_e32 v0, s13, v2
	s_mul_hi_u32 s13, s10, s8
	s_mul_i32 s14, s11, s8
	s_add_i32 s13, s13, s14
	s_mul_i32 s8, s10, s8
	s_mul_i32 s13, s13, s12
	s_mul_hi_u32 s14, s8, s12
	s_add_i32 s15, s14, s13
	s_mul_i32 s14, s8, s12
	s_lshl_b64 s[14:15], s[14:15], 2
	v_ashrrev_i32_e32 v1, 31, v0
	s_waitcnt lgkmcnt(0)
	s_add_u32 s4, s4, s14
	v_lshlrev_b64 v[0:1], 2, v[0:1]
	s_addc_u32 s5, s5, s15
	v_mov_b32_e32 v3, s5
	v_add_co_u32_e32 v0, vcc, s4, v0
	s_lshl_b64 s[4:5], s[10:11], 2
	v_addc_co_u32_e32 v1, vcc, v3, v1, vcc
	v_mov_b32_e32 v4, 0
	v_mov_b32_e32 v3, s5
.LBB150_11:                             ; =>This Inner Loop Header: Depth=1
	global_load_dword v5, v[0:1], off
	s_add_i32 s6, s6, 1
	v_add_co_u32_e32 v0, vcc, s4, v0
	v_addc_co_u32_e32 v1, vcc, v1, v3, vcc
	s_cmp_ge_i32 s6, s12
	s_waitcnt vmcnt(0)
	v_add_f32_e32 v4, v4, v5
	s_cbranch_scc0 .LBB150_11
.LBB150_12:
	v_cmp_eq_f32_e64 s[4:5], s17, 0
	v_mul_lo_u32 v0, v2, s18
	s_and_b64 vcc, exec, s[4:5]
	v_ashrrev_i32_e32 v1, 31, v0
	s_cbranch_vccz .LBB150_20
; %bb.13:
	v_mul_f32_e32 v3, s7, v4
	s_cbranch_execnz .LBB150_15
.LBB150_14:
	v_lshlrev_b64 v[2:3], 2, v[0:1]
	v_mov_b32_e32 v5, s16
	v_add_co_u32_e32 v2, vcc, s9, v2
	v_addc_co_u32_e32 v3, vcc, v5, v3, vcc
	global_load_dword v2, v[2:3], off
	s_waitcnt vmcnt(0)
	v_mul_f32_e32 v3, s17, v2
	v_fmac_f32_e32 v3, s7, v4
.LBB150_15:
	s_or_b64 s[2:3], s[2:3], exec
.LBB150_16:
	s_or_b64 exec, exec, s[0:1]
.LBB150_17:
	s_and_saveexec_b64 s[0:1], s[2:3]
	s_cbranch_execz .LBB150_19
; %bb.18:
	v_lshlrev_b64 v[0:1], 2, v[0:1]
	v_mov_b32_e32 v2, s16
	v_add_co_u32_e32 v0, vcc, s9, v0
	v_addc_co_u32_e32 v1, vcc, v2, v1, vcc
	global_store_dword v[0:1], v3, off
.LBB150_19:
	s_endpgm
.LBB150_20:
                                        ; implicit-def: $vgpr3
	s_branch .LBB150_14
	.section	.rodata,"a",@progbits
	.p2align	6, 0x0
	.amdhsa_kernel _ZL36rocblas_hemvn_kernel_lower_block_sumILi64EiPKfPKPffEviT1_lS5_lT2_lT0_lPT3_i
		.amdhsa_group_segment_fixed_size 0
		.amdhsa_private_segment_fixed_size 0
		.amdhsa_kernarg_size 344
		.amdhsa_user_sgpr_count 6
		.amdhsa_user_sgpr_private_segment_buffer 1
		.amdhsa_user_sgpr_dispatch_ptr 0
		.amdhsa_user_sgpr_queue_ptr 0
		.amdhsa_user_sgpr_kernarg_segment_ptr 1
		.amdhsa_user_sgpr_dispatch_id 0
		.amdhsa_user_sgpr_flat_scratch_init 0
		.amdhsa_user_sgpr_kernarg_preload_length 0
		.amdhsa_user_sgpr_kernarg_preload_offset 0
		.amdhsa_user_sgpr_private_segment_size 0
		.amdhsa_uses_dynamic_stack 0
		.amdhsa_system_sgpr_private_segment_wavefront_offset 0
		.amdhsa_system_sgpr_workgroup_id_x 1
		.amdhsa_system_sgpr_workgroup_id_y 0
		.amdhsa_system_sgpr_workgroup_id_z 1
		.amdhsa_system_sgpr_workgroup_info 0
		.amdhsa_system_vgpr_workitem_id 0
		.amdhsa_next_free_vgpr 6
		.amdhsa_next_free_sgpr 20
		.amdhsa_accum_offset 8
		.amdhsa_reserve_vcc 1
		.amdhsa_reserve_flat_scratch 0
		.amdhsa_float_round_mode_32 0
		.amdhsa_float_round_mode_16_64 0
		.amdhsa_float_denorm_mode_32 3
		.amdhsa_float_denorm_mode_16_64 3
		.amdhsa_dx10_clamp 1
		.amdhsa_ieee_mode 1
		.amdhsa_fp16_overflow 0
		.amdhsa_tg_split 0
		.amdhsa_exception_fp_ieee_invalid_op 0
		.amdhsa_exception_fp_denorm_src 0
		.amdhsa_exception_fp_ieee_div_zero 0
		.amdhsa_exception_fp_ieee_overflow 0
		.amdhsa_exception_fp_ieee_underflow 0
		.amdhsa_exception_fp_ieee_inexact 0
		.amdhsa_exception_int_div_zero 0
	.end_amdhsa_kernel
	.section	.text._ZL36rocblas_hemvn_kernel_lower_block_sumILi64EiPKfPKPffEviT1_lS5_lT2_lT0_lPT3_i,"axG",@progbits,_ZL36rocblas_hemvn_kernel_lower_block_sumILi64EiPKfPKPffEviT1_lS5_lT2_lT0_lPT3_i,comdat
.Lfunc_end150:
	.size	_ZL36rocblas_hemvn_kernel_lower_block_sumILi64EiPKfPKPffEviT1_lS5_lT2_lT0_lPT3_i, .Lfunc_end150-_ZL36rocblas_hemvn_kernel_lower_block_sumILi64EiPKfPKPffEviT1_lS5_lT2_lT0_lPT3_i
                                        ; -- End function
	.section	.AMDGPU.csdata,"",@progbits
; Kernel info:
; codeLenInByte = 652
; NumSgprs: 24
; NumVgprs: 6
; NumAgprs: 0
; TotalNumVgprs: 6
; ScratchSize: 0
; MemoryBound: 0
; FloatMode: 240
; IeeeMode: 1
; LDSByteSize: 0 bytes/workgroup (compile time only)
; SGPRBlocks: 2
; VGPRBlocks: 0
; NumSGPRsForWavesPerEU: 24
; NumVGPRsForWavesPerEU: 6
; AccumOffset: 8
; Occupancy: 8
; WaveLimiterHint : 1
; COMPUTE_PGM_RSRC2:SCRATCH_EN: 0
; COMPUTE_PGM_RSRC2:USER_SGPR: 6
; COMPUTE_PGM_RSRC2:TRAP_HANDLER: 0
; COMPUTE_PGM_RSRC2:TGID_X_EN: 1
; COMPUTE_PGM_RSRC2:TGID_Y_EN: 0
; COMPUTE_PGM_RSRC2:TGID_Z_EN: 1
; COMPUTE_PGM_RSRC2:TIDIG_COMP_CNT: 0
; COMPUTE_PGM_RSRC3_GFX90A:ACCUM_OFFSET: 1
; COMPUTE_PGM_RSRC3_GFX90A:TG_SPLIT: 0
	.section	.text._ZL26rocblas_hemvn_kernel_lowerILb0ELi64ELi4ELi33ELi32ELi16ElfPKPKfPfEviT6_lT7_lT5_lS6_lS7_lS5_lT8_i,"axG",@progbits,_ZL26rocblas_hemvn_kernel_lowerILb0ELi64ELi4ELi33ELi32ELi16ElfPKPKfPfEviT6_lT7_lT5_lS6_lS7_lS5_lT8_i,comdat
	.globl	_ZL26rocblas_hemvn_kernel_lowerILb0ELi64ELi4ELi33ELi32ELi16ElfPKPKfPfEviT6_lT7_lT5_lS6_lS7_lS5_lT8_i ; -- Begin function _ZL26rocblas_hemvn_kernel_lowerILb0ELi64ELi4ELi33ELi32ELi16ElfPKPKfPfEviT6_lT7_lT5_lS6_lS7_lS5_lT8_i
	.p2align	8
	.type	_ZL26rocblas_hemvn_kernel_lowerILb0ELi64ELi4ELi33ELi32ELi16ElfPKPKfPfEviT6_lT7_lT5_lS6_lS7_lS5_lT8_i,@function
_ZL26rocblas_hemvn_kernel_lowerILb0ELi64ELi4ELi33ELi32ELi16ElfPKPKfPfEviT6_lT7_lT5_lS6_lS7_lS5_lT8_i: ; @_ZL26rocblas_hemvn_kernel_lowerILb0ELi64ELi4ELi33ELi32ELi16ElfPKPKfPfEviT6_lT7_lT5_lS6_lS7_lS5_lT8_i
; %bb.0:
	s_load_dwordx2 s[0:1], s[4:5], 0x7c
	s_add_u32 s14, s4, 0x70
	s_addc_u32 s15, s5, 0
	s_waitcnt lgkmcnt(0)
	s_lshr_b32 s2, s0, 16
	s_and_b32 s0, s0, 0xffff
	s_and_b32 s1, s1, 0xffff
	s_mul_i32 s0, s2, s0
	s_mul_i32 s0, s0, s1
	s_cmpk_lg_i32 s0, 0x100
	s_cbranch_scc1 .LBB151_80
; %bb.1:
	s_load_dwordx2 s[30:31], s[4:5], 0x0
	s_load_dword s0, s[4:5], 0x50
	s_waitcnt lgkmcnt(0)
	v_cmp_eq_f32_e64 s[8:9], s31, 0
	v_cmp_eq_f32_e64 s[0:1], s0, 1.0
	s_and_b64 s[0:1], s[8:9], s[0:1]
	s_and_b64 vcc, exec, s[0:1]
	s_cbranch_vccnz .LBB151_80
; %bb.2:
	s_load_dwordx4 s[0:3], s[4:5], 0x10
	s_load_dwordx2 s[26:27], s[4:5], 0x20
	s_mov_b32 s28, s7
	s_mov_b32 s29, 0
	v_cmp_neq_f32_e64 s[18:19], s31, 0
	s_mov_b64 s[16:17], 0
	s_and_b64 vcc, exec, s[8:9]
	s_mov_b64 s[12:13], 0
	s_cbranch_vccnz .LBB151_4
; %bb.3:
	s_lshl_b64 s[8:9], s[28:29], 3
	s_waitcnt lgkmcnt(0)
	s_add_u32 s0, s0, s8
	s_addc_u32 s1, s1, s9
	s_load_dwordx2 s[0:1], s[0:1], 0x0
	s_lshl_b64 s[2:3], s[2:3], 2
	s_waitcnt lgkmcnt(0)
	s_add_u32 s12, s0, s2
	s_addc_u32 s13, s1, s3
.LBB151_4:
	s_load_dwordx4 s[8:11], s[4:5], 0x30
	s_load_dwordx2 s[22:23], s[4:5], 0x40
	v_cndmask_b32_e64 v1, 0, 1, s[18:19]
	s_waitcnt lgkmcnt(0)
	v_cmp_ne_u32_e64 s[0:1], 1, v1
	s_andn2_b64 vcc, exec, s[18:19]
	s_cbranch_vccnz .LBB151_6
; %bb.5:
	s_lshl_b64 s[2:3], s[28:29], 3
	s_add_u32 s2, s8, s2
	s_addc_u32 s3, s9, s3
	s_load_dwordx2 s[2:3], s[2:3], 0x0
	s_lshl_b64 s[8:9], s[10:11], 2
	s_waitcnt lgkmcnt(0)
	s_add_u32 s16, s2, s8
	s_addc_u32 s17, s3, s9
.LBB151_6:
	s_and_b64 vcc, exec, s[0:1]
	s_cbranch_vccnz .LBB151_80
; %bb.7:
	s_load_dword s7, s[14:15], 0x0
	s_ashr_i32 s29, s30, 31
	s_lshr_b32 s1, s29, 26
	s_add_i32 s1, s30, s1
	v_and_b32_e32 v18, 0x3ff, v0
	s_lshl_b32 s36, s6, 6
	s_andn2_b32 s1, s1, 63
	s_waitcnt lgkmcnt(0)
	s_add_i32 s0, s7, -1
	s_sub_i32 s1, s30, s1
	v_add_u32_e32 v4, s36, v18
	s_cmp_eq_u32 s6, s0
	v_ashrrev_i32_e32 v5, 31, v4
	v_bfe_u32 v16, v0, 10, 10
	s_cselect_b32 s34, s1, 0
	v_mul_lo_u32 v2, v5, s22
	v_mul_lo_u32 v3, v4, s23
	v_mad_u64_u32 v[0:1], s[0:1], v4, s22, 0
	v_add3_u32 v1, v1, v3, v2
	v_lshlrev_b64 v[0:1], 2, v[0:1]
	v_mov_b32_e32 v2, s17
	v_add_co_u32_e32 v6, vcc, s16, v0
	v_addc_co_u32_e32 v7, vcc, v2, v1, vcc
	v_cmp_ne_u32_e64 s[0:1], 0, v16
	v_cmp_eq_u32_e64 s[2:3], 0, v16
	s_and_saveexec_b64 s[8:9], s[2:3]
	s_cbranch_execz .LBB151_11
; %bb.8:
	s_cmp_eq_u32 s34, 0
	s_cselect_b64 s[10:11], -1, 0
	v_cmp_gt_i32_e32 vcc, s34, v18
	s_or_b64 s[14:15], s[10:11], vcc
	v_mov_b32_e32 v0, 0
	s_and_saveexec_b64 s[10:11], s[14:15]
	s_cbranch_execz .LBB151_10
; %bb.9:
	flat_load_dword v0, v[6:7]
.LBB151_10:
	s_or_b64 exec, exec, s[10:11]
	v_lshlrev_b32_e32 v1, 2, v18
	s_waitcnt vmcnt(0) lgkmcnt(0)
	ds_write_b32 v1, v0 offset:4544
.LBB151_11:
	s_or_b64 exec, exec, s[8:9]
	s_ashr_i32 s37, s36, 31
	v_lshl_add_u32 v19, v16, 6, v18
	s_lshl_b64 s[8:9], s[36:37], 2
	v_and_b32_e32 v0, 31, v18
	v_lshrrev_b32_e32 v12, 5, v19
	s_add_u32 s10, s12, s8
	v_mov_b32_e32 v1, 0
	s_addc_u32 s11, s13, s9
	v_mad_u64_u32 v[2:3], s[8:9], v12, s26, v[0:1]
	v_mov_b32_e32 v8, v3
	v_mad_u64_u32 v[8:9], s[8:9], v12, s27, v[8:9]
	s_mul_i32 s8, s36, s27
	s_mul_hi_u32 s9, s36, s26
	s_add_i32 s8, s9, s8
	s_mul_i32 s9, s37, s26
	s_add_i32 s9, s8, s9
	s_mul_i32 s8, s36, s26
	s_lshl_b64 s[38:39], s[8:9], 2
	v_mov_b32_e32 v3, v8
	s_add_u32 s8, s38, s10
	v_lshlrev_b64 v[8:9], 2, v[2:3]
	s_addc_u32 s9, s39, s11
	v_mov_b32_e32 v1, s9
	v_add_co_u32_e32 v2, vcc, s8, v8
	s_cmp_lg_u32 s34, 0
	v_addc_co_u32_e32 v3, vcc, v1, v9, vcc
	s_cselect_b64 s[40:41], -1, 0
	s_cmp_eq_u32 s34, 0
	s_cselect_b64 s[44:45], -1, 0
	s_and_b64 vcc, exec, s[40:41]
	s_cbranch_vccnz .LBB151_13
; %bb.12:
	flat_load_dword v1, v[2:3]
	v_mul_u32_u24_e32 v10, 33, v12
	s_lshl_b64 s[8:9], s[26:27], 5
	v_add_lshl_u32 v13, v10, v0, 2
	v_mov_b32_e32 v14, s9
	v_add_co_u32_e32 v10, vcc, s8, v2
	v_addc_co_u32_e32 v11, vcc, v3, v14, vcc
	s_mul_i32 s10, s27, 0x60
	s_waitcnt vmcnt(0) lgkmcnt(0)
	ds_write_b32 v13, v1
	flat_load_dword v1, v[10:11]
	v_add_co_u32_e32 v10, vcc, s8, v10
	v_addc_co_u32_e32 v11, vcc, v11, v14, vcc
	s_waitcnt vmcnt(0) lgkmcnt(0)
	ds_write_b32 v13, v1 offset:1056
	flat_load_dword v1, v[10:11]
	v_mov_b32_e32 v10, 0x60
	v_mad_u64_u32 v[10:11], s[8:9], s26, v10, v[2:3]
	v_add_u32_e32 v11, s10, v11
	s_waitcnt vmcnt(0) lgkmcnt(0)
	ds_write_b32 v13, v1 offset:2112
	flat_load_dword v1, v[10:11]
	s_waitcnt vmcnt(0) lgkmcnt(0)
	ds_write_b32 v13, v1 offset:3168
	s_cbranch_execz .LBB151_14
	s_branch .LBB151_23
.LBB151_13:
.LBB151_14:
	v_lshlrev_b32_e32 v1, 2, v0
	v_sub_co_u32_e32 v10, vcc, v2, v1
	s_ashr_i32 s35, s34, 31
	v_subbrev_co_u32_e32 v11, vcc, 0, v3, vcc
	s_lshl_b64 s[10:11], s[34:35], 2
	v_mov_b32_e32 v13, s11
	v_add_co_u32_e32 v10, vcc, s10, v10
	v_addc_co_u32_e32 v11, vcc, v11, v13, vcc
	v_add_co_u32_e32 v10, vcc, -4, v10
	v_addc_co_u32_e32 v11, vcc, -1, v11, vcc
	v_cmp_gt_i32_e32 vcc, s34, v0
	v_mov_b32_e32 v14, 0
	v_cndmask_b32_e32 v11, v11, v3, vcc
	v_cndmask_b32_e32 v10, v10, v2, vcc
	v_cmp_gt_i32_e64 s[8:9], s34, v12
	v_mov_b32_e32 v15, 0
	s_and_saveexec_b64 s[12:13], s[8:9]
	s_cbranch_execz .LBB151_16
; %bb.15:
	flat_load_dword v15, v[10:11]
.LBB151_16:
	s_or_b64 exec, exec, s[12:13]
	v_mul_u32_u24_e32 v13, 33, v12
	v_add_lshl_u32 v13, v13, v0, 2
	s_waitcnt vmcnt(0) lgkmcnt(0)
	ds_write_b32 v13, v15
	v_add_u32_e32 v15, 8, v12
	v_cmp_gt_i32_e64 s[8:9], s34, v15
	s_and_saveexec_b64 s[12:13], s[8:9]
	s_cbranch_execz .LBB151_18
; %bb.17:
	s_lshl_b64 s[8:9], s[26:27], 5
	v_mov_b32_e32 v15, s9
	v_add_co_u32_e64 v14, s[8:9], s8, v10
	v_addc_co_u32_e64 v15, s[8:9], v11, v15, s[8:9]
	flat_load_dword v14, v[14:15]
.LBB151_18:
	s_or_b64 exec, exec, s[12:13]
	s_waitcnt vmcnt(0) lgkmcnt(0)
	ds_write_b32 v13, v14 offset:1056
	v_add_u32_e32 v14, 16, v12
	v_cmp_gt_i32_e64 s[8:9], s34, v14
	v_mov_b32_e32 v14, 0
	v_mov_b32_e32 v15, 0
	s_and_saveexec_b64 s[12:13], s[8:9]
	s_cbranch_execz .LBB151_20
; %bb.19:
	s_lshl_b64 s[8:9], s[26:27], 6
	v_mov_b32_e32 v15, s9
	v_add_co_u32_e64 v20, s[8:9], s8, v10
	v_addc_co_u32_e64 v21, s[8:9], v11, v15, s[8:9]
	flat_load_dword v15, v[20:21]
.LBB151_20:
	s_or_b64 exec, exec, s[12:13]
	s_waitcnt vmcnt(0) lgkmcnt(0)
	ds_write_b32 v13, v15 offset:2112
	v_add_u32_e32 v15, 24, v12
	v_cmp_gt_i32_e64 s[8:9], s34, v15
	s_and_saveexec_b64 s[12:13], s[8:9]
	s_cbranch_execz .LBB151_22
; %bb.21:
	v_mov_b32_e32 v14, 0x60
	v_mad_u64_u32 v[14:15], s[8:9], s26, v14, v[10:11]
	s_mul_i32 s8, s27, 0x60
	v_add_u32_e32 v15, s8, v15
	flat_load_dword v14, v[14:15]
.LBB151_22:
	s_or_b64 exec, exec, s[12:13]
	v_add_co_u32_e64 v1, s[8:9], v10, v1
	v_addc_co_u32_e64 v10, s[8:9], 0, v11, s[8:9]
	v_mov_b32_e32 v11, s11
	v_subrev_co_u32_e64 v1, s[8:9], s10, v1
	v_subb_co_u32_e64 v10, s[8:9], v10, v11, s[8:9]
	v_add_co_u32_e64 v1, s[8:9], 4, v1
	v_addc_co_u32_e64 v10, s[8:9], 0, v10, s[8:9]
	v_cndmask_b32_e32 v3, v10, v3, vcc
	v_cndmask_b32_e32 v2, v1, v2, vcc
	s_waitcnt vmcnt(0) lgkmcnt(0)
	ds_write_b32 v13, v14 offset:3168
.LBB151_23:
	v_lshlrev_b32_e32 v14, 2, v12
	v_mul_u32_u24_e32 v20, 33, v0
	v_cmp_lt_u32_e64 s[8:9], v14, v0
	v_add_lshl_u32 v13, v14, v20, 2
	s_waitcnt lgkmcnt(0)
	s_barrier
	s_and_saveexec_b64 s[10:11], s[8:9]
	s_cbranch_execz .LBB151_25
; %bb.24:
	v_mul_u32_u24_e32 v1, 0x84, v12
	v_add_lshl_u32 v1, v1, v0, 2
	ds_read_b32 v1, v1
	s_waitcnt lgkmcnt(0)
	ds_write_b32 v13, v1
.LBB151_25:
	s_or_b64 exec, exec, s[10:11]
	v_or_b32_e32 v1, 1, v14
	v_cmp_lt_u32_e64 s[10:11], v1, v0
	s_and_saveexec_b64 s[12:13], s[10:11]
	s_cbranch_execz .LBB151_27
; %bb.26:
	v_mul_u32_u24_e32 v1, 33, v1
	v_add_lshl_u32 v1, v1, v0, 2
	ds_read_b32 v1, v1
	s_waitcnt lgkmcnt(0)
	ds_write_b32 v13, v1 offset:4
.LBB151_27:
	s_or_b64 exec, exec, s[12:13]
	v_or_b32_e32 v1, 2, v14
	v_cmp_lt_u32_e64 s[12:13], v1, v0
	s_and_saveexec_b64 s[14:15], s[12:13]
	s_cbranch_execz .LBB151_29
; %bb.28:
	v_mul_u32_u24_e32 v1, 33, v1
	v_add_lshl_u32 v1, v1, v0, 2
	ds_read_b32 v1, v1
	s_waitcnt lgkmcnt(0)
	ds_write_b32 v13, v1 offset:8
.LBB151_29:
	s_or_b64 exec, exec, s[14:15]
	v_or_b32_e32 v1, 3, v14
	v_cmp_lt_u32_e64 s[14:15], v1, v0
	v_mad_u32_u24 v1, v1, 33, v0
	v_lshlrev_b32_e32 v15, 2, v1
	s_and_saveexec_b64 s[16:17], s[14:15]
	s_cbranch_execz .LBB151_31
; %bb.30:
	ds_read_b32 v1, v15
	s_waitcnt lgkmcnt(0)
	ds_write_b32 v13, v1 offset:12
.LBB151_31:
	s_or_b64 exec, exec, s[16:17]
	v_mul_u32_u24_e32 v1, 0x84, v12
	v_add_u32_e32 v24, 0xfffffef8, v15
	s_waitcnt lgkmcnt(0)
	s_barrier
	v_add_lshl_u32 v23, v1, v0, 2
	v_lshlrev_b32_e32 v22, 2, v14
	ds_read2_b32 v[10:11], v24 offset1:33
	ds_read_b32 v30, v23
	ds_read_b128 v[26:29], v22 offset:4544
	ds_read_b32 v33, v15
	v_add_lshl_u32 v21, v12, v20, 2
	s_waitcnt lgkmcnt(3)
	v_mov_b32_e32 v31, v10
	v_mov_b32_e32 v32, v11
	s_waitcnt lgkmcnt(1)
	v_pk_mul_f32 v[26:27], v[30:31], v[26:27]
	v_add_f32_e32 v1, 0, v26
	v_add_f32_e32 v1, v1, v27
	s_waitcnt lgkmcnt(0)
	v_pk_mul_f32 v[10:11], v[32:33], v[28:29]
	v_add_f32_e32 v1, v1, v10
	v_add_f32_e32 v1, v1, v11
	v_cmp_gt_u32_e64 s[20:21], 32, v19
	v_mov_b32_e32 v17, 0
	s_barrier
	ds_write_b32 v21, v1
	s_waitcnt lgkmcnt(0)
	s_barrier
	s_and_saveexec_b64 s[16:17], s[20:21]
	s_cbranch_execz .LBB151_33
; %bb.32:
	v_lshlrev_b32_e32 v1, 2, v20
	ds_read2_b32 v[10:11], v1 offset1:1
	ds_read2_b32 v[26:27], v1 offset0:2 offset1:3
	ds_read2_b32 v[28:29], v1 offset0:4 offset1:5
	;; [unrolled: 1-line block ×3, first 2 shown]
	s_waitcnt lgkmcnt(3)
	v_add_f32_e32 v1, v10, v11
	s_waitcnt lgkmcnt(2)
	v_add_f32_e32 v1, v1, v26
	v_add_f32_e32 v1, v1, v27
	s_waitcnt lgkmcnt(1)
	v_add_f32_e32 v1, v1, v28
	;; [unrolled: 3-line block ×3, first 2 shown]
	v_add_f32_e32 v17, v1, v31
.LBB151_33:
	s_or_b64 exec, exec, s[16:17]
	s_lshl_b64 s[24:25], s[26:27], 7
	v_mov_b32_e32 v1, s25
	v_add_co_u32_e32 v10, vcc, s24, v2
	v_addc_co_u32_e32 v11, vcc, v3, v1, vcc
	v_add_co_u32_e32 v2, vcc, 0x80, v10
	v_cndmask_b32_e64 v1, 0, 1, s[44:45]
	s_mov_b64 s[18:19], vcc
	s_lshl_b64 s[42:43], s[26:27], 5
	v_cmp_ne_u32_e64 s[16:17], 1, v1
	s_andn2_b64 vcc, exec, s[44:45]
	v_addc_co_u32_e64 v1, s[18:19], 0, v11, s[18:19]
	s_barrier
	s_cbranch_vccnz .LBB151_35
; %bb.34:
	flat_load_dword v3, v[10:11] offset:128
	v_mul_u32_u24_e32 v25, 33, v12
	v_mov_b32_e32 v28, s43
	v_add_lshl_u32 v25, v25, v0, 2
	v_add_co_u32_e32 v26, vcc, s42, v10
	v_addc_co_u32_e32 v27, vcc, v11, v28, vcc
	s_mul_i32 s31, s27, 0x60
	s_waitcnt vmcnt(0) lgkmcnt(0)
	ds_write_b32 v25, v3
	flat_load_dword v3, v[26:27] offset:128
	v_add_co_u32_e32 v26, vcc, s42, v26
	v_addc_co_u32_e32 v27, vcc, v27, v28, vcc
	s_waitcnt vmcnt(0) lgkmcnt(0)
	ds_write_b32 v25, v3 offset:1056
	flat_load_dword v3, v[26:27] offset:128
	v_mov_b32_e32 v26, 0x60
	v_mad_u64_u32 v[10:11], s[18:19], s26, v26, v[10:11]
	v_add_u32_e32 v11, s31, v11
	s_waitcnt vmcnt(0) lgkmcnt(0)
	ds_write_b32 v25, v3 offset:2112
	flat_load_dword v3, v[10:11] offset:128
	s_waitcnt vmcnt(0) lgkmcnt(0)
	ds_write_b32 v25, v3 offset:3168
	s_cbranch_execz .LBB151_36
	s_branch .LBB151_45
.LBB151_35:
.LBB151_36:
	v_or_b32_e32 v3, 32, v0
	v_lshlrev_b32_e32 v10, 2, v3
	v_sub_co_u32_e32 v10, vcc, v2, v10
	s_ashr_i32 s35, s34, 31
	v_subbrev_co_u32_e32 v11, vcc, 0, v1, vcc
	s_lshl_b64 s[44:45], s[34:35], 2
	v_mov_b32_e32 v26, s45
	v_add_co_u32_e32 v10, vcc, s44, v10
	v_addc_co_u32_e32 v11, vcc, v11, v26, vcc
	v_add_co_u32_e32 v10, vcc, -4, v10
	v_addc_co_u32_e32 v11, vcc, -1, v11, vcc
	v_cmp_gt_i32_e64 s[18:19], s34, v3
	s_sub_i32 s31, s34, 32
	v_mov_b32_e32 v25, 0
	v_cndmask_b32_e64 v11, v11, v1, s[18:19]
	v_cndmask_b32_e64 v10, v10, v2, s[18:19]
	v_cmp_gt_i32_e32 vcc, s31, v12
	v_mov_b32_e32 v26, 0
	s_and_saveexec_b64 s[46:47], vcc
	s_cbranch_execz .LBB151_38
; %bb.37:
	flat_load_dword v26, v[10:11]
.LBB151_38:
	s_or_b64 exec, exec, s[46:47]
	v_mul_u32_u24_e32 v3, 33, v12
	v_add_lshl_u32 v3, v3, v0, 2
	s_waitcnt vmcnt(0) lgkmcnt(0)
	ds_write_b32 v3, v26
	v_add_u32_e32 v26, 8, v12
	v_cmp_gt_i32_e32 vcc, s31, v26
	s_and_saveexec_b64 s[46:47], vcc
	s_cbranch_execz .LBB151_40
; %bb.39:
	v_mov_b32_e32 v25, s43
	v_add_co_u32_e32 v26, vcc, s42, v10
	v_addc_co_u32_e32 v27, vcc, v11, v25, vcc
	flat_load_dword v25, v[26:27]
.LBB151_40:
	s_or_b64 exec, exec, s[46:47]
	s_waitcnt vmcnt(0) lgkmcnt(0)
	ds_write_b32 v3, v25 offset:1056
	v_add_u32_e32 v25, 16, v12
	v_cmp_gt_i32_e32 vcc, s31, v25
	v_mov_b32_e32 v25, 0
	v_mov_b32_e32 v26, 0
	s_and_saveexec_b64 s[46:47], vcc
	s_cbranch_execz .LBB151_42
; %bb.41:
	s_lshl_b64 s[48:49], s[26:27], 6
	v_mov_b32_e32 v27, s49
	v_add_co_u32_e32 v26, vcc, s48, v10
	v_addc_co_u32_e32 v27, vcc, v11, v27, vcc
	flat_load_dword v26, v[26:27]
.LBB151_42:
	s_or_b64 exec, exec, s[46:47]
	s_waitcnt vmcnt(0) lgkmcnt(0)
	ds_write_b32 v3, v26 offset:2112
	v_add_u32_e32 v26, 24, v12
	v_cmp_gt_i32_e32 vcc, s31, v26
	s_and_saveexec_b64 s[46:47], vcc
	s_cbranch_execz .LBB151_44
; %bb.43:
	v_mov_b32_e32 v25, 0x60
	v_mad_u64_u32 v[26:27], s[48:49], s26, v25, v[10:11]
	s_mul_i32 s31, s27, 0x60
	v_add_u32_e32 v27, s31, v27
	flat_load_dword v25, v[26:27]
.LBB151_44:
	s_or_b64 exec, exec, s[46:47]
	s_waitcnt vmcnt(0) lgkmcnt(0)
	ds_write_b32 v3, v25 offset:3168
	v_lshlrev_b32_e32 v3, 2, v0
	v_add_co_u32_e32 v3, vcc, v10, v3
	v_addc_co_u32_e32 v10, vcc, 0, v11, vcc
	v_mov_b32_e32 v11, s45
	v_subrev_co_u32_e32 v3, vcc, s44, v3
	v_subb_co_u32_e32 v10, vcc, v10, v11, vcc
	v_add_co_u32_e32 v3, vcc, 0x84, v3
	v_addc_co_u32_e32 v10, vcc, 0, v10, vcc
	v_cndmask_b32_e64 v1, v10, v1, s[18:19]
	v_cndmask_b32_e64 v2, v3, v2, s[18:19]
.LBB151_45:
	v_add_u32_e32 v22, 0x11c0, v22
	s_waitcnt lgkmcnt(0)
	s_barrier
	s_and_saveexec_b64 s[18:19], s[8:9]
	s_cbranch_execnz .LBB151_54
; %bb.46:
	s_or_b64 exec, exec, s[18:19]
	s_and_saveexec_b64 s[8:9], s[10:11]
	s_cbranch_execnz .LBB151_55
.LBB151_47:
	s_or_b64 exec, exec, s[8:9]
	s_and_saveexec_b64 s[8:9], s[12:13]
	s_cbranch_execnz .LBB151_56
.LBB151_48:
	s_or_b64 exec, exec, s[8:9]
	s_and_saveexec_b64 s[8:9], s[14:15]
	s_cbranch_execz .LBB151_50
.LBB151_49:
	ds_read_b32 v3, v15
	s_waitcnt lgkmcnt(0)
	ds_write_b32 v13, v3 offset:12
.LBB151_50:
	s_or_b64 exec, exec, s[8:9]
	s_waitcnt lgkmcnt(0)
	s_barrier
	ds_read_b32 v3, v23
	ds_read_b128 v[26:29], v22 offset:128
	ds_read2_b32 v[10:11], v24 offset1:33
	ds_read_b32 v15, v15
	v_cmp_eq_u32_e64 s[8:9], 1, v12
	s_waitcnt lgkmcnt(0)
	v_fma_f32 v3, v3, v26, 0
	v_fmac_f32_e32 v3, v10, v27
	v_fmac_f32_e32 v3, v11, v28
	;; [unrolled: 1-line block ×3, first 2 shown]
	s_barrier
	ds_write_b32 v21, v3
	s_waitcnt lgkmcnt(0)
	s_barrier
	s_and_saveexec_b64 s[10:11], s[8:9]
	s_cbranch_execz .LBB151_52
; %bb.51:
	v_lshlrev_b32_e32 v3, 2, v20
	ds_read2_b32 v[10:11], v3 offset1:1
	ds_read2_b32 v[24:25], v3 offset0:2 offset1:3
	ds_read2_b32 v[26:27], v3 offset0:4 offset1:5
	;; [unrolled: 1-line block ×3, first 2 shown]
	s_waitcnt lgkmcnt(3)
	v_add_f32_e32 v3, v10, v11
	s_waitcnt lgkmcnt(2)
	v_add_f32_e32 v3, v3, v24
	v_add_f32_e32 v3, v3, v25
	s_waitcnt lgkmcnt(1)
	v_add_f32_e32 v3, v3, v26
	;; [unrolled: 3-line block ×3, first 2 shown]
	v_add_f32_e32 v17, v3, v29
.LBB151_52:
	s_or_b64 exec, exec, s[10:11]
	s_lshl_b64 s[10:11], s[42:43], 2
	v_mov_b32_e32 v3, s11
	v_subrev_co_u32_e64 v10, s[10:11], s10, v2
	s_and_b64 vcc, exec, s[16:17]
	v_subb_co_u32_e64 v11, s[10:11], v1, v3, s[10:11]
	s_barrier
	s_cbranch_vccnz .LBB151_57
; %bb.53:
	flat_load_dword v15, v[10:11]
	v_mad_u32_u24 v1, v12, 33, v0
	v_mov_b32_e32 v23, s43
	v_lshlrev_b32_e32 v28, 2, v1
	v_add_co_u32_e32 v2, vcc, s42, v10
	v_addc_co_u32_e32 v3, vcc, v11, v23, vcc
	s_mul_i32 s12, s27, 0x60
	v_add_u32_e32 v24, 24, v12
	v_add_u32_e32 v27, 0x108, v1
	;; [unrolled: 1-line block ×4, first 2 shown]
	s_waitcnt vmcnt(0) lgkmcnt(0)
	ds_write_b32 v28, v15
	flat_load_dword v15, v[2:3]
	v_add_co_u32_e32 v2, vcc, s42, v2
	v_addc_co_u32_e32 v3, vcc, v3, v23, vcc
	v_add_u32_e32 v23, 16, v12
	s_waitcnt vmcnt(0) lgkmcnt(0)
	ds_write_b32 v28, v15 offset:1056
	flat_load_dword v15, v[2:3]
	v_mov_b32_e32 v2, 0x60
	v_mad_u64_u32 v[2:3], s[10:11], s26, v2, v[10:11]
	v_add_u32_e32 v3, s12, v3
	s_waitcnt vmcnt(0) lgkmcnt(0)
	ds_write_b32 v28, v15 offset:2112
	flat_load_dword v2, v[2:3]
	v_add_u32_e32 v15, 8, v12
	s_waitcnt vmcnt(0) lgkmcnt(0)
	ds_write_b32 v28, v2 offset:3168
	s_cbranch_execz .LBB151_58
	s_branch .LBB151_67
.LBB151_54:
	ds_read_b32 v3, v23
	s_waitcnt lgkmcnt(0)
	ds_write_b32 v13, v3
	s_or_b64 exec, exec, s[18:19]
	s_and_saveexec_b64 s[8:9], s[10:11]
	s_cbranch_execz .LBB151_47
.LBB151_55:
	ds_read_b32 v3, v24
	s_waitcnt lgkmcnt(0)
	ds_write_b32 v13, v3 offset:4
	s_or_b64 exec, exec, s[8:9]
	s_and_saveexec_b64 s[8:9], s[12:13]
	s_cbranch_execz .LBB151_48
.LBB151_56:
	ds_read_b32 v3, v24 offset:132
	s_waitcnt lgkmcnt(0)
	ds_write_b32 v13, v3 offset:8
	s_or_b64 exec, exec, s[8:9]
	s_and_saveexec_b64 s[8:9], s[14:15]
	s_cbranch_execnz .LBB151_49
	s_branch .LBB151_50
.LBB151_57:
                                        ; implicit-def: $vgpr1
                                        ; implicit-def: $vgpr15
                                        ; implicit-def: $vgpr27
                                        ; implicit-def: $vgpr23
                                        ; implicit-def: $vgpr25
                                        ; implicit-def: $vgpr24
                                        ; implicit-def: $vgpr26
.LBB151_58:
	v_or_b32_e32 v1, 32, v0
	v_lshlrev_b32_e32 v2, 2, v1
	v_sub_co_u32_e32 v2, vcc, v10, v2
	s_ashr_i32 s35, s34, 31
	v_subbrev_co_u32_e32 v3, vcc, 0, v11, vcc
	s_lshl_b64 s[12:13], s[34:35], 2
	v_mov_b32_e32 v15, s13
	v_add_co_u32_e32 v2, vcc, s12, v2
	v_addc_co_u32_e32 v3, vcc, v3, v15, vcc
	v_add_co_u32_e32 v2, vcc, -4, v2
	v_addc_co_u32_e32 v3, vcc, -1, v3, vcc
	v_cmp_gt_i32_e64 s[10:11], s34, v1
	v_mov_b32_e32 v23, 0
	v_cndmask_b32_e64 v3, v3, v11, s[10:11]
	v_cndmask_b32_e64 v2, v2, v10, s[10:11]
	v_cmp_gt_i32_e32 vcc, s34, v12
	v_mov_b32_e32 v15, 0
	s_and_saveexec_b64 s[14:15], vcc
	s_cbranch_execz .LBB151_60
; %bb.59:
	flat_load_dword v15, v[2:3]
.LBB151_60:
	s_or_b64 exec, exec, s[14:15]
	v_mad_u32_u24 v1, v12, 33, v0
	v_lshlrev_b32_e32 v28, 2, v1
	s_waitcnt vmcnt(0) lgkmcnt(0)
	ds_write_b32 v28, v15
	v_add_u32_e32 v15, 8, v12
	v_cmp_gt_i32_e32 vcc, s34, v15
	s_and_saveexec_b64 s[14:15], vcc
	s_cbranch_execz .LBB151_62
; %bb.61:
	v_mov_b32_e32 v23, s43
	v_add_co_u32_e32 v24, vcc, s42, v2
	v_addc_co_u32_e32 v25, vcc, v3, v23, vcc
	flat_load_dword v23, v[24:25]
.LBB151_62:
	s_or_b64 exec, exec, s[14:15]
	s_waitcnt vmcnt(0) lgkmcnt(0)
	ds_write_b32 v28, v23 offset:1056
	v_add_u32_e32 v23, 16, v12
	v_cmp_gt_i32_e32 vcc, s34, v23
	v_mov_b32_e32 v29, 0
	v_mov_b32_e32 v24, 0
	s_and_saveexec_b64 s[14:15], vcc
	s_cbranch_execz .LBB151_64
; %bb.63:
	s_lshl_b64 s[16:17], s[26:27], 6
	v_mov_b32_e32 v25, s17
	v_add_co_u32_e32 v24, vcc, s16, v2
	v_addc_co_u32_e32 v25, vcc, v3, v25, vcc
	flat_load_dword v24, v[24:25]
.LBB151_64:
	s_or_b64 exec, exec, s[14:15]
	s_waitcnt vmcnt(0) lgkmcnt(0)
	ds_write_b32 v28, v24 offset:2112
	v_add_u32_e32 v24, 24, v12
	v_cmp_gt_i32_e32 vcc, s34, v24
	s_and_saveexec_b64 s[14:15], vcc
	s_cbranch_execz .LBB151_66
; %bb.65:
	v_mov_b32_e32 v12, 0x60
	v_mad_u64_u32 v[26:27], s[16:17], s26, v12, v[2:3]
	s_mul_i32 s16, s27, 0x60
	v_add_u32_e32 v27, s16, v27
	flat_load_dword v29, v[26:27]
.LBB151_66:
	s_or_b64 exec, exec, s[14:15]
	v_lshlrev_b32_e32 v0, 2, v0
	v_add_co_u32_e32 v0, vcc, v2, v0
	v_addc_co_u32_e32 v2, vcc, 0, v3, vcc
	v_mov_b32_e32 v3, s13
	v_subrev_co_u32_e32 v0, vcc, s12, v0
	v_subb_co_u32_e32 v2, vcc, v2, v3, vcc
	v_add_co_u32_e32 v0, vcc, 0x84, v0
	v_addc_co_u32_e32 v2, vcc, 0, v2, vcc
	v_add_u32_e32 v27, 0x108, v1
	v_add_u32_e32 v25, 0x210, v1
	;; [unrolled: 1-line block ×3, first 2 shown]
	v_cndmask_b32_e64 v11, v2, v11, s[10:11]
	v_cndmask_b32_e64 v10, v0, v10, s[10:11]
	s_waitcnt vmcnt(0) lgkmcnt(0)
	ds_write_b32 v28, v29 offset:3168
.LBB151_67:
	s_waitcnt lgkmcnt(0)
	s_barrier
	v_lshlrev_b32_e32 v0, 2, v1
	ds_read_b32 v28, v14 offset:4544
	v_lshlrev_b32_e32 v1, 2, v27
	ds_read_b32 v27, v0
	ds_read_b32 v29, v1
	v_lshlrev_b32_e32 v0, 2, v15
	v_lshlrev_b32_e32 v1, 2, v25
	;; [unrolled: 1-line block ×5, first 2 shown]
	ds_read_b32 v23, v0 offset:4544
	ds_read_b32 v24, v1
	ds_read_b32 v25, v2 offset:4544
	ds_read_b32 v26, v3
	ds_read_b32 v30, v12 offset:4544
	ds_read2_b32 v[14:15], v13 offset1:1
	ds_read_b128 v[0:3], v22 offset:128
	ds_read2_b32 v[12:13], v13 offset0:2 offset1:3
	s_waitcnt lgkmcnt(9)
	v_fma_f32 v22, v27, v28, 0
	s_waitcnt lgkmcnt(7)
	v_fmac_f32_e32 v22, v29, v23
	s_waitcnt lgkmcnt(5)
	v_fmac_f32_e32 v22, v24, v25
	;; [unrolled: 2-line block ×3, first 2 shown]
	s_waitcnt lgkmcnt(0)
	s_barrier
	ds_write_b32 v21, v22
	s_waitcnt lgkmcnt(0)
	s_barrier
	s_and_saveexec_b64 s[10:11], s[8:9]
	s_cbranch_execz .LBB151_69
; %bb.68:
	v_lshlrev_b32_e32 v28, 2, v20
	ds_read2_b32 v[22:23], v28 offset1:1
	ds_read2_b32 v[24:25], v28 offset0:2 offset1:3
	ds_read2_b32 v[26:27], v28 offset0:4 offset1:5
	;; [unrolled: 1-line block ×3, first 2 shown]
	s_waitcnt lgkmcnt(3)
	v_add_f32_e32 v17, v17, v22
	v_add_f32_e32 v17, v17, v23
	s_waitcnt lgkmcnt(2)
	v_add_f32_e32 v17, v17, v24
	v_add_f32_e32 v17, v17, v25
	;; [unrolled: 3-line block ×4, first 2 shown]
.LBB151_69:
	s_or_b64 exec, exec, s[10:11]
	v_fma_f32 v0, v14, v0, 0
	v_fmac_f32_e32 v0, v15, v1
	v_fmac_f32_e32 v0, v12, v2
	;; [unrolled: 1-line block ×3, first 2 shown]
	s_barrier
	ds_write_b32 v21, v0
	s_waitcnt lgkmcnt(0)
	s_barrier
	s_and_saveexec_b64 s[8:9], s[20:21]
	s_cbranch_execz .LBB151_71
; %bb.70:
	v_lshlrev_b32_e32 v14, 2, v20
	ds_read2_b32 v[0:1], v14 offset1:1
	ds_read2_b32 v[2:3], v14 offset0:2 offset1:3
	ds_read2_b32 v[12:13], v14 offset0:4 offset1:5
	;; [unrolled: 1-line block ×3, first 2 shown]
	s_waitcnt lgkmcnt(3)
	v_add_f32_e32 v0, v17, v0
	v_add_f32_e32 v0, v0, v1
	s_waitcnt lgkmcnt(2)
	v_add_f32_e32 v0, v0, v2
	v_add_f32_e32 v0, v0, v3
	;; [unrolled: 3-line block ×4, first 2 shown]
.LBB151_71:
	s_or_b64 exec, exec, s[8:9]
	s_load_dwordx2 s[4:5], s[4:5], 0x60
	s_mul_hi_u32 s8, s30, s28
	s_mul_i32 s29, s29, s28
	s_add_i32 s8, s8, s29
	s_mul_i32 s10, s30, s28
	s_mul_i32 s8, s8, s7
	s_mul_hi_u32 s9, s10, s7
	s_add_i32 s9, s9, s8
	s_mul_i32 s8, s10, s7
	s_lshl_b64 s[8:9], s[8:9], 2
	s_waitcnt lgkmcnt(0)
	s_add_u32 s7, s4, s8
	s_mul_i32 s4, s6, s30
	s_addc_u32 s8, s5, s9
	s_ashr_i32 s5, s4, 31
	s_lshl_b64 s[4:5], s[4:5], 2
	s_add_u32 s7, s7, s4
	v_cmp_le_i32_e32 vcc, s34, v18
	s_addc_u32 s20, s8, s5
	s_and_b64 vcc, s[40:41], vcc
	s_cmp_lt_i32 s6, 1
	v_lshlrev_b32_e32 v12, 2, v18
	s_barrier
	s_cbranch_scc1 .LBB151_78
; %bb.72:
	s_mul_i32 s4, s36, s23
	s_mul_hi_u32 s5, s36, s22
	s_add_i32 s4, s5, s4
	s_mul_i32 s5, s37, s22
	s_add_i32 s5, s4, s5
	s_mul_i32 s4, s36, s22
	s_lshl_b64 s[4:5], s[4:5], 2
	v_mov_b32_e32 v0, s5
	v_subrev_co_u32_e64 v6, s[4:5], s4, v6
	v_subb_co_u32_e64 v7, s[4:5], v7, v0, s[4:5]
	v_mov_b32_e32 v0, s39
	v_subrev_co_u32_e64 v1, s[4:5], s38, v10
	v_subb_co_u32_e64 v0, s[4:5], v11, v0, s[4:5]
	v_lshlrev_b32_e32 v3, 2, v16
	v_sub_co_u32_e64 v8, s[4:5], v1, v8
	v_subb_co_u32_e64 v9, s[4:5], v0, v9, s[4:5]
	v_mad_u64_u32 v[0:1], s[4:5], v3, s26, 0
	v_mov_b32_e32 v2, v1
	v_mad_u64_u32 v[2:3], s[4:5], v3, s27, v[2:3]
	v_mov_b32_e32 v1, v2
	v_lshlrev_b64 v[0:1], 2, v[0:1]
	v_add_co_u32_e64 v0, s[4:5], v8, v0
	v_addc_co_u32_e64 v1, s[4:5], v9, v1, s[4:5]
	s_movk_i32 s4, 0xff80
	v_add_co_u32_e64 v0, s[4:5], s4, v0
	v_addc_co_u32_e64 v2, s[4:5], -1, v1, s[4:5]
	s_ashr_i32 s35, s34, 31
	s_lshl_b64 s[4:5], s[34:35], 2
	v_mov_b32_e32 v1, s5
	v_add_co_u32_e64 v3, s[4:5], s4, v0
	v_addc_co_u32_e64 v1, s[4:5], v2, v1, s[4:5]
	v_add_co_u32_e64 v8, s[4:5], -4, v3
	v_addc_co_u32_e64 v3, s[4:5], -1, v1, s[4:5]
	v_add_co_u32_e64 v0, s[4:5], v0, v12
	v_addc_co_u32_e64 v2, s[4:5], 0, v2, s[4:5]
	v_cndmask_b32_e32 v3, v2, v3, vcc
	v_cndmask_b32_e32 v2, v0, v8, vcc
	v_lshrrev_b32_e32 v0, 2, v19
	v_and_b32_e32 v21, 48, v18
	s_mul_i32 s31, s27, 0x8c
	s_mul_hi_u32 s33, s26, 0x8c
	v_and_b32_e32 v20, 15, v18
	v_and_b32_e32 v0, 0x7ffc, v0
	v_lshlrev_b32_e32 v10, 2, v21
	s_movk_i32 s8, 0x10c
	v_or_b32_e32 v11, 60, v12
	v_and_b32_e32 v13, 0x1fff0, v19
	s_movk_i32 s9, 0x430
	s_add_i32 s38, s33, s31
	s_mul_i32 s33, s27, 0xc0
	s_mul_hi_u32 s34, s26, 0xc0
	v_mad_u32_u24 v10, v20, s8, v10
	v_mad_u32_u24 v11, v20, s8, v11
	;; [unrolled: 1-line block ×5, first 2 shown]
	s_mul_i32 s8, s27, 12
	s_mul_hi_u32 s9, s26, 12
	s_add_i32 s39, s34, s33
	s_mul_i32 s34, s27, 0xc8
	s_mul_hi_u32 s35, s26, 0xc8
	s_add_i32 s8, s9, s8
	;; [unrolled: 3-line block ×5, first 2 shown]
	s_mul_i32 s36, s27, 0xc4
	s_mul_hi_u32 s37, s26, 0xc4
	s_lshl_b64 s[10:11], s[26:27], 2
	s_lshl_b64 s[12:13], s[26:27], 3
	;; [unrolled: 1-line block ×4, first 2 shown]
	s_add_i32 s18, s19, s18
	s_mul_i32 s19, s27, 0x88
	s_mul_hi_u32 s30, s26, 0x88
	s_add_i32 s42, s37, s36
	s_mul_i32 s37, s27, 0x84
	s_mul_hi_u32 s43, s26, 0x84
	s_mulk_i32 s27, 0x44
	s_mul_hi_u32 s44, s26, 0x44
	v_mov_b32_e32 v14, 0x10c0
	s_add_i32 s19, s30, s19
	s_add_i32 s43, s43, s37
	;; [unrolled: 1-line block ×3, first 2 shown]
	v_mov_b32_e32 v1, 0
	v_add_u32_e32 v8, 0x10c0, v12
	v_add_u32_e32 v9, 0x11c0, v12
	v_cmp_gt_u32_e64 s[4:5], 64, v19
	v_lshl_add_u32 v14, v16, 4, v14
	s_mul_i32 s21, s26, 12
	s_mul_i32 s28, s26, 0x48
	;; [unrolled: 1-line block ×10, first 2 shown]
	s_mulk_i32 s26, 0x44
	v_or_b32_e32 v19, v21, v20
	s_mov_b32 s27, 0
	v_mov_b32_e32 v20, s11
	v_mov_b32_e32 v21, s13
	;; [unrolled: 1-line block ×15, first 2 shown]
	s_branch .LBB151_74
.LBB151_73:                             ;   in Loop: Header=BB151_74 Depth=1
	s_or_b64 exec, exec, s[18:19]
	v_fmac_f32_e32 v17, v35, v39
	v_fmac_f32_e32 v17, v36, v40
	;; [unrolled: 1-line block ×15, first 2 shown]
	v_mov_b32_e32 v0, s15
	s_add_i32 s27, s27, 64
	s_add_i32 s6, s6, -1
	v_add_co_u32_e64 v2, s[8:9], s14, v2
	v_fmac_f32_e32 v17, v61, v66
	s_cmp_eq_u32 s6, 0
	v_addc_co_u32_e64 v3, s[8:9], v3, v0, s[8:9]
	s_barrier
	s_cbranch_scc1 .LBB151_78
.LBB151_74:                             ; =>This Inner Loop Header: Depth=1
	s_and_saveexec_b64 s[18:19], s[2:3]
	s_cbranch_execz .LBB151_76
; %bb.75:                               ;   in Loop: Header=BB151_74 Depth=1
	s_mul_i32 s8, s27, s23
	s_mul_hi_u32 s9, s27, s22
	s_add_i32 s9, s9, s8
	s_mul_i32 s8, s27, s22
	s_lshl_b64 s[8:9], s[8:9], 2
	v_mov_b32_e32 v0, s9
	v_add_co_u32_e64 v36, s[8:9], s8, v6
	v_addc_co_u32_e64 v37, s[8:9], v7, v0, s[8:9]
	flat_load_dword v0, v[36:37]
	s_waitcnt vmcnt(0) lgkmcnt(0)
	ds_write_b32 v8, v0
.LBB151_76:                             ;   in Loop: Header=BB151_74 Depth=1
	s_or_b64 exec, exec, s[18:19]
	v_add_co_u32_e64 v38, s[8:9], s10, v2
	v_addc_co_u32_e64 v39, s[8:9], v3, v20, s[8:9]
	v_add_co_u32_e64 v40, s[8:9], s12, v2
	s_waitcnt lgkmcnt(0)
	s_barrier
	flat_load_dword v35, v[2:3]
	v_addc_co_u32_e64 v41, s[8:9], v3, v21, s[8:9]
	flat_load_dword v36, v[38:39]
	flat_load_dword v37, v[40:41]
	v_add_co_u32_e64 v38, s[8:9], s21, v2
	v_addc_co_u32_e64 v39, s[8:9], v3, v22, s[8:9]
	flat_load_dword v38, v[38:39]
	ds_read_b32 v0, v9
	ds_read_b32 v39, v14
	v_add_co_u32_e64 v48, s[8:9], s16, v2
	v_addc_co_u32_e64 v49, s[8:9], v3, v23, s[8:9]
	v_add_co_u32_e64 v50, s[8:9], s26, v2
	v_addc_co_u32_e64 v51, s[8:9], v3, v24, s[8:9]
	;; [unrolled: 2-line block ×12, first 2 shown]
	s_waitcnt vmcnt(0) lgkmcnt(0)
	v_mul_f32_e32 v40, v35, v0
	ds_write_b32 v15, v40
	v_mul_f32_e32 v41, v36, v0
	v_mul_f32_e32 v42, v37, v0
	ds_read_b32 v40, v14 offset:4
	ds_write_b32 v15, v41 offset:268
	ds_read_b32 v41, v14 offset:8
	ds_write_b32 v15, v42 offset:536
	v_mul_f32_e32 v0, v38, v0
	ds_read_b32 v42, v14 offset:12
	ds_write_b32 v15, v0 offset:804
	s_waitcnt lgkmcnt(0)
	s_barrier
	ds_read2_b32 v[64:65], v13 offset1:1
	ds_read2_b32 v[66:67], v13 offset0:2 offset1:3
	s_waitcnt lgkmcnt(0)
	s_barrier
	flat_load_dword v46, v[48:49]
	flat_load_dword v44, v[50:51]
	;; [unrolled: 1-line block ×4, first 2 shown]
	ds_read_b32 v0, v9
	ds_read_b32 v47, v14 offset:64
	s_waitcnt vmcnt(0) lgkmcnt(0)
	v_mul_f32_e32 v48, v46, v0
	v_mul_f32_e32 v49, v44, v0
	ds_write_b32 v15, v48
	v_mul_f32_e32 v50, v43, v0
	ds_read_b32 v48, v14 offset:68
	ds_write_b32 v15, v49 offset:268
	v_mul_f32_e32 v0, v45, v0
	ds_read_b32 v49, v14 offset:72
	ds_write_b32 v15, v50 offset:536
	ds_read_b32 v50, v14 offset:76
	ds_write_b32 v15, v0 offset:804
	s_waitcnt lgkmcnt(0)
	s_barrier
	ds_read2_b32 v[68:69], v13 offset1:1
	ds_read2_b32 v[70:71], v13 offset0:2 offset1:3
	s_waitcnt lgkmcnt(0)
	s_barrier
	flat_load_dword v54, v[56:57]
	flat_load_dword v52, v[58:59]
	;; [unrolled: 1-line block ×4, first 2 shown]
	ds_read_b32 v0, v9
	ds_read_b32 v55, v14 offset:128
	v_add_f32_e32 v63, 0, v68
	v_add_f32_e32 v63, v63, v69
	;; [unrolled: 1-line block ×3, first 2 shown]
	s_waitcnt vmcnt(0) lgkmcnt(0)
	v_mul_f32_e32 v56, v54, v0
	v_mul_f32_e32 v57, v52, v0
	ds_write_b32 v15, v56
	v_mul_f32_e32 v58, v51, v0
	ds_read_b32 v56, v14 offset:132
	ds_write_b32 v15, v57 offset:268
	v_mul_f32_e32 v0, v53, v0
	ds_read_b32 v57, v14 offset:136
	ds_write_b32 v15, v58 offset:536
	ds_read_b32 v58, v14 offset:140
	ds_write_b32 v15, v0 offset:804
	s_waitcnt lgkmcnt(0)
	s_barrier
	ds_read2_b32 v[80:81], v13 offset1:1
	ds_read2_b32 v[82:83], v13 offset0:2 offset1:3
	s_waitcnt lgkmcnt(0)
	s_barrier
	flat_load_dword v62, v[72:73]
	flat_load_dword v60, v[74:75]
	;; [unrolled: 1-line block ×4, first 2 shown]
	v_add_f32_e32 v0, 0, v64
	v_add_f32_e32 v0, v0, v65
	;; [unrolled: 1-line block ×5, first 2 shown]
	ds_read_b32 v64, v9
	ds_read_b32 v63, v14 offset:192
	v_add_f32_e32 v65, 0, v80
	v_add_f32_e32 v65, v65, v81
	;; [unrolled: 1-line block ×4, first 2 shown]
	s_waitcnt vmcnt(0) lgkmcnt(0)
	v_mul_f32_e32 v65, v62, v64
	v_mul_f32_e32 v66, v60, v64
	ds_write_b32 v15, v65
	v_mul_f32_e32 v68, v59, v64
	v_mul_f32_e32 v69, v61, v64
	ds_read_b32 v64, v14 offset:196
	ds_write_b32 v15, v66 offset:268
	ds_read_b32 v65, v14 offset:200
	ds_write_b32 v15, v68 offset:536
	;; [unrolled: 2-line block ×3, first 2 shown]
	s_waitcnt lgkmcnt(0)
	s_barrier
	ds_read2_b32 v[68:69], v13 offset1:1
	ds_read2_b32 v[70:71], v13 offset0:2 offset1:3
	s_waitcnt lgkmcnt(0)
	s_barrier
	ds_write2_b32 v18, v0, v67 offset1:16
	v_add_f32_e32 v0, 0, v68
	v_add_f32_e32 v0, v0, v69
	;; [unrolled: 1-line block ×4, first 2 shown]
	ds_write2_b32 v18, v72, v0 offset0:32 offset1:48
	s_waitcnt lgkmcnt(0)
	s_barrier
	s_and_saveexec_b64 s[18:19], s[4:5]
	s_cbranch_execz .LBB151_73
; %bb.77:                               ;   in Loop: Header=BB151_74 Depth=1
	ds_read2_b32 v[68:69], v10 offset1:1
	ds_read2_b32 v[70:71], v10 offset0:2 offset1:3
	ds_read2_b32 v[72:73], v10 offset0:4 offset1:5
	;; [unrolled: 1-line block ×3, first 2 shown]
	s_waitcnt lgkmcnt(3)
	v_add_f32_e32 v0, v68, v69
	s_waitcnt lgkmcnt(2)
	v_add_f32_e32 v0, v0, v70
	v_add_f32_e32 v0, v0, v71
	ds_read2_b32 v[68:69], v10 offset0:8 offset1:9
	s_waitcnt lgkmcnt(2)
	v_add_f32_e32 v0, v0, v72
	v_add_f32_e32 v0, v0, v73
	s_waitcnt lgkmcnt(1)
	v_add_f32_e32 v0, v0, v74
	v_add_f32_e32 v0, v0, v75
	ds_read2_b32 v[70:71], v10 offset0:10 offset1:11
	ds_read2_b32 v[72:73], v10 offset0:12 offset1:13
	ds_read_b32 v67, v10 offset:56
	s_waitcnt lgkmcnt(3)
	v_add_f32_e32 v0, v0, v68
	v_add_f32_e32 v0, v0, v69
	s_waitcnt lgkmcnt(2)
	v_add_f32_e32 v0, v0, v70
	ds_read_b32 v68, v11
	v_add_f32_e32 v0, v0, v71
	s_waitcnt lgkmcnt(2)
	v_add_f32_e32 v0, v0, v72
	v_add_f32_e32 v0, v0, v73
	s_waitcnt lgkmcnt(1)
	v_add_f32_e32 v0, v0, v67
	s_waitcnt lgkmcnt(0)
	v_add_f32_e32 v67, v0, v68
	v_add_u32_e32 v0, s27, v19
	v_lshlrev_b64 v[68:69], 2, v[0:1]
	v_mov_b32_e32 v0, s20
	v_add_co_u32_e64 v68, s[8:9], s7, v68
	v_addc_co_u32_e64 v69, s[8:9], v0, v69, s[8:9]
	global_store_dword v[68:69], v67, off
	s_branch .LBB151_73
.LBB151_78:
	s_movk_i32 s2, 0x10c
	s_or_b64 s[0:1], s[0:1], vcc
	v_mad_u32_u24 v0, v16, s2, v12
	s_xor_b64 s[0:1], s[0:1], -1
	ds_write_b32 v0, v17
	s_waitcnt lgkmcnt(0)
	s_barrier
	s_and_saveexec_b64 s[2:3], s[0:1]
	s_cbranch_execz .LBB151_80
; %bb.79:
	ds_read2_b32 v[0:1], v12 offset1:67
	ds_read2_b32 v[2:3], v12 offset0:134 offset1:201
	v_lshlrev_b64 v[4:5], 2, v[4:5]
	v_mov_b32_e32 v6, s20
	s_waitcnt lgkmcnt(1)
	v_add_f32_e32 v0, v0, v1
	s_waitcnt lgkmcnt(0)
	v_add_f32_e32 v0, v0, v2
	v_add_f32_e32 v2, v0, v3
	v_add_co_u32_e32 v0, vcc, s7, v4
	v_addc_co_u32_e32 v1, vcc, v6, v5, vcc
	global_store_dword v[0:1], v2, off
.LBB151_80:
	s_endpgm
	.section	.rodata,"a",@progbits
	.p2align	6, 0x0
	.amdhsa_kernel _ZL26rocblas_hemvn_kernel_lowerILb0ELi64ELi4ELi33ELi32ELi16ElfPKPKfPfEviT6_lT7_lT5_lS6_lS7_lS5_lT8_i
		.amdhsa_group_segment_fixed_size 4800
		.amdhsa_private_segment_fixed_size 0
		.amdhsa_kernarg_size 368
		.amdhsa_user_sgpr_count 6
		.amdhsa_user_sgpr_private_segment_buffer 1
		.amdhsa_user_sgpr_dispatch_ptr 0
		.amdhsa_user_sgpr_queue_ptr 0
		.amdhsa_user_sgpr_kernarg_segment_ptr 1
		.amdhsa_user_sgpr_dispatch_id 0
		.amdhsa_user_sgpr_flat_scratch_init 0
		.amdhsa_user_sgpr_kernarg_preload_length 0
		.amdhsa_user_sgpr_kernarg_preload_offset 0
		.amdhsa_user_sgpr_private_segment_size 0
		.amdhsa_uses_dynamic_stack 0
		.amdhsa_system_sgpr_private_segment_wavefront_offset 0
		.amdhsa_system_sgpr_workgroup_id_x 1
		.amdhsa_system_sgpr_workgroup_id_y 0
		.amdhsa_system_sgpr_workgroup_id_z 1
		.amdhsa_system_sgpr_workgroup_info 0
		.amdhsa_system_vgpr_workitem_id 1
		.amdhsa_next_free_vgpr 84
		.amdhsa_next_free_sgpr 50
		.amdhsa_accum_offset 84
		.amdhsa_reserve_vcc 1
		.amdhsa_reserve_flat_scratch 0
		.amdhsa_float_round_mode_32 0
		.amdhsa_float_round_mode_16_64 0
		.amdhsa_float_denorm_mode_32 3
		.amdhsa_float_denorm_mode_16_64 3
		.amdhsa_dx10_clamp 1
		.amdhsa_ieee_mode 1
		.amdhsa_fp16_overflow 0
		.amdhsa_tg_split 0
		.amdhsa_exception_fp_ieee_invalid_op 0
		.amdhsa_exception_fp_denorm_src 0
		.amdhsa_exception_fp_ieee_div_zero 0
		.amdhsa_exception_fp_ieee_overflow 0
		.amdhsa_exception_fp_ieee_underflow 0
		.amdhsa_exception_fp_ieee_inexact 0
		.amdhsa_exception_int_div_zero 0
	.end_amdhsa_kernel
	.section	.text._ZL26rocblas_hemvn_kernel_lowerILb0ELi64ELi4ELi33ELi32ELi16ElfPKPKfPfEviT6_lT7_lT5_lS6_lS7_lS5_lT8_i,"axG",@progbits,_ZL26rocblas_hemvn_kernel_lowerILb0ELi64ELi4ELi33ELi32ELi16ElfPKPKfPfEviT6_lT7_lT5_lS6_lS7_lS5_lT8_i,comdat
.Lfunc_end151:
	.size	_ZL26rocblas_hemvn_kernel_lowerILb0ELi64ELi4ELi33ELi32ELi16ElfPKPKfPfEviT6_lT7_lT5_lS6_lS7_lS5_lT8_i, .Lfunc_end151-_ZL26rocblas_hemvn_kernel_lowerILb0ELi64ELi4ELi33ELi32ELi16ElfPKPKfPfEviT6_lT7_lT5_lS6_lS7_lS5_lT8_i
                                        ; -- End function
	.section	.AMDGPU.csdata,"",@progbits
; Kernel info:
; codeLenInByte = 5940
; NumSgprs: 54
; NumVgprs: 84
; NumAgprs: 0
; TotalNumVgprs: 84
; ScratchSize: 0
; MemoryBound: 0
; FloatMode: 240
; IeeeMode: 1
; LDSByteSize: 4800 bytes/workgroup (compile time only)
; SGPRBlocks: 6
; VGPRBlocks: 10
; NumSGPRsForWavesPerEU: 54
; NumVGPRsForWavesPerEU: 84
; AccumOffset: 84
; Occupancy: 5
; WaveLimiterHint : 1
; COMPUTE_PGM_RSRC2:SCRATCH_EN: 0
; COMPUTE_PGM_RSRC2:USER_SGPR: 6
; COMPUTE_PGM_RSRC2:TRAP_HANDLER: 0
; COMPUTE_PGM_RSRC2:TGID_X_EN: 1
; COMPUTE_PGM_RSRC2:TGID_Y_EN: 0
; COMPUTE_PGM_RSRC2:TGID_Z_EN: 1
; COMPUTE_PGM_RSRC2:TIDIG_COMP_CNT: 1
; COMPUTE_PGM_RSRC3_GFX90A:ACCUM_OFFSET: 20
; COMPUTE_PGM_RSRC3_GFX90A:TG_SPLIT: 0
	.section	.text._ZL36rocblas_hemvn_kernel_lower_block_sumILi64ElfPKPffEviT1_lS3_lT2_lT0_lPT3_i,"axG",@progbits,_ZL36rocblas_hemvn_kernel_lower_block_sumILi64ElfPKPffEviT1_lS3_lT2_lT0_lPT3_i,comdat
	.globl	_ZL36rocblas_hemvn_kernel_lower_block_sumILi64ElfPKPffEviT1_lS3_lT2_lT0_lPT3_i ; -- Begin function _ZL36rocblas_hemvn_kernel_lower_block_sumILi64ElfPKPffEviT1_lS3_lT2_lT0_lPT3_i
	.p2align	8
	.type	_ZL36rocblas_hemvn_kernel_lower_block_sumILi64ElfPKPffEviT1_lS3_lT2_lT0_lPT3_i,@function
_ZL36rocblas_hemvn_kernel_lower_block_sumILi64ElfPKPffEviT1_lS3_lT2_lT0_lPT3_i: ; @_ZL36rocblas_hemvn_kernel_lower_block_sumILi64ElfPKPffEviT1_lS3_lT2_lT0_lPT3_i
; %bb.0:
	s_load_dwordx2 s[8:9], s[4:5], 0x0
	s_load_dword s18, s[4:5], 0x10
	s_mov_b32 s13, 0
	s_waitcnt lgkmcnt(0)
	v_cmp_eq_f32_e64 s[0:1], s9, 0
	v_cmp_eq_f32_e64 s[2:3], s18, 1.0
	s_and_b64 s[0:1], s[0:1], s[2:3]
	s_and_b64 vcc, exec, s[0:1]
	s_cbranch_vccnz .LBB152_19
; %bb.1:
	s_load_dwordx2 s[10:11], s[4:5], 0x20
	s_load_dwordx4 s[0:3], s[4:5], 0x28
	s_mov_b32 s12, s7
	s_lshl_b64 s[14:15], s[12:13], 3
	v_lshl_or_b32 v2, s6, 6, v0
	s_waitcnt lgkmcnt(0)
	s_add_u32 s10, s10, s14
	s_addc_u32 s11, s11, s15
	s_load_dwordx2 s[10:11], s[10:11], 0x0
	s_lshl_b64 s[0:1], s[0:1], 2
	v_cmp_neq_f32_e64 s[14:15], s9, 0
	s_waitcnt lgkmcnt(0)
	s_add_u32 s7, s10, s0
	s_addc_u32 s13, s11, s1
	s_and_b64 vcc, exec, s[14:15]
	v_cmp_gt_i32_e64 s[0:1], s8, v2
	s_cbranch_vccnz .LBB152_6
; %bb.2:
	s_mov_b64 s[14:15], 0
	s_mov_b64 s[10:11], 0
                                        ; implicit-def: $vgpr3
                                        ; implicit-def: $vgpr0_vgpr1
	s_and_saveexec_b64 s[16:17], s[0:1]
	s_cbranch_execz .LBB152_7
; %bb.3:
	v_ashrrev_i32_e32 v0, 31, v2
	v_cmp_eq_f32_e64 s[0:1], s18, 0
	v_mul_lo_u32 v4, v2, s3
	v_mul_lo_u32 v5, v0, s2
	v_mad_u64_u32 v[0:1], s[10:11], v2, s2, 0
	v_mov_b32_e32 v3, 0
	v_add3_u32 v1, v1, v4, v5
	s_and_b64 vcc, exec, s[0:1]
	s_cbranch_vccnz .LBB152_5
; %bb.4:
	v_lshlrev_b64 v[4:5], 2, v[0:1]
	v_mov_b32_e32 v3, s13
	v_add_co_u32_e32 v4, vcc, s7, v4
	v_addc_co_u32_e32 v5, vcc, v3, v5, vcc
	global_load_dword v3, v[4:5], off
	s_waitcnt vmcnt(0)
	v_mul_f32_e32 v3, s18, v3
.LBB152_5:
	s_mov_b64 s[10:11], exec
	s_or_b64 exec, exec, s[16:17]
	s_and_b64 vcc, exec, s[14:15]
	s_cbranch_vccnz .LBB152_8
	s_branch .LBB152_17
.LBB152_6:
	s_mov_b64 s[10:11], 0
                                        ; implicit-def: $vgpr3
                                        ; implicit-def: $vgpr0_vgpr1
	s_cbranch_execnz .LBB152_8
	s_branch .LBB152_17
.LBB152_7:
	s_or_b64 exec, exec, s[16:17]
	s_and_b64 vcc, exec, s[14:15]
	s_cbranch_vccz .LBB152_17
.LBB152_8:
	v_cmp_gt_i32_e32 vcc, s8, v2
                                        ; implicit-def: $vgpr3
                                        ; implicit-def: $vgpr0_vgpr1
	s_and_saveexec_b64 s[0:1], vcc
	s_cbranch_execz .LBB152_16
; %bb.9:
	s_load_dword s14, s[4:5], 0x50
	v_mov_b32_e32 v4, 0
	s_waitcnt lgkmcnt(0)
	s_cmp_ge_i32 s6, s14
	s_cbranch_scc1 .LBB152_12
; %bb.10:
	s_ashr_i32 s17, s8, 31
	s_mul_i32 s15, s6, s8
	s_load_dwordx2 s[4:5], s[4:5], 0x40
	v_add_u32_e32 v0, s15, v2
	s_mul_hi_u32 s15, s8, s12
	s_mul_i32 s19, s17, s12
	s_mov_b32 s16, s8
	s_add_i32 s15, s15, s19
	s_mul_i32 s8, s8, s12
	s_mul_i32 s15, s15, s14
	s_mul_hi_u32 s12, s8, s14
	s_add_i32 s21, s12, s15
	s_mul_i32 s20, s8, s14
	s_lshl_b64 s[20:21], s[20:21], 2
	v_ashrrev_i32_e32 v1, 31, v0
	s_waitcnt lgkmcnt(0)
	s_add_u32 s4, s4, s20
	v_lshlrev_b64 v[0:1], 2, v[0:1]
	s_addc_u32 s5, s5, s21
	v_mov_b32_e32 v3, s5
	v_add_co_u32_e32 v0, vcc, s4, v0
	s_lshl_b64 s[4:5], s[16:17], 2
	v_addc_co_u32_e32 v1, vcc, v3, v1, vcc
	v_mov_b32_e32 v4, 0
	v_mov_b32_e32 v3, s5
.LBB152_11:                             ; =>This Inner Loop Header: Depth=1
	global_load_dword v5, v[0:1], off
	s_add_i32 s6, s6, 1
	v_add_co_u32_e32 v0, vcc, s4, v0
	v_addc_co_u32_e32 v1, vcc, v1, v3, vcc
	s_cmp_ge_i32 s6, s14
	s_waitcnt vmcnt(0)
	v_add_f32_e32 v4, v4, v5
	s_cbranch_scc0 .LBB152_11
.LBB152_12:
	v_cmp_eq_f32_e64 s[4:5], s18, 0
	v_ashrrev_i32_e32 v0, 31, v2
	s_and_b64 vcc, exec, s[4:5]
	v_mul_lo_u32 v5, v2, s3
	v_mul_lo_u32 v6, v0, s2
	s_cbranch_vccz .LBB152_20
; %bb.13:
	v_mad_u64_u32 v[0:1], s[4:5], v2, s2, 0
	v_mul_f32_e32 v3, s9, v4
	v_add3_u32 v1, v1, v5, v6
	s_cbranch_execnz .LBB152_15
.LBB152_14:
	v_mad_u64_u32 v[0:1], s[2:3], v2, s2, 0
	v_add3_u32 v1, v1, v5, v6
	v_lshlrev_b64 v[2:3], 2, v[0:1]
	v_mov_b32_e32 v5, s13
	v_add_co_u32_e32 v2, vcc, s7, v2
	v_addc_co_u32_e32 v3, vcc, v5, v3, vcc
	global_load_dword v2, v[2:3], off
	s_waitcnt vmcnt(0)
	v_mul_f32_e32 v3, s18, v2
	v_fmac_f32_e32 v3, s9, v4
.LBB152_15:
	s_or_b64 s[10:11], s[10:11], exec
.LBB152_16:
	s_or_b64 exec, exec, s[0:1]
.LBB152_17:
	s_and_saveexec_b64 s[0:1], s[10:11]
	s_cbranch_execz .LBB152_19
; %bb.18:
	v_lshlrev_b64 v[0:1], 2, v[0:1]
	v_mov_b32_e32 v2, s13
	v_add_co_u32_e32 v0, vcc, s7, v0
	v_addc_co_u32_e32 v1, vcc, v2, v1, vcc
	global_store_dword v[0:1], v3, off
.LBB152_19:
	s_endpgm
.LBB152_20:
                                        ; implicit-def: $vgpr3
                                        ; implicit-def: $vgpr0_vgpr1
	s_branch .LBB152_14
	.section	.rodata,"a",@progbits
	.p2align	6, 0x0
	.amdhsa_kernel _ZL36rocblas_hemvn_kernel_lower_block_sumILi64ElfPKPffEviT1_lS3_lT2_lT0_lPT3_i
		.amdhsa_group_segment_fixed_size 0
		.amdhsa_private_segment_fixed_size 0
		.amdhsa_kernarg_size 336
		.amdhsa_user_sgpr_count 6
		.amdhsa_user_sgpr_private_segment_buffer 1
		.amdhsa_user_sgpr_dispatch_ptr 0
		.amdhsa_user_sgpr_queue_ptr 0
		.amdhsa_user_sgpr_kernarg_segment_ptr 1
		.amdhsa_user_sgpr_dispatch_id 0
		.amdhsa_user_sgpr_flat_scratch_init 0
		.amdhsa_user_sgpr_kernarg_preload_length 0
		.amdhsa_user_sgpr_kernarg_preload_offset 0
		.amdhsa_user_sgpr_private_segment_size 0
		.amdhsa_uses_dynamic_stack 0
		.amdhsa_system_sgpr_private_segment_wavefront_offset 0
		.amdhsa_system_sgpr_workgroup_id_x 1
		.amdhsa_system_sgpr_workgroup_id_y 0
		.amdhsa_system_sgpr_workgroup_id_z 1
		.amdhsa_system_sgpr_workgroup_info 0
		.amdhsa_system_vgpr_workitem_id 0
		.amdhsa_next_free_vgpr 7
		.amdhsa_next_free_sgpr 22
		.amdhsa_accum_offset 8
		.amdhsa_reserve_vcc 1
		.amdhsa_reserve_flat_scratch 0
		.amdhsa_float_round_mode_32 0
		.amdhsa_float_round_mode_16_64 0
		.amdhsa_float_denorm_mode_32 3
		.amdhsa_float_denorm_mode_16_64 3
		.amdhsa_dx10_clamp 1
		.amdhsa_ieee_mode 1
		.amdhsa_fp16_overflow 0
		.amdhsa_tg_split 0
		.amdhsa_exception_fp_ieee_invalid_op 0
		.amdhsa_exception_fp_denorm_src 0
		.amdhsa_exception_fp_ieee_div_zero 0
		.amdhsa_exception_fp_ieee_overflow 0
		.amdhsa_exception_fp_ieee_underflow 0
		.amdhsa_exception_fp_ieee_inexact 0
		.amdhsa_exception_int_div_zero 0
	.end_amdhsa_kernel
	.section	.text._ZL36rocblas_hemvn_kernel_lower_block_sumILi64ElfPKPffEviT1_lS3_lT2_lT0_lPT3_i,"axG",@progbits,_ZL36rocblas_hemvn_kernel_lower_block_sumILi64ElfPKPffEviT1_lS3_lT2_lT0_lPT3_i,comdat
.Lfunc_end152:
	.size	_ZL36rocblas_hemvn_kernel_lower_block_sumILi64ElfPKPffEviT1_lS3_lT2_lT0_lPT3_i, .Lfunc_end152-_ZL36rocblas_hemvn_kernel_lower_block_sumILi64ElfPKPffEviT1_lS3_lT2_lT0_lPT3_i
                                        ; -- End function
	.section	.AMDGPU.csdata,"",@progbits
; Kernel info:
; codeLenInByte = 644
; NumSgprs: 26
; NumVgprs: 7
; NumAgprs: 0
; TotalNumVgprs: 7
; ScratchSize: 0
; MemoryBound: 0
; FloatMode: 240
; IeeeMode: 1
; LDSByteSize: 0 bytes/workgroup (compile time only)
; SGPRBlocks: 3
; VGPRBlocks: 0
; NumSGPRsForWavesPerEU: 26
; NumVGPRsForWavesPerEU: 7
; AccumOffset: 8
; Occupancy: 8
; WaveLimiterHint : 1
; COMPUTE_PGM_RSRC2:SCRATCH_EN: 0
; COMPUTE_PGM_RSRC2:USER_SGPR: 6
; COMPUTE_PGM_RSRC2:TRAP_HANDLER: 0
; COMPUTE_PGM_RSRC2:TGID_X_EN: 1
; COMPUTE_PGM_RSRC2:TGID_Y_EN: 0
; COMPUTE_PGM_RSRC2:TGID_Z_EN: 1
; COMPUTE_PGM_RSRC2:TIDIG_COMP_CNT: 0
; COMPUTE_PGM_RSRC3_GFX90A:ACCUM_OFFSET: 1
; COMPUTE_PGM_RSRC3_GFX90A:TG_SPLIT: 0
	.section	.text._ZL26rocblas_hemvn_kernel_lowerILb0ELi64ELi4ELi33ELi32ELi16EifPKPKfPfEviT6_lT7_lT5_lS6_lS7_lS5_lT8_i,"axG",@progbits,_ZL26rocblas_hemvn_kernel_lowerILb0ELi64ELi4ELi33ELi32ELi16EifPKPKfPfEviT6_lT7_lT5_lS6_lS7_lS5_lT8_i,comdat
	.globl	_ZL26rocblas_hemvn_kernel_lowerILb0ELi64ELi4ELi33ELi32ELi16EifPKPKfPfEviT6_lT7_lT5_lS6_lS7_lS5_lT8_i ; -- Begin function _ZL26rocblas_hemvn_kernel_lowerILb0ELi64ELi4ELi33ELi32ELi16EifPKPKfPfEviT6_lT7_lT5_lS6_lS7_lS5_lT8_i
	.p2align	8
	.type	_ZL26rocblas_hemvn_kernel_lowerILb0ELi64ELi4ELi33ELi32ELi16EifPKPKfPfEviT6_lT7_lT5_lS6_lS7_lS5_lT8_i,@function
_ZL26rocblas_hemvn_kernel_lowerILb0ELi64ELi4ELi33ELi32ELi16EifPKPKfPfEviT6_lT7_lT5_lS6_lS7_lS5_lT8_i: ; @_ZL26rocblas_hemvn_kernel_lowerILb0ELi64ELi4ELi33ELi32ELi16EifPKPKfPfEviT6_lT7_lT5_lS6_lS7_lS5_lT8_i
; %bb.0:
	s_load_dwordx2 s[0:1], s[4:5], 0x7c
	s_add_u32 s2, s4, 0x70
	s_mov_b32 s22, s7
	s_addc_u32 s3, s5, 0
	s_waitcnt lgkmcnt(0)
	s_lshr_b32 s7, s0, 16
	s_and_b32 s0, s0, 0xffff
	s_and_b32 s1, s1, 0xffff
	s_mul_i32 s0, s7, s0
	s_mul_i32 s0, s0, s1
	s_cmpk_lg_i32 s0, 0x100
	s_cbranch_scc1 .LBB153_80
; %bb.1:
	s_load_dwordx2 s[26:27], s[4:5], 0x0
	s_load_dword s7, s[4:5], 0x50
	s_waitcnt lgkmcnt(0)
	v_cmp_eq_f32_e64 s[0:1], s27, 0
	v_cmp_eq_f32_e64 s[8:9], s7, 1.0
	s_and_b64 s[8:9], s[0:1], s[8:9]
	s_and_b64 vcc, exec, s[8:9]
	s_cbranch_vccnz .LBB153_80
; %bb.2:
	s_mov_b32 s23, 0
	v_cmp_neq_f32_e64 s[12:13], s27, 0
	s_mov_b64 s[10:11], 0
	s_and_b64 vcc, exec, s[0:1]
	s_mov_b64 s[8:9], 0
	s_cbranch_vccnz .LBB153_4
; %bb.3:
	s_load_dwordx4 s[16:19], s[4:5], 0x10
	s_lshl_b64 s[0:1], s[22:23], 3
	s_waitcnt lgkmcnt(0)
	s_add_u32 s0, s16, s0
	s_addc_u32 s1, s17, s1
	s_load_dwordx2 s[0:1], s[0:1], 0x0
	s_lshl_b64 s[8:9], s[18:19], 2
	s_waitcnt lgkmcnt(0)
	s_add_u32 s8, s0, s8
	s_addc_u32 s9, s1, s9
.LBB153_4:
	v_cndmask_b32_e64 v1, 0, 1, s[12:13]
	v_cmp_ne_u32_e64 s[0:1], 1, v1
	s_andn2_b64 vcc, exec, s[12:13]
	s_cbranch_vccnz .LBB153_6
; %bb.5:
	s_load_dwordx4 s[12:15], s[4:5], 0x30
	s_lshl_b64 s[10:11], s[22:23], 3
	s_waitcnt lgkmcnt(0)
	s_add_u32 s10, s12, s10
	s_addc_u32 s11, s13, s11
	s_load_dwordx2 s[10:11], s[10:11], 0x0
	s_lshl_b64 s[12:13], s[14:15], 2
	s_waitcnt lgkmcnt(0)
	s_add_u32 s10, s10, s12
	s_addc_u32 s11, s11, s13
.LBB153_6:
	s_and_b64 vcc, exec, s[0:1]
	s_cbranch_vccnz .LBB153_80
; %bb.7:
	s_load_dword s23, s[2:3], 0x0
	s_load_dword s7, s[4:5], 0x40
	v_and_b32_e32 v17, 0x3ff, v0
	s_lshl_b32 s30, s6, 6
	s_ashr_i32 s27, s26, 31
	s_lshr_b32 s1, s27, 26
	v_add_u32_e32 v4, s30, v17
	v_bfe_u32 v5, v0, 10, 10
	s_add_i32 s1, s26, s1
	s_waitcnt lgkmcnt(0)
	v_mul_lo_u32 v0, v4, s7
	s_andn2_b32 s1, s1, 63
	v_ashrrev_i32_e32 v1, 31, v0
	s_add_i32 s0, s23, -1
	s_sub_i32 s1, s26, s1
	v_lshlrev_b64 v[0:1], 2, v[0:1]
	s_cmp_eq_u32 s6, s0
	v_mov_b32_e32 v2, s11
	v_add_co_u32_e32 v6, vcc, s10, v0
	s_cselect_b32 s28, s1, 0
	v_addc_co_u32_e32 v7, vcc, v2, v1, vcc
	v_cmp_ne_u32_e64 s[0:1], 0, v5
	v_cmp_eq_u32_e64 s[2:3], 0, v5
	s_and_saveexec_b64 s[10:11], s[2:3]
	s_cbranch_execz .LBB153_11
; %bb.8:
	s_cmp_eq_u32 s28, 0
	s_cselect_b64 s[12:13], -1, 0
	v_cmp_gt_i32_e32 vcc, s28, v17
	s_or_b64 s[14:15], s[12:13], vcc
	v_mov_b32_e32 v0, 0
	s_and_saveexec_b64 s[12:13], s[14:15]
	s_cbranch_execz .LBB153_10
; %bb.9:
	flat_load_dword v0, v[6:7]
.LBB153_10:
	s_or_b64 exec, exec, s[12:13]
	v_lshlrev_b32_e32 v1, 2, v17
	s_waitcnt vmcnt(0) lgkmcnt(0)
	ds_write_b32 v1, v0 offset:4544
.LBB153_11:
	s_or_b64 exec, exec, s[10:11]
	s_load_dword s24, s[4:5], 0x20
	s_ashr_i32 s31, s30, 31
	v_lshl_add_u32 v18, v5, 6, v17
	s_lshl_b64 s[10:11], s[30:31], 2
	v_and_b32_e32 v0, 31, v17
	v_lshrrev_b32_e32 v12, 5, v18
	s_add_u32 s10, s8, s10
	s_addc_u32 s11, s9, s11
	s_waitcnt lgkmcnt(0)
	v_mad_u64_u32 v[2:3], s[8:9], v12, s24, v[0:1]
	s_mul_i32 s8, s30, s24
	s_ashr_i32 s9, s8, 31
	s_lshl_b64 s[34:35], s[8:9], 2
	v_ashrrev_i32_e32 v3, 31, v2
	s_add_u32 s8, s34, s10
	v_lshlrev_b64 v[8:9], 2, v[2:3]
	s_addc_u32 s9, s35, s11
	v_mov_b32_e32 v1, s9
	v_add_co_u32_e32 v2, vcc, s8, v8
	s_cmp_lg_u32 s28, 0
	v_addc_co_u32_e32 v3, vcc, v1, v9, vcc
	s_cselect_b64 s[36:37], -1, 0
	s_cmp_eq_u32 s28, 0
	s_cselect_b64 s[38:39], -1, 0
	s_and_b64 vcc, exec, s[36:37]
	s_cbranch_vccnz .LBB153_13
; %bb.12:
	flat_load_dword v1, v[2:3]
	s_lshl_b32 s8, s24, 3
	s_ashr_i32 s9, s8, 31
	v_mul_u32_u24_e32 v10, 33, v12
	s_lshl_b64 s[8:9], s[8:9], 2
	v_add_lshl_u32 v13, v10, v0, 2
	v_mov_b32_e32 v11, s9
	v_add_co_u32_e32 v10, vcc, s8, v2
	v_addc_co_u32_e32 v11, vcc, v3, v11, vcc
	s_ashr_i32 s25, s24, 31
	s_lshl_b64 s[8:9], s[24:25], 5
	v_mov_b32_e32 v14, s9
	s_waitcnt vmcnt(0) lgkmcnt(0)
	ds_write_b32 v13, v1
	flat_load_dword v1, v[10:11]
	v_add_co_u32_e32 v10, vcc, s8, v10
	v_addc_co_u32_e32 v11, vcc, v11, v14, vcc
	s_waitcnt vmcnt(0) lgkmcnt(0)
	ds_write_b32 v13, v1 offset:1056
	flat_load_dword v1, v[10:11]
	v_add_co_u32_e32 v10, vcc, s8, v10
	v_addc_co_u32_e32 v11, vcc, v11, v14, vcc
	s_waitcnt vmcnt(0) lgkmcnt(0)
	ds_write_b32 v13, v1 offset:2112
	flat_load_dword v1, v[10:11]
	s_waitcnt vmcnt(0) lgkmcnt(0)
	ds_write_b32 v13, v1 offset:3168
	s_cbranch_execz .LBB153_14
	s_branch .LBB153_23
.LBB153_13:
.LBB153_14:
	v_lshlrev_b32_e32 v1, 2, v0
	v_sub_co_u32_e32 v10, vcc, v2, v1
	s_ashr_i32 s29, s28, 31
	v_subbrev_co_u32_e32 v11, vcc, 0, v3, vcc
	s_lshl_b64 s[10:11], s[28:29], 2
	v_mov_b32_e32 v13, s11
	v_add_co_u32_e32 v10, vcc, s10, v10
	v_addc_co_u32_e32 v11, vcc, v11, v13, vcc
	v_add_co_u32_e32 v10, vcc, -4, v10
	v_addc_co_u32_e32 v11, vcc, -1, v11, vcc
	v_cmp_gt_i32_e32 vcc, s28, v0
	v_cndmask_b32_e32 v11, v11, v3, vcc
	v_cndmask_b32_e32 v10, v10, v2, vcc
	v_cmp_gt_i32_e64 s[8:9], s28, v12
	v_mov_b32_e32 v14, 0
	v_mov_b32_e32 v15, 0
	s_and_saveexec_b64 s[12:13], s[8:9]
	s_cbranch_execz .LBB153_16
; %bb.15:
	flat_load_dword v15, v[10:11]
.LBB153_16:
	s_or_b64 exec, exec, s[12:13]
	v_mul_u32_u24_e32 v13, 33, v12
	v_add_lshl_u32 v13, v13, v0, 2
	s_waitcnt vmcnt(0) lgkmcnt(0)
	ds_write_b32 v13, v15
	v_add_u32_e32 v15, 8, v12
	v_cmp_gt_i32_e64 s[8:9], s28, v15
	s_and_saveexec_b64 s[12:13], s[8:9]
	s_cbranch_execz .LBB153_18
; %bb.17:
	s_lshl_b32 s8, s24, 3
	s_ashr_i32 s9, s8, 31
	s_lshl_b64 s[8:9], s[8:9], 2
	v_mov_b32_e32 v15, s9
	v_add_co_u32_e64 v14, s[8:9], s8, v10
	v_addc_co_u32_e64 v15, s[8:9], v11, v15, s[8:9]
	flat_load_dword v14, v[14:15]
.LBB153_18:
	s_or_b64 exec, exec, s[12:13]
	s_waitcnt vmcnt(0) lgkmcnt(0)
	ds_write_b32 v13, v14 offset:1056
	v_add_u32_e32 v14, 16, v12
	v_cmp_gt_i32_e64 s[8:9], s28, v14
	v_mov_b32_e32 v14, 0
	v_mov_b32_e32 v15, 0
	s_and_saveexec_b64 s[12:13], s[8:9]
	s_cbranch_execz .LBB153_20
; %bb.19:
	s_lshl_b32 s8, s24, 4
	s_ashr_i32 s9, s8, 31
	s_lshl_b64 s[8:9], s[8:9], 2
	v_mov_b32_e32 v15, s9
	v_add_co_u32_e64 v20, s[8:9], s8, v10
	v_addc_co_u32_e64 v21, s[8:9], v11, v15, s[8:9]
	flat_load_dword v15, v[20:21]
.LBB153_20:
	s_or_b64 exec, exec, s[12:13]
	s_waitcnt vmcnt(0) lgkmcnt(0)
	ds_write_b32 v13, v15 offset:2112
	v_add_u32_e32 v15, 24, v12
	v_cmp_gt_i32_e64 s[8:9], s28, v15
	s_and_saveexec_b64 s[12:13], s[8:9]
	s_cbranch_execz .LBB153_22
; %bb.21:
	s_mul_i32 s8, s24, 24
	s_ashr_i32 s9, s8, 31
	s_lshl_b64 s[8:9], s[8:9], 2
	v_mov_b32_e32 v15, s9
	v_add_co_u32_e64 v14, s[8:9], s8, v10
	v_addc_co_u32_e64 v15, s[8:9], v11, v15, s[8:9]
	flat_load_dword v14, v[14:15]
.LBB153_22:
	s_or_b64 exec, exec, s[12:13]
	v_add_co_u32_e64 v1, s[8:9], v10, v1
	v_addc_co_u32_e64 v10, s[8:9], 0, v11, s[8:9]
	v_mov_b32_e32 v11, s11
	v_subrev_co_u32_e64 v1, s[8:9], s10, v1
	v_subb_co_u32_e64 v10, s[8:9], v10, v11, s[8:9]
	v_add_co_u32_e64 v1, s[8:9], 4, v1
	v_addc_co_u32_e64 v10, s[8:9], 0, v10, s[8:9]
	v_cndmask_b32_e32 v3, v10, v3, vcc
	v_cndmask_b32_e32 v2, v1, v2, vcc
	s_waitcnt vmcnt(0) lgkmcnt(0)
	ds_write_b32 v13, v14 offset:3168
.LBB153_23:
	v_lshlrev_b32_e32 v14, 2, v12
	v_mul_u32_u24_e32 v19, 33, v0
	v_cmp_lt_u32_e64 s[8:9], v14, v0
	v_add_lshl_u32 v13, v14, v19, 2
	s_waitcnt lgkmcnt(0)
	s_barrier
	s_and_saveexec_b64 s[10:11], s[8:9]
	s_cbranch_execz .LBB153_25
; %bb.24:
	v_mul_u32_u24_e32 v1, 0x84, v12
	v_add_lshl_u32 v1, v1, v0, 2
	ds_read_b32 v1, v1
	s_waitcnt lgkmcnt(0)
	ds_write_b32 v13, v1
.LBB153_25:
	s_or_b64 exec, exec, s[10:11]
	v_or_b32_e32 v1, 1, v14
	v_cmp_lt_u32_e64 s[10:11], v1, v0
	s_and_saveexec_b64 s[12:13], s[10:11]
	s_cbranch_execz .LBB153_27
; %bb.26:
	v_mul_u32_u24_e32 v1, 33, v1
	v_add_lshl_u32 v1, v1, v0, 2
	ds_read_b32 v1, v1
	s_waitcnt lgkmcnt(0)
	ds_write_b32 v13, v1 offset:4
.LBB153_27:
	s_or_b64 exec, exec, s[12:13]
	v_or_b32_e32 v1, 2, v14
	v_cmp_lt_u32_e64 s[12:13], v1, v0
	s_and_saveexec_b64 s[14:15], s[12:13]
	s_cbranch_execz .LBB153_29
; %bb.28:
	v_mul_u32_u24_e32 v1, 33, v1
	v_add_lshl_u32 v1, v1, v0, 2
	ds_read_b32 v1, v1
	s_waitcnt lgkmcnt(0)
	ds_write_b32 v13, v1 offset:8
.LBB153_29:
	s_or_b64 exec, exec, s[14:15]
	v_or_b32_e32 v1, 3, v14
	v_cmp_lt_u32_e64 s[14:15], v1, v0
	v_mad_u32_u24 v1, v1, 33, v0
	v_lshlrev_b32_e32 v15, 2, v1
	s_and_saveexec_b64 s[16:17], s[14:15]
	s_cbranch_execz .LBB153_31
; %bb.30:
	ds_read_b32 v1, v15
	s_waitcnt lgkmcnt(0)
	ds_write_b32 v13, v1 offset:12
.LBB153_31:
	s_or_b64 exec, exec, s[16:17]
	v_mul_u32_u24_e32 v1, 0x84, v12
	v_add_u32_e32 v23, 0xfffffef8, v15
	s_waitcnt lgkmcnt(0)
	s_barrier
	v_add_lshl_u32 v22, v1, v0, 2
	v_lshlrev_b32_e32 v21, 2, v14
	ds_read2_b32 v[10:11], v23 offset1:33
	ds_read_b32 v28, v22
	ds_read_b128 v[24:27], v21 offset:4544
	ds_read_b32 v31, v15
	v_add_lshl_u32 v20, v12, v19, 2
	s_waitcnt lgkmcnt(3)
	v_mov_b32_e32 v29, v10
	v_mov_b32_e32 v30, v11
	s_waitcnt lgkmcnt(1)
	v_pk_mul_f32 v[24:25], v[28:29], v[24:25]
	v_add_f32_e32 v1, 0, v24
	v_add_f32_e32 v1, v1, v25
	s_waitcnt lgkmcnt(0)
	v_pk_mul_f32 v[10:11], v[30:31], v[26:27]
	v_add_f32_e32 v1, v1, v10
	v_add_f32_e32 v1, v1, v11
	v_cmp_gt_u32_e64 s[20:21], 32, v18
	v_mov_b32_e32 v16, 0
	s_barrier
	ds_write_b32 v20, v1
	s_waitcnt lgkmcnt(0)
	s_barrier
	s_and_saveexec_b64 s[16:17], s[20:21]
	s_cbranch_execz .LBB153_33
; %bb.32:
	v_lshlrev_b32_e32 v1, 2, v19
	ds_read2_b32 v[10:11], v1 offset1:1
	ds_read2_b32 v[24:25], v1 offset0:2 offset1:3
	ds_read2_b32 v[26:27], v1 offset0:4 offset1:5
	;; [unrolled: 1-line block ×3, first 2 shown]
	s_waitcnt lgkmcnt(3)
	v_add_f32_e32 v1, v10, v11
	s_waitcnt lgkmcnt(2)
	v_add_f32_e32 v1, v1, v24
	v_add_f32_e32 v1, v1, v25
	s_waitcnt lgkmcnt(1)
	v_add_f32_e32 v1, v1, v26
	v_add_f32_e32 v1, v1, v27
	s_waitcnt lgkmcnt(0)
	v_add_f32_e32 v1, v1, v28
	v_add_f32_e32 v16, v1, v29
.LBB153_33:
	s_or_b64 exec, exec, s[16:17]
	s_lshl_b32 s16, s24, 5
	s_ashr_i32 s17, s16, 31
	s_lshl_b64 s[40:41], s[16:17], 2
	v_mov_b32_e32 v1, s41
	v_add_co_u32_e32 v10, vcc, s40, v2
	v_addc_co_u32_e32 v11, vcc, v3, v1, vcc
	v_add_co_u32_e32 v2, vcc, 0x80, v10
	v_cndmask_b32_e64 v1, 0, 1, s[38:39]
	s_mov_b64 s[18:19], vcc
	v_cmp_ne_u32_e64 s[16:17], 1, v1
	s_andn2_b64 vcc, exec, s[38:39]
	v_addc_co_u32_e64 v1, s[18:19], 0, v11, s[18:19]
	s_barrier
	s_cbranch_vccnz .LBB153_35
; %bb.34:
	flat_load_dword v3, v[10:11] offset:128
	s_lshl_b32 s18, s24, 3
	s_ashr_i32 s19, s18, 31
	v_mul_u32_u24_e32 v24, 33, v12
	s_lshl_b64 s[18:19], s[18:19], 2
	v_add_lshl_u32 v24, v24, v0, 2
	v_mov_b32_e32 v25, s19
	v_add_co_u32_e32 v10, vcc, s18, v10
	v_addc_co_u32_e32 v11, vcc, v11, v25, vcc
	s_ashr_i32 s25, s24, 31
	s_lshl_b64 s[18:19], s[24:25], 5
	v_mov_b32_e32 v25, s19
	s_waitcnt vmcnt(0) lgkmcnt(0)
	ds_write_b32 v24, v3
	flat_load_dword v3, v[10:11] offset:128
	v_add_co_u32_e32 v10, vcc, s18, v10
	v_addc_co_u32_e32 v11, vcc, v11, v25, vcc
	s_waitcnt vmcnt(0) lgkmcnt(0)
	ds_write_b32 v24, v3 offset:1056
	flat_load_dword v3, v[10:11] offset:128
	v_add_co_u32_e32 v10, vcc, s18, v10
	v_addc_co_u32_e32 v11, vcc, v11, v25, vcc
	s_waitcnt vmcnt(0) lgkmcnt(0)
	ds_write_b32 v24, v3 offset:2112
	flat_load_dword v3, v[10:11] offset:128
	s_waitcnt vmcnt(0) lgkmcnt(0)
	ds_write_b32 v24, v3 offset:3168
	s_cbranch_execz .LBB153_36
	s_branch .LBB153_45
.LBB153_35:
.LBB153_36:
	v_or_b32_e32 v3, 32, v0
	v_lshlrev_b32_e32 v10, 2, v3
	v_sub_co_u32_e32 v10, vcc, v2, v10
	s_ashr_i32 s29, s28, 31
	v_subbrev_co_u32_e32 v11, vcc, 0, v1, vcc
	s_lshl_b64 s[38:39], s[28:29], 2
	v_mov_b32_e32 v25, s39
	v_add_co_u32_e32 v10, vcc, s38, v10
	v_addc_co_u32_e32 v11, vcc, v11, v25, vcc
	v_add_co_u32_e32 v10, vcc, -4, v10
	v_addc_co_u32_e32 v11, vcc, -1, v11, vcc
	v_cmp_gt_i32_e64 s[18:19], s28, v3
	s_sub_i32 s25, s28, 32
	v_mov_b32_e32 v24, 0
	v_cndmask_b32_e64 v11, v11, v1, s[18:19]
	v_cndmask_b32_e64 v10, v10, v2, s[18:19]
	v_cmp_gt_i32_e32 vcc, s25, v12
	v_mov_b32_e32 v25, 0
	s_and_saveexec_b64 s[42:43], vcc
	s_cbranch_execz .LBB153_38
; %bb.37:
	flat_load_dword v25, v[10:11]
.LBB153_38:
	s_or_b64 exec, exec, s[42:43]
	v_mul_u32_u24_e32 v3, 33, v12
	v_add_lshl_u32 v3, v3, v0, 2
	s_waitcnt vmcnt(0) lgkmcnt(0)
	ds_write_b32 v3, v25
	v_add_u32_e32 v25, 8, v12
	v_cmp_gt_i32_e32 vcc, s25, v25
	s_and_saveexec_b64 s[42:43], vcc
	s_cbranch_execz .LBB153_40
; %bb.39:
	s_lshl_b32 s44, s24, 3
	s_ashr_i32 s45, s44, 31
	s_lshl_b64 s[44:45], s[44:45], 2
	v_mov_b32_e32 v25, s45
	v_add_co_u32_e32 v24, vcc, s44, v10
	v_addc_co_u32_e32 v25, vcc, v11, v25, vcc
	flat_load_dword v24, v[24:25]
.LBB153_40:
	s_or_b64 exec, exec, s[42:43]
	s_waitcnt vmcnt(0) lgkmcnt(0)
	ds_write_b32 v3, v24 offset:1056
	v_add_u32_e32 v24, 16, v12
	v_cmp_gt_i32_e32 vcc, s25, v24
	v_mov_b32_e32 v24, 0
	v_mov_b32_e32 v25, 0
	s_and_saveexec_b64 s[42:43], vcc
	s_cbranch_execz .LBB153_42
; %bb.41:
	s_lshl_b32 s44, s24, 4
	s_ashr_i32 s45, s44, 31
	s_lshl_b64 s[44:45], s[44:45], 2
	v_mov_b32_e32 v25, s45
	v_add_co_u32_e32 v26, vcc, s44, v10
	v_addc_co_u32_e32 v27, vcc, v11, v25, vcc
	flat_load_dword v25, v[26:27]
.LBB153_42:
	s_or_b64 exec, exec, s[42:43]
	s_waitcnt vmcnt(0) lgkmcnt(0)
	ds_write_b32 v3, v25 offset:2112
	v_add_u32_e32 v25, 24, v12
	v_cmp_gt_i32_e32 vcc, s25, v25
	s_and_saveexec_b64 s[42:43], vcc
	s_cbranch_execz .LBB153_44
; %bb.43:
	s_mul_i32 s44, s24, 24
	s_ashr_i32 s45, s44, 31
	s_lshl_b64 s[44:45], s[44:45], 2
	v_mov_b32_e32 v25, s45
	v_add_co_u32_e32 v24, vcc, s44, v10
	v_addc_co_u32_e32 v25, vcc, v11, v25, vcc
	flat_load_dword v24, v[24:25]
.LBB153_44:
	s_or_b64 exec, exec, s[42:43]
	s_waitcnt vmcnt(0) lgkmcnt(0)
	ds_write_b32 v3, v24 offset:3168
	v_lshlrev_b32_e32 v3, 2, v0
	v_add_co_u32_e32 v3, vcc, v10, v3
	v_addc_co_u32_e32 v10, vcc, 0, v11, vcc
	v_mov_b32_e32 v11, s39
	v_subrev_co_u32_e32 v3, vcc, s38, v3
	v_subb_co_u32_e32 v10, vcc, v10, v11, vcc
	v_add_co_u32_e32 v3, vcc, 0x84, v3
	v_addc_co_u32_e32 v10, vcc, 0, v10, vcc
	v_cndmask_b32_e64 v1, v10, v1, s[18:19]
	v_cndmask_b32_e64 v2, v3, v2, s[18:19]
.LBB153_45:
	v_add_u32_e32 v21, 0x11c0, v21
	s_waitcnt lgkmcnt(0)
	s_barrier
	s_and_saveexec_b64 s[18:19], s[8:9]
	s_cbranch_execnz .LBB153_54
; %bb.46:
	s_or_b64 exec, exec, s[18:19]
	s_and_saveexec_b64 s[8:9], s[10:11]
	s_cbranch_execnz .LBB153_55
.LBB153_47:
	s_or_b64 exec, exec, s[8:9]
	s_and_saveexec_b64 s[8:9], s[12:13]
	s_cbranch_execnz .LBB153_56
.LBB153_48:
	s_or_b64 exec, exec, s[8:9]
	s_and_saveexec_b64 s[8:9], s[14:15]
	s_cbranch_execz .LBB153_50
.LBB153_49:
	ds_read_b32 v3, v15
	s_waitcnt lgkmcnt(0)
	ds_write_b32 v13, v3 offset:12
.LBB153_50:
	s_or_b64 exec, exec, s[8:9]
	s_waitcnt lgkmcnt(0)
	s_barrier
	ds_read_b32 v3, v22
	ds_read_b128 v[24:27], v21 offset:128
	ds_read2_b32 v[10:11], v23 offset1:33
	ds_read_b32 v15, v15
	v_cmp_eq_u32_e64 s[8:9], 1, v12
	s_waitcnt lgkmcnt(0)
	v_fma_f32 v3, v3, v24, 0
	v_fmac_f32_e32 v3, v10, v25
	v_fmac_f32_e32 v3, v11, v26
	;; [unrolled: 1-line block ×3, first 2 shown]
	s_barrier
	ds_write_b32 v20, v3
	s_waitcnt lgkmcnt(0)
	s_barrier
	s_and_saveexec_b64 s[10:11], s[8:9]
	s_cbranch_execz .LBB153_52
; %bb.51:
	v_lshlrev_b32_e32 v3, 2, v19
	ds_read2_b32 v[10:11], v3 offset1:1
	ds_read2_b32 v[22:23], v3 offset0:2 offset1:3
	ds_read2_b32 v[24:25], v3 offset0:4 offset1:5
	;; [unrolled: 1-line block ×3, first 2 shown]
	s_waitcnt lgkmcnt(3)
	v_add_f32_e32 v3, v10, v11
	s_waitcnt lgkmcnt(2)
	v_add_f32_e32 v3, v3, v22
	v_add_f32_e32 v3, v3, v23
	s_waitcnt lgkmcnt(1)
	v_add_f32_e32 v3, v3, v24
	v_add_f32_e32 v3, v3, v25
	s_waitcnt lgkmcnt(0)
	v_add_f32_e32 v3, v3, v26
	v_add_f32_e32 v16, v3, v27
.LBB153_52:
	s_or_b64 exec, exec, s[10:11]
	v_mov_b32_e32 v3, s41
	v_subrev_co_u32_e64 v10, s[10:11], s40, v2
	s_and_b64 vcc, exec, s[16:17]
	v_subb_co_u32_e64 v11, s[10:11], v1, v3, s[10:11]
	s_barrier
	s_cbranch_vccnz .LBB153_57
; %bb.53:
	flat_load_dword v15, v[10:11]
	s_lshl_b32 s10, s24, 3
	s_ashr_i32 s11, s10, 31
	v_mad_u32_u24 v1, v12, 33, v0
	s_lshl_b64 s[10:11], s[10:11], 2
	v_lshlrev_b32_e32 v27, 2, v1
	v_mov_b32_e32 v3, s11
	v_add_co_u32_e32 v2, vcc, s10, v10
	v_addc_co_u32_e32 v3, vcc, v11, v3, vcc
	s_ashr_i32 s25, s24, 31
	s_lshl_b64 s[10:11], s[24:25], 5
	v_mov_b32_e32 v22, s11
	v_add_u32_e32 v23, 24, v12
	v_add_u32_e32 v26, 0x108, v1
	;; [unrolled: 1-line block ×4, first 2 shown]
	s_waitcnt vmcnt(0) lgkmcnt(0)
	ds_write_b32 v27, v15
	flat_load_dword v15, v[2:3]
	v_add_co_u32_e32 v2, vcc, s10, v2
	v_addc_co_u32_e32 v3, vcc, v3, v22, vcc
	s_waitcnt vmcnt(0) lgkmcnt(0)
	ds_write_b32 v27, v15 offset:1056
	flat_load_dword v15, v[2:3]
	v_add_co_u32_e32 v2, vcc, s10, v2
	v_addc_co_u32_e32 v3, vcc, v3, v22, vcc
	v_add_u32_e32 v22, 16, v12
	s_waitcnt vmcnt(0) lgkmcnt(0)
	ds_write_b32 v27, v15 offset:2112
	flat_load_dword v2, v[2:3]
	v_add_u32_e32 v15, 8, v12
	s_waitcnt vmcnt(0) lgkmcnt(0)
	ds_write_b32 v27, v2 offset:3168
	s_cbranch_execz .LBB153_58
	s_branch .LBB153_67
.LBB153_54:
	ds_read_b32 v3, v22
	s_waitcnt lgkmcnt(0)
	ds_write_b32 v13, v3
	s_or_b64 exec, exec, s[18:19]
	s_and_saveexec_b64 s[8:9], s[10:11]
	s_cbranch_execz .LBB153_47
.LBB153_55:
	ds_read_b32 v3, v23
	s_waitcnt lgkmcnt(0)
	ds_write_b32 v13, v3 offset:4
	s_or_b64 exec, exec, s[8:9]
	s_and_saveexec_b64 s[8:9], s[12:13]
	s_cbranch_execz .LBB153_48
.LBB153_56:
	ds_read_b32 v3, v23 offset:132
	s_waitcnt lgkmcnt(0)
	ds_write_b32 v13, v3 offset:8
	s_or_b64 exec, exec, s[8:9]
	s_and_saveexec_b64 s[8:9], s[14:15]
	s_cbranch_execnz .LBB153_49
	s_branch .LBB153_50
.LBB153_57:
                                        ; implicit-def: $vgpr1
                                        ; implicit-def: $vgpr15
                                        ; implicit-def: $vgpr26
                                        ; implicit-def: $vgpr22
                                        ; implicit-def: $vgpr24
                                        ; implicit-def: $vgpr23
                                        ; implicit-def: $vgpr25
.LBB153_58:
	v_or_b32_e32 v1, 32, v0
	v_lshlrev_b32_e32 v2, 2, v1
	v_sub_co_u32_e32 v2, vcc, v10, v2
	s_ashr_i32 s29, s28, 31
	v_subbrev_co_u32_e32 v3, vcc, 0, v11, vcc
	s_lshl_b64 s[12:13], s[28:29], 2
	v_mov_b32_e32 v15, s13
	v_add_co_u32_e32 v2, vcc, s12, v2
	v_addc_co_u32_e32 v3, vcc, v3, v15, vcc
	v_add_co_u32_e32 v2, vcc, -4, v2
	v_addc_co_u32_e32 v3, vcc, -1, v3, vcc
	v_cmp_gt_i32_e64 s[10:11], s28, v1
	v_mov_b32_e32 v22, 0
	v_cndmask_b32_e64 v3, v3, v11, s[10:11]
	v_cndmask_b32_e64 v2, v2, v10, s[10:11]
	v_cmp_gt_i32_e32 vcc, s28, v12
	v_mov_b32_e32 v15, 0
	s_and_saveexec_b64 s[14:15], vcc
	s_cbranch_execz .LBB153_60
; %bb.59:
	flat_load_dword v15, v[2:3]
.LBB153_60:
	s_or_b64 exec, exec, s[14:15]
	v_mad_u32_u24 v1, v12, 33, v0
	v_lshlrev_b32_e32 v27, 2, v1
	s_waitcnt vmcnt(0) lgkmcnt(0)
	ds_write_b32 v27, v15
	v_add_u32_e32 v15, 8, v12
	v_cmp_gt_i32_e32 vcc, s28, v15
	s_and_saveexec_b64 s[14:15], vcc
	s_cbranch_execz .LBB153_62
; %bb.61:
	s_lshl_b32 s16, s24, 3
	s_ashr_i32 s17, s16, 31
	s_lshl_b64 s[16:17], s[16:17], 2
	v_mov_b32_e32 v23, s17
	v_add_co_u32_e32 v22, vcc, s16, v2
	v_addc_co_u32_e32 v23, vcc, v3, v23, vcc
	flat_load_dword v22, v[22:23]
.LBB153_62:
	s_or_b64 exec, exec, s[14:15]
	s_waitcnt vmcnt(0) lgkmcnt(0)
	ds_write_b32 v27, v22 offset:1056
	v_add_u32_e32 v22, 16, v12
	v_cmp_gt_i32_e32 vcc, s28, v22
	v_mov_b32_e32 v28, 0
	v_mov_b32_e32 v23, 0
	s_and_saveexec_b64 s[14:15], vcc
	s_cbranch_execz .LBB153_64
; %bb.63:
	s_lshl_b32 s16, s24, 4
	s_ashr_i32 s17, s16, 31
	s_lshl_b64 s[16:17], s[16:17], 2
	v_mov_b32_e32 v23, s17
	v_add_co_u32_e32 v24, vcc, s16, v2
	v_addc_co_u32_e32 v25, vcc, v3, v23, vcc
	flat_load_dword v23, v[24:25]
.LBB153_64:
	s_or_b64 exec, exec, s[14:15]
	s_waitcnt vmcnt(0) lgkmcnt(0)
	ds_write_b32 v27, v23 offset:2112
	v_add_u32_e32 v23, 24, v12
	v_cmp_gt_i32_e32 vcc, s28, v23
	s_and_saveexec_b64 s[14:15], vcc
	s_cbranch_execz .LBB153_66
; %bb.65:
	s_mul_i32 s16, s24, 24
	s_ashr_i32 s17, s16, 31
	s_lshl_b64 s[16:17], s[16:17], 2
	v_mov_b32_e32 v12, s17
	v_add_co_u32_e32 v24, vcc, s16, v2
	v_addc_co_u32_e32 v25, vcc, v3, v12, vcc
	flat_load_dword v28, v[24:25]
.LBB153_66:
	s_or_b64 exec, exec, s[14:15]
	v_lshlrev_b32_e32 v0, 2, v0
	v_add_co_u32_e32 v0, vcc, v2, v0
	v_addc_co_u32_e32 v2, vcc, 0, v3, vcc
	v_mov_b32_e32 v3, s13
	v_subrev_co_u32_e32 v0, vcc, s12, v0
	v_subb_co_u32_e32 v2, vcc, v2, v3, vcc
	v_add_co_u32_e32 v0, vcc, 0x84, v0
	v_addc_co_u32_e32 v2, vcc, 0, v2, vcc
	v_add_u32_e32 v26, 0x108, v1
	v_add_u32_e32 v24, 0x210, v1
	;; [unrolled: 1-line block ×3, first 2 shown]
	v_cndmask_b32_e64 v11, v2, v11, s[10:11]
	v_cndmask_b32_e64 v10, v0, v10, s[10:11]
	s_waitcnt vmcnt(0) lgkmcnt(0)
	ds_write_b32 v27, v28 offset:3168
.LBB153_67:
	s_waitcnt lgkmcnt(0)
	s_barrier
	v_lshlrev_b32_e32 v0, 2, v1
	ds_read_b32 v27, v14 offset:4544
	v_lshlrev_b32_e32 v1, 2, v26
	ds_read_b32 v26, v0
	ds_read_b32 v28, v1
	v_lshlrev_b32_e32 v0, 2, v15
	v_lshlrev_b32_e32 v1, 2, v24
	v_lshlrev_b32_e32 v2, 2, v22
	v_lshlrev_b32_e32 v3, 2, v25
	v_lshlrev_b32_e32 v12, 2, v23
	ds_read_b32 v22, v0 offset:4544
	ds_read_b32 v23, v1
	ds_read_b32 v24, v2 offset:4544
	ds_read_b32 v25, v3
	ds_read_b32 v29, v12 offset:4544
	ds_read2_b32 v[14:15], v13 offset1:1
	ds_read_b128 v[0:3], v21 offset:128
	ds_read2_b32 v[12:13], v13 offset0:2 offset1:3
	s_waitcnt lgkmcnt(9)
	v_fma_f32 v21, v26, v27, 0
	s_waitcnt lgkmcnt(7)
	v_fmac_f32_e32 v21, v28, v22
	s_waitcnt lgkmcnt(5)
	v_fmac_f32_e32 v21, v23, v24
	s_waitcnt lgkmcnt(3)
	v_fmac_f32_e32 v21, v25, v29
	s_waitcnt lgkmcnt(0)
	s_barrier
	ds_write_b32 v20, v21
	s_waitcnt lgkmcnt(0)
	s_barrier
	s_and_saveexec_b64 s[10:11], s[8:9]
	s_cbranch_execz .LBB153_69
; %bb.68:
	v_lshlrev_b32_e32 v21, 2, v19
	ds_read2_b32 v[22:23], v21 offset1:1
	ds_read2_b32 v[24:25], v21 offset0:2 offset1:3
	ds_read2_b32 v[26:27], v21 offset0:4 offset1:5
	ds_read2_b32 v[28:29], v21 offset0:6 offset1:7
	s_waitcnt lgkmcnt(3)
	v_add_f32_e32 v16, v16, v22
	v_add_f32_e32 v16, v16, v23
	s_waitcnt lgkmcnt(2)
	v_add_f32_e32 v16, v16, v24
	v_add_f32_e32 v16, v16, v25
	;; [unrolled: 3-line block ×4, first 2 shown]
.LBB153_69:
	s_or_b64 exec, exec, s[10:11]
	v_fma_f32 v0, v14, v0, 0
	v_fmac_f32_e32 v0, v15, v1
	v_fmac_f32_e32 v0, v12, v2
	;; [unrolled: 1-line block ×3, first 2 shown]
	s_barrier
	ds_write_b32 v20, v0
	s_waitcnt lgkmcnt(0)
	s_barrier
	s_and_saveexec_b64 s[8:9], s[20:21]
	s_cbranch_execz .LBB153_71
; %bb.70:
	v_lshlrev_b32_e32 v14, 2, v19
	ds_read2_b32 v[0:1], v14 offset1:1
	ds_read2_b32 v[2:3], v14 offset0:2 offset1:3
	ds_read2_b32 v[12:13], v14 offset0:4 offset1:5
	;; [unrolled: 1-line block ×3, first 2 shown]
	s_waitcnt lgkmcnt(3)
	v_add_f32_e32 v0, v16, v0
	v_add_f32_e32 v0, v0, v1
	s_waitcnt lgkmcnt(2)
	v_add_f32_e32 v0, v0, v2
	v_add_f32_e32 v0, v0, v3
	s_waitcnt lgkmcnt(1)
	v_add_f32_e32 v0, v0, v12
	v_add_f32_e32 v0, v0, v13
	s_waitcnt lgkmcnt(0)
	v_add_f32_e32 v0, v0, v14
	v_add_f32_e32 v16, v0, v15
.LBB153_71:
	s_or_b64 exec, exec, s[8:9]
	s_load_dwordx2 s[4:5], s[4:5], 0x60
	s_mul_hi_u32 s8, s26, s22
	s_mul_i32 s27, s27, s22
	s_add_i32 s8, s8, s27
	s_mul_i32 s10, s26, s22
	s_mul_i32 s8, s8, s23
	s_mul_hi_u32 s9, s10, s23
	s_add_i32 s9, s9, s8
	s_mul_i32 s8, s10, s23
	s_lshl_b64 s[8:9], s[8:9], 2
	s_waitcnt lgkmcnt(0)
	s_add_u32 s8, s4, s8
	s_mul_i32 s4, s6, s26
	s_addc_u32 s9, s5, s9
	s_ashr_i32 s5, s4, 31
	s_lshl_b64 s[4:5], s[4:5], 2
	s_add_u32 s26, s8, s4
	v_cmp_le_i32_e32 vcc, s28, v17
	s_addc_u32 s27, s9, s5
	s_and_b64 vcc, s[36:37], vcc
	s_cmp_lt_i32 s6, 1
	v_lshlrev_b32_e32 v12, 2, v17
	s_barrier
	s_cbranch_scc1 .LBB153_78
; %bb.72:
	s_mul_i32 s4, s30, s7
	s_ashr_i32 s5, s4, 31
	s_lshl_b64 s[4:5], s[4:5], 2
	v_mov_b32_e32 v0, s5
	v_subrev_co_u32_e64 v6, s[4:5], s4, v6
	v_subb_co_u32_e64 v7, s[4:5], v7, v0, s[4:5]
	v_mov_b32_e32 v0, s35
	v_subrev_co_u32_e64 v1, s[4:5], s34, v10
	v_subb_co_u32_e64 v0, s[4:5], v11, v0, s[4:5]
	v_sub_co_u32_e64 v2, s[4:5], v1, v8
	v_subb_co_u32_e64 v3, s[4:5], v0, v9, s[4:5]
	v_mul_lo_u32 v0, v5, s24
	v_lshl_add_u32 v0, v0, 2, v17
	v_ashrrev_i32_e32 v1, 31, v0
	v_lshlrev_b64 v[0:1], 2, v[0:1]
	v_add_co_u32_e64 v0, s[4:5], v2, v0
	v_addc_co_u32_e64 v1, s[4:5], v3, v1, s[4:5]
	s_movk_i32 s4, 0xff80
	v_add_co_u32_e64 v0, s[4:5], s4, v0
	v_addc_co_u32_e64 v2, s[4:5], -1, v1, s[4:5]
	v_sub_co_u32_e64 v3, s[4:5], v0, v12
	v_subbrev_co_u32_e64 v8, s[4:5], 0, v2, s[4:5]
	s_ashr_i32 s29, s28, 31
	s_lshl_b64 s[4:5], s[28:29], 2
	v_mov_b32_e32 v9, s5
	v_add_co_u32_e64 v3, s[4:5], s4, v3
	v_addc_co_u32_e64 v8, s[4:5], v8, v9, s[4:5]
	v_add_co_u32_e64 v9, s[4:5], -4, v3
	v_addc_co_u32_e64 v3, s[4:5], -1, v8, s[4:5]
	v_cndmask_b32_e32 v3, v2, v3, vcc
	v_cndmask_b32_e32 v2, v0, v9, vcc
	v_lshrrev_b32_e32 v0, 2, v18
	v_and_b32_e32 v20, 48, v17
	v_and_b32_e32 v19, 15, v17
	;; [unrolled: 1-line block ×3, first 2 shown]
	v_lshlrev_b32_e32 v10, 2, v20
	s_movk_i32 s8, 0x10c
	v_or_b32_e32 v11, 60, v12
	v_and_b32_e32 v13, 0x1fff0, v18
	s_ashr_i32 s25, s24, 31
	s_movk_i32 s9, 0x430
	v_mad_u32_u24 v10, v19, s8, v10
	v_mad_u32_u24 v11, v19, s8, v11
	;; [unrolled: 1-line block ×3, first 2 shown]
	v_mov_b32_e32 v14, 0x10c0
	v_mad_u32_u24 v15, v5, s9, v12
	v_mad_u32_u24 v17, v19, s8, v0
	s_lshl_b64 s[10:11], s[24:25], 2
	s_lshl_b64 s[12:13], s[24:25], 3
	s_mul_hi_i32 s8, s24, 12
	s_lshl_b64 s[16:17], s[24:25], 6
	s_mul_hi_i32 s9, s24, 0x48
	s_mul_hi_i32 s21, s24, 0x4c
	s_lshl_b64 s[18:19], s[24:25], 7
	s_mul_hi_i32 s22, s24, 0x88
	s_mul_hi_i32 s23, s24, 0x8c
	;; [unrolled: 1-line block ×8, first 2 shown]
	v_mov_b32_e32 v1, 0
	s_lshl_b32 s7, s7, 6
	v_add_u32_e32 v8, 0x10c0, v12
	v_add_u32_e32 v9, 0x11c0, v12
	v_cmp_gt_u32_e64 s[4:5], 64, v18
	v_lshl_add_u32 v14, v5, 4, v14
	s_lshl_b64 s[14:15], s[24:25], 8
	s_mul_i32 s28, s24, 12
	s_mul_i32 s29, s24, 0x48
	;; [unrolled: 1-line block ×10, first 2 shown]
	s_mulk_i32 s24, 0x44
	v_or_b32_e32 v0, v20, v19
	s_mov_b32 s20, 0
	v_mov_b32_e32 v18, s11
	v_mov_b32_e32 v19, s13
	;; [unrolled: 1-line block ×15, first 2 shown]
	s_branch .LBB153_74
.LBB153_73:                             ;   in Loop: Header=BB153_74 Depth=1
	s_or_b64 exec, exec, s[22:23]
	v_fmac_f32_e32 v16, v33, v37
	v_fmac_f32_e32 v16, v34, v38
	;; [unrolled: 1-line block ×15, first 2 shown]
	v_mov_b32_e32 v33, s15
	v_add_co_u32_e64 v2, s[8:9], s14, v2
	s_add_i32 s6, s6, -1
	s_add_i32 s20, s20, s7
	v_fmac_f32_e32 v16, v59, v64
	v_addc_co_u32_e64 v3, s[8:9], v3, v33, s[8:9]
	s_cmp_eq_u32 s6, 0
	v_add_u32_e32 v0, 64, v0
	s_barrier
	s_cbranch_scc1 .LBB153_78
.LBB153_74:                             ; =>This Inner Loop Header: Depth=1
	s_and_saveexec_b64 s[22:23], s[2:3]
	s_cbranch_execz .LBB153_76
; %bb.75:                               ;   in Loop: Header=BB153_74 Depth=1
	s_ashr_i32 s21, s20, 31
	s_lshl_b64 s[8:9], s[20:21], 2
	v_mov_b32_e32 v33, s9
	v_add_co_u32_e64 v34, s[8:9], s8, v6
	v_addc_co_u32_e64 v35, s[8:9], v7, v33, s[8:9]
	flat_load_dword v33, v[34:35]
	s_waitcnt vmcnt(0) lgkmcnt(0)
	ds_write_b32 v8, v33
.LBB153_76:                             ;   in Loop: Header=BB153_74 Depth=1
	s_or_b64 exec, exec, s[22:23]
	v_add_co_u32_e64 v36, s[8:9], s10, v2
	v_addc_co_u32_e64 v37, s[8:9], v3, v18, s[8:9]
	v_add_co_u32_e64 v38, s[8:9], s12, v2
	v_addc_co_u32_e64 v39, s[8:9], v3, v19, s[8:9]
	s_waitcnt lgkmcnt(0)
	s_barrier
	flat_load_dword v33, v[2:3]
	flat_load_dword v34, v[36:37]
	;; [unrolled: 1-line block ×3, first 2 shown]
	v_add_co_u32_e64 v36, s[8:9], s28, v2
	v_addc_co_u32_e64 v37, s[8:9], v3, v20, s[8:9]
	flat_load_dword v36, v[36:37]
	ds_read_b32 v38, v9
	ds_read_b32 v37, v14
	v_add_co_u32_e64 v46, s[8:9], s16, v2
	v_addc_co_u32_e64 v47, s[8:9], v3, v21, s[8:9]
	v_add_co_u32_e64 v48, s[8:9], s24, v2
	v_addc_co_u32_e64 v49, s[8:9], v3, v22, s[8:9]
	;; [unrolled: 2-line block ×12, first 2 shown]
	s_waitcnt vmcnt(0) lgkmcnt(0)
	v_mul_f32_e32 v39, v33, v38
	ds_write_b32 v15, v39
	v_mul_f32_e32 v39, v34, v38
	v_mul_f32_e32 v40, v35, v38
	;; [unrolled: 1-line block ×3, first 2 shown]
	ds_read_b32 v38, v14 offset:4
	ds_write_b32 v15, v39 offset:268
	ds_read_b32 v39, v14 offset:8
	ds_write_b32 v15, v40 offset:536
	;; [unrolled: 2-line block ×3, first 2 shown]
	s_waitcnt lgkmcnt(0)
	s_barrier
	ds_read2_b32 v[62:63], v13 offset1:1
	ds_read2_b32 v[64:65], v13 offset0:2 offset1:3
	s_waitcnt lgkmcnt(0)
	s_barrier
	flat_load_dword v44, v[46:47]
	flat_load_dword v42, v[48:49]
	;; [unrolled: 1-line block ×4, first 2 shown]
	ds_read_b32 v46, v9
	ds_read_b32 v45, v14 offset:64
	s_waitcnt vmcnt(0) lgkmcnt(0)
	v_mul_f32_e32 v47, v44, v46
	v_mul_f32_e32 v48, v42, v46
	ds_write_b32 v15, v47
	v_mul_f32_e32 v49, v41, v46
	v_mul_f32_e32 v50, v43, v46
	ds_read_b32 v46, v14 offset:68
	ds_write_b32 v15, v48 offset:268
	ds_read_b32 v47, v14 offset:72
	ds_write_b32 v15, v49 offset:536
	;; [unrolled: 2-line block ×3, first 2 shown]
	s_waitcnt lgkmcnt(0)
	s_barrier
	ds_read2_b32 v[66:67], v13 offset1:1
	ds_read2_b32 v[68:69], v13 offset0:2 offset1:3
	s_waitcnt lgkmcnt(0)
	s_barrier
	flat_load_dword v52, v[54:55]
	flat_load_dword v50, v[56:57]
	;; [unrolled: 1-line block ×4, first 2 shown]
	ds_read_b32 v54, v9
	ds_read_b32 v53, v14 offset:128
	v_add_f32_e32 v61, 0, v62
	v_add_f32_e32 v61, v61, v63
	;; [unrolled: 1-line block ×7, first 2 shown]
	s_waitcnt vmcnt(0) lgkmcnt(0)
	v_mul_f32_e32 v55, v52, v54
	v_mul_f32_e32 v56, v50, v54
	ds_write_b32 v15, v55
	v_mul_f32_e32 v57, v49, v54
	v_mul_f32_e32 v58, v51, v54
	ds_read_b32 v54, v14 offset:132
	ds_write_b32 v15, v56 offset:268
	ds_read_b32 v55, v14 offset:136
	ds_write_b32 v15, v57 offset:536
	;; [unrolled: 2-line block ×3, first 2 shown]
	s_waitcnt lgkmcnt(0)
	s_barrier
	ds_read2_b32 v[78:79], v13 offset1:1
	ds_read2_b32 v[80:81], v13 offset0:2 offset1:3
	s_waitcnt lgkmcnt(0)
	s_barrier
	flat_load_dword v60, v[70:71]
	flat_load_dword v58, v[72:73]
	;; [unrolled: 1-line block ×4, first 2 shown]
	v_add_f32_e32 v70, v61, v69
	ds_read_b32 v62, v9
	ds_read_b32 v61, v14 offset:192
	v_add_f32_e32 v63, 0, v78
	v_add_f32_e32 v63, v63, v79
	;; [unrolled: 1-line block ×4, first 2 shown]
	s_waitcnt vmcnt(0) lgkmcnt(0)
	v_mul_f32_e32 v63, v60, v62
	v_mul_f32_e32 v64, v58, v62
	ds_write_b32 v15, v63
	v_mul_f32_e32 v66, v57, v62
	v_mul_f32_e32 v67, v59, v62
	ds_read_b32 v62, v14 offset:196
	ds_write_b32 v15, v64 offset:268
	ds_read_b32 v63, v14 offset:200
	ds_write_b32 v15, v66 offset:536
	;; [unrolled: 2-line block ×3, first 2 shown]
	s_waitcnt lgkmcnt(0)
	s_barrier
	ds_read2_b32 v[66:67], v13 offset1:1
	ds_read2_b32 v[68:69], v13 offset0:2 offset1:3
	s_waitcnt lgkmcnt(0)
	s_barrier
	ds_write2_b32 v17, v65, v70 offset1:16
	v_add_f32_e32 v65, 0, v66
	v_add_f32_e32 v65, v65, v67
	;; [unrolled: 1-line block ×4, first 2 shown]
	ds_write2_b32 v17, v71, v65 offset0:32 offset1:48
	s_waitcnt lgkmcnt(0)
	s_barrier
	s_and_saveexec_b64 s[22:23], s[4:5]
	s_cbranch_execz .LBB153_73
; %bb.77:                               ;   in Loop: Header=BB153_74 Depth=1
	ds_read2_b32 v[66:67], v10 offset1:1
	ds_read2_b32 v[68:69], v10 offset0:2 offset1:3
	ds_read2_b32 v[70:71], v10 offset0:4 offset1:5
	;; [unrolled: 1-line block ×4, first 2 shown]
	s_waitcnt lgkmcnt(4)
	v_add_f32_e32 v65, v66, v67
	s_waitcnt lgkmcnt(3)
	v_add_f32_e32 v65, v65, v68
	v_add_f32_e32 v65, v65, v69
	s_waitcnt lgkmcnt(2)
	v_add_f32_e32 v65, v65, v70
	;; [unrolled: 3-line block ×3, first 2 shown]
	v_add_f32_e32 v65, v65, v73
	ds_read2_b32 v[66:67], v10 offset0:10 offset1:11
	ds_read2_b32 v[68:69], v10 offset0:12 offset1:13
	ds_read_b32 v70, v10 offset:56
	s_waitcnt lgkmcnt(3)
	v_add_f32_e32 v65, v65, v74
	v_add_f32_e32 v65, v65, v75
	s_waitcnt lgkmcnt(2)
	v_add_f32_e32 v65, v65, v66
	ds_read_b32 v66, v11
	v_add_f32_e32 v65, v65, v67
	s_waitcnt lgkmcnt(2)
	v_add_f32_e32 v65, v65, v68
	v_add_f32_e32 v65, v65, v69
	s_waitcnt lgkmcnt(1)
	v_add_f32_e32 v65, v65, v70
	s_waitcnt lgkmcnt(0)
	v_add_f32_e32 v65, v65, v66
	v_lshlrev_b64 v[66:67], 2, v[0:1]
	v_mov_b32_e32 v68, s27
	v_add_co_u32_e64 v66, s[8:9], s26, v66
	v_addc_co_u32_e64 v67, s[8:9], v68, v67, s[8:9]
	global_store_dword v[66:67], v65, off
	s_branch .LBB153_73
.LBB153_78:
	s_movk_i32 s2, 0x10c
	s_or_b64 s[0:1], s[0:1], vcc
	v_mad_u32_u24 v0, v5, s2, v12
	s_xor_b64 s[0:1], s[0:1], -1
	ds_write_b32 v0, v16
	s_waitcnt lgkmcnt(0)
	s_barrier
	s_and_saveexec_b64 s[2:3], s[0:1]
	s_cbranch_execz .LBB153_80
; %bb.79:
	ds_read2_b32 v[0:1], v12 offset1:67
	ds_read2_b32 v[2:3], v12 offset0:134 offset1:201
	v_ashrrev_i32_e32 v5, 31, v4
	v_lshlrev_b64 v[4:5], 2, v[4:5]
	v_mov_b32_e32 v6, s27
	s_waitcnt lgkmcnt(1)
	v_add_f32_e32 v0, v0, v1
	s_waitcnt lgkmcnt(0)
	v_add_f32_e32 v0, v0, v2
	v_add_f32_e32 v2, v0, v3
	v_add_co_u32_e32 v0, vcc, s26, v4
	v_addc_co_u32_e32 v1, vcc, v6, v5, vcc
	global_store_dword v[0:1], v2, off
.LBB153_80:
	s_endpgm
	.section	.rodata,"a",@progbits
	.p2align	6, 0x0
	.amdhsa_kernel _ZL26rocblas_hemvn_kernel_lowerILb0ELi64ELi4ELi33ELi32ELi16EifPKPKfPfEviT6_lT7_lT5_lS6_lS7_lS5_lT8_i
		.amdhsa_group_segment_fixed_size 4800
		.amdhsa_private_segment_fixed_size 0
		.amdhsa_kernarg_size 368
		.amdhsa_user_sgpr_count 6
		.amdhsa_user_sgpr_private_segment_buffer 1
		.amdhsa_user_sgpr_dispatch_ptr 0
		.amdhsa_user_sgpr_queue_ptr 0
		.amdhsa_user_sgpr_kernarg_segment_ptr 1
		.amdhsa_user_sgpr_dispatch_id 0
		.amdhsa_user_sgpr_flat_scratch_init 0
		.amdhsa_user_sgpr_kernarg_preload_length 0
		.amdhsa_user_sgpr_kernarg_preload_offset 0
		.amdhsa_user_sgpr_private_segment_size 0
		.amdhsa_uses_dynamic_stack 0
		.amdhsa_system_sgpr_private_segment_wavefront_offset 0
		.amdhsa_system_sgpr_workgroup_id_x 1
		.amdhsa_system_sgpr_workgroup_id_y 0
		.amdhsa_system_sgpr_workgroup_id_z 1
		.amdhsa_system_sgpr_workgroup_info 0
		.amdhsa_system_vgpr_workitem_id 1
		.amdhsa_next_free_vgpr 82
		.amdhsa_next_free_sgpr 46
		.amdhsa_accum_offset 84
		.amdhsa_reserve_vcc 1
		.amdhsa_reserve_flat_scratch 0
		.amdhsa_float_round_mode_32 0
		.amdhsa_float_round_mode_16_64 0
		.amdhsa_float_denorm_mode_32 3
		.amdhsa_float_denorm_mode_16_64 3
		.amdhsa_dx10_clamp 1
		.amdhsa_ieee_mode 1
		.amdhsa_fp16_overflow 0
		.amdhsa_tg_split 0
		.amdhsa_exception_fp_ieee_invalid_op 0
		.amdhsa_exception_fp_denorm_src 0
		.amdhsa_exception_fp_ieee_div_zero 0
		.amdhsa_exception_fp_ieee_overflow 0
		.amdhsa_exception_fp_ieee_underflow 0
		.amdhsa_exception_fp_ieee_inexact 0
		.amdhsa_exception_int_div_zero 0
	.end_amdhsa_kernel
	.section	.text._ZL26rocblas_hemvn_kernel_lowerILb0ELi64ELi4ELi33ELi32ELi16EifPKPKfPfEviT6_lT7_lT5_lS6_lS7_lS5_lT8_i,"axG",@progbits,_ZL26rocblas_hemvn_kernel_lowerILb0ELi64ELi4ELi33ELi32ELi16EifPKPKfPfEviT6_lT7_lT5_lS6_lS7_lS5_lT8_i,comdat
.Lfunc_end153:
	.size	_ZL26rocblas_hemvn_kernel_lowerILb0ELi64ELi4ELi33ELi32ELi16EifPKPKfPfEviT6_lT7_lT5_lS6_lS7_lS5_lT8_i, .Lfunc_end153-_ZL26rocblas_hemvn_kernel_lowerILb0ELi64ELi4ELi33ELi32ELi16EifPKPKfPfEviT6_lT7_lT5_lS6_lS7_lS5_lT8_i
                                        ; -- End function
	.section	.AMDGPU.csdata,"",@progbits
; Kernel info:
; codeLenInByte = 5804
; NumSgprs: 50
; NumVgprs: 82
; NumAgprs: 0
; TotalNumVgprs: 82
; ScratchSize: 0
; MemoryBound: 0
; FloatMode: 240
; IeeeMode: 1
; LDSByteSize: 4800 bytes/workgroup (compile time only)
; SGPRBlocks: 6
; VGPRBlocks: 10
; NumSGPRsForWavesPerEU: 50
; NumVGPRsForWavesPerEU: 82
; AccumOffset: 84
; Occupancy: 5
; WaveLimiterHint : 1
; COMPUTE_PGM_RSRC2:SCRATCH_EN: 0
; COMPUTE_PGM_RSRC2:USER_SGPR: 6
; COMPUTE_PGM_RSRC2:TRAP_HANDLER: 0
; COMPUTE_PGM_RSRC2:TGID_X_EN: 1
; COMPUTE_PGM_RSRC2:TGID_Y_EN: 0
; COMPUTE_PGM_RSRC2:TGID_Z_EN: 1
; COMPUTE_PGM_RSRC2:TIDIG_COMP_CNT: 1
; COMPUTE_PGM_RSRC3_GFX90A:ACCUM_OFFSET: 20
; COMPUTE_PGM_RSRC3_GFX90A:TG_SPLIT: 0
	.section	.text._ZL36rocblas_hemvn_kernel_lower_block_sumILi64EifPKPffEviT1_lS3_lT2_lT0_lPT3_i,"axG",@progbits,_ZL36rocblas_hemvn_kernel_lower_block_sumILi64EifPKPffEviT1_lS3_lT2_lT0_lPT3_i,comdat
	.globl	_ZL36rocblas_hemvn_kernel_lower_block_sumILi64EifPKPffEviT1_lS3_lT2_lT0_lPT3_i ; -- Begin function _ZL36rocblas_hemvn_kernel_lower_block_sumILi64EifPKPffEviT1_lS3_lT2_lT0_lPT3_i
	.p2align	8
	.type	_ZL36rocblas_hemvn_kernel_lower_block_sumILi64EifPKPffEviT1_lS3_lT2_lT0_lPT3_i,@function
_ZL36rocblas_hemvn_kernel_lower_block_sumILi64EifPKPffEviT1_lS3_lT2_lT0_lPT3_i: ; @_ZL36rocblas_hemvn_kernel_lower_block_sumILi64EifPKPffEviT1_lS3_lT2_lT0_lPT3_i
; %bb.0:
	s_load_dwordx2 s[2:3], s[4:5], 0x0
	s_load_dword s16, s[4:5], 0x10
	s_mov_b32 s11, 0
	s_waitcnt lgkmcnt(0)
	v_cmp_eq_f32_e64 s[0:1], s3, 0
	v_cmp_eq_f32_e64 s[8:9], s16, 1.0
	s_and_b64 s[0:1], s[0:1], s[8:9]
	s_and_b64 vcc, exec, s[0:1]
	s_cbranch_vccnz .LBB154_19
; %bb.1:
	s_load_dwordx4 s[12:15], s[4:5], 0x20
	s_load_dword s17, s[4:5], 0x30
	s_mov_b32 s10, s7
	s_lshl_b64 s[0:1], s[10:11], 3
	v_lshl_or_b32 v2, s6, 6, v0
	s_waitcnt lgkmcnt(0)
	s_add_u32 s0, s12, s0
	s_addc_u32 s1, s13, s1
	s_load_dwordx2 s[0:1], s[0:1], 0x0
	s_lshl_b64 s[12:13], s[14:15], 2
	v_cmp_neq_f32_e64 s[8:9], s3, 0
	s_waitcnt lgkmcnt(0)
	s_add_u32 s7, s0, s12
	s_addc_u32 s11, s1, s13
	s_and_b64 vcc, exec, s[8:9]
	v_cmp_gt_i32_e64 s[0:1], s2, v2
	s_cbranch_vccnz .LBB154_6
; %bb.2:
	s_mov_b64 s[12:13], 0
	s_mov_b64 s[8:9], 0
                                        ; implicit-def: $vgpr3
                                        ; implicit-def: $vgpr0_vgpr1
	s_and_saveexec_b64 s[14:15], s[0:1]
	s_cbranch_execz .LBB154_7
; %bb.3:
	v_cmp_eq_f32_e64 s[0:1], s16, 0
	v_mul_lo_u32 v0, v2, s17
	v_mov_b32_e32 v3, 0
	v_ashrrev_i32_e32 v1, 31, v0
	s_and_b64 vcc, exec, s[0:1]
	s_cbranch_vccnz .LBB154_5
; %bb.4:
	v_lshlrev_b64 v[4:5], 2, v[0:1]
	v_mov_b32_e32 v3, s11
	v_add_co_u32_e32 v4, vcc, s7, v4
	v_addc_co_u32_e32 v5, vcc, v3, v5, vcc
	global_load_dword v3, v[4:5], off
	s_waitcnt vmcnt(0)
	v_mul_f32_e32 v3, s16, v3
.LBB154_5:
	s_mov_b64 s[8:9], exec
	s_or_b64 exec, exec, s[14:15]
	s_and_b64 vcc, exec, s[12:13]
	s_cbranch_vccnz .LBB154_8
	s_branch .LBB154_17
.LBB154_6:
	s_mov_b64 s[8:9], 0
                                        ; implicit-def: $vgpr3
                                        ; implicit-def: $vgpr0_vgpr1
	s_cbranch_execnz .LBB154_8
	s_branch .LBB154_17
.LBB154_7:
	s_or_b64 exec, exec, s[14:15]
	s_and_b64 vcc, exec, s[12:13]
	s_cbranch_vccz .LBB154_17
.LBB154_8:
	v_cmp_gt_i32_e32 vcc, s2, v2
                                        ; implicit-def: $vgpr3
                                        ; implicit-def: $vgpr0_vgpr1
	s_and_saveexec_b64 s[0:1], vcc
	s_cbranch_execz .LBB154_16
; %bb.9:
	s_load_dword s12, s[4:5], 0x50
	v_mov_b32_e32 v4, 0
	s_waitcnt lgkmcnt(0)
	s_cmp_ge_i32 s6, s12
	s_cbranch_scc1 .LBB154_12
; %bb.10:
	s_ashr_i32 s15, s2, 31
	s_mul_i32 s13, s6, s2
	s_load_dwordx2 s[4:5], s[4:5], 0x40
	v_add_u32_e32 v0, s13, v2
	s_mul_hi_u32 s13, s2, s10
	s_mul_i32 s18, s15, s10
	s_mov_b32 s14, s2
	s_add_i32 s13, s13, s18
	s_mul_i32 s2, s2, s10
	s_mul_i32 s13, s13, s12
	s_mul_hi_u32 s10, s2, s12
	s_add_i32 s19, s10, s13
	s_mul_i32 s18, s2, s12
	s_lshl_b64 s[18:19], s[18:19], 2
	v_ashrrev_i32_e32 v1, 31, v0
	s_waitcnt lgkmcnt(0)
	s_add_u32 s2, s4, s18
	v_lshlrev_b64 v[0:1], 2, v[0:1]
	s_addc_u32 s4, s5, s19
	v_mov_b32_e32 v3, s4
	v_add_co_u32_e32 v0, vcc, s2, v0
	s_lshl_b64 s[4:5], s[14:15], 2
	v_addc_co_u32_e32 v1, vcc, v3, v1, vcc
	v_mov_b32_e32 v4, 0
	v_mov_b32_e32 v3, s5
.LBB154_11:                             ; =>This Inner Loop Header: Depth=1
	global_load_dword v5, v[0:1], off
	s_add_i32 s6, s6, 1
	v_add_co_u32_e32 v0, vcc, s4, v0
	v_addc_co_u32_e32 v1, vcc, v1, v3, vcc
	s_cmp_ge_i32 s6, s12
	s_waitcnt vmcnt(0)
	v_add_f32_e32 v4, v4, v5
	s_cbranch_scc0 .LBB154_11
.LBB154_12:
	v_cmp_eq_f32_e64 s[4:5], s16, 0
	v_mul_lo_u32 v0, v2, s17
	s_and_b64 vcc, exec, s[4:5]
	v_ashrrev_i32_e32 v1, 31, v0
	s_cbranch_vccz .LBB154_20
; %bb.13:
	v_mul_f32_e32 v3, s3, v4
	s_cbranch_execnz .LBB154_15
.LBB154_14:
	v_lshlrev_b64 v[2:3], 2, v[0:1]
	v_mov_b32_e32 v5, s11
	v_add_co_u32_e32 v2, vcc, s7, v2
	v_addc_co_u32_e32 v3, vcc, v5, v3, vcc
	global_load_dword v2, v[2:3], off
	s_waitcnt vmcnt(0)
	v_mul_f32_e32 v3, s16, v2
	v_fmac_f32_e32 v3, s3, v4
.LBB154_15:
	s_or_b64 s[8:9], s[8:9], exec
.LBB154_16:
	s_or_b64 exec, exec, s[0:1]
.LBB154_17:
	s_and_saveexec_b64 s[0:1], s[8:9]
	s_cbranch_execz .LBB154_19
; %bb.18:
	v_lshlrev_b64 v[0:1], 2, v[0:1]
	v_mov_b32_e32 v2, s11
	v_add_co_u32_e32 v0, vcc, s7, v0
	v_addc_co_u32_e32 v1, vcc, v2, v1, vcc
	global_store_dword v[0:1], v3, off
.LBB154_19:
	s_endpgm
.LBB154_20:
                                        ; implicit-def: $vgpr3
	s_branch .LBB154_14
	.section	.rodata,"a",@progbits
	.p2align	6, 0x0
	.amdhsa_kernel _ZL36rocblas_hemvn_kernel_lower_block_sumILi64EifPKPffEviT1_lS3_lT2_lT0_lPT3_i
		.amdhsa_group_segment_fixed_size 0
		.amdhsa_private_segment_fixed_size 0
		.amdhsa_kernarg_size 336
		.amdhsa_user_sgpr_count 6
		.amdhsa_user_sgpr_private_segment_buffer 1
		.amdhsa_user_sgpr_dispatch_ptr 0
		.amdhsa_user_sgpr_queue_ptr 0
		.amdhsa_user_sgpr_kernarg_segment_ptr 1
		.amdhsa_user_sgpr_dispatch_id 0
		.amdhsa_user_sgpr_flat_scratch_init 0
		.amdhsa_user_sgpr_kernarg_preload_length 0
		.amdhsa_user_sgpr_kernarg_preload_offset 0
		.amdhsa_user_sgpr_private_segment_size 0
		.amdhsa_uses_dynamic_stack 0
		.amdhsa_system_sgpr_private_segment_wavefront_offset 0
		.amdhsa_system_sgpr_workgroup_id_x 1
		.amdhsa_system_sgpr_workgroup_id_y 0
		.amdhsa_system_sgpr_workgroup_id_z 1
		.amdhsa_system_sgpr_workgroup_info 0
		.amdhsa_system_vgpr_workitem_id 0
		.amdhsa_next_free_vgpr 6
		.amdhsa_next_free_sgpr 20
		.amdhsa_accum_offset 8
		.amdhsa_reserve_vcc 1
		.amdhsa_reserve_flat_scratch 0
		.amdhsa_float_round_mode_32 0
		.amdhsa_float_round_mode_16_64 0
		.amdhsa_float_denorm_mode_32 3
		.amdhsa_float_denorm_mode_16_64 3
		.amdhsa_dx10_clamp 1
		.amdhsa_ieee_mode 1
		.amdhsa_fp16_overflow 0
		.amdhsa_tg_split 0
		.amdhsa_exception_fp_ieee_invalid_op 0
		.amdhsa_exception_fp_denorm_src 0
		.amdhsa_exception_fp_ieee_div_zero 0
		.amdhsa_exception_fp_ieee_overflow 0
		.amdhsa_exception_fp_ieee_underflow 0
		.amdhsa_exception_fp_ieee_inexact 0
		.amdhsa_exception_int_div_zero 0
	.end_amdhsa_kernel
	.section	.text._ZL36rocblas_hemvn_kernel_lower_block_sumILi64EifPKPffEviT1_lS3_lT2_lT0_lPT3_i,"axG",@progbits,_ZL36rocblas_hemvn_kernel_lower_block_sumILi64EifPKPffEviT1_lS3_lT2_lT0_lPT3_i,comdat
.Lfunc_end154:
	.size	_ZL36rocblas_hemvn_kernel_lower_block_sumILi64EifPKPffEviT1_lS3_lT2_lT0_lPT3_i, .Lfunc_end154-_ZL36rocblas_hemvn_kernel_lower_block_sumILi64EifPKPffEviT1_lS3_lT2_lT0_lPT3_i
                                        ; -- End function
	.section	.AMDGPU.csdata,"",@progbits
; Kernel info:
; codeLenInByte = 580
; NumSgprs: 24
; NumVgprs: 6
; NumAgprs: 0
; TotalNumVgprs: 6
; ScratchSize: 0
; MemoryBound: 0
; FloatMode: 240
; IeeeMode: 1
; LDSByteSize: 0 bytes/workgroup (compile time only)
; SGPRBlocks: 2
; VGPRBlocks: 0
; NumSGPRsForWavesPerEU: 24
; NumVGPRsForWavesPerEU: 6
; AccumOffset: 8
; Occupancy: 8
; WaveLimiterHint : 1
; COMPUTE_PGM_RSRC2:SCRATCH_EN: 0
; COMPUTE_PGM_RSRC2:USER_SGPR: 6
; COMPUTE_PGM_RSRC2:TRAP_HANDLER: 0
; COMPUTE_PGM_RSRC2:TGID_X_EN: 1
; COMPUTE_PGM_RSRC2:TGID_Y_EN: 0
; COMPUTE_PGM_RSRC2:TGID_Z_EN: 1
; COMPUTE_PGM_RSRC2:TIDIG_COMP_CNT: 0
; COMPUTE_PGM_RSRC3_GFX90A:ACCUM_OFFSET: 1
; COMPUTE_PGM_RSRC3_GFX90A:TG_SPLIT: 0
	.section	.text._ZL50rocblas_symv_kernel_upper_double_buffered_diagonalILi32ELi4E24rocblas_internal_val_ptrIdEPKPKdPKPdEvbiT1_lT2_lllSA_lllS9_lT3_llli,"axG",@progbits,_ZL50rocblas_symv_kernel_upper_double_buffered_diagonalILi32ELi4E24rocblas_internal_val_ptrIdEPKPKdPKPdEvbiT1_lT2_lllSA_lllS9_lT3_llli,comdat
	.globl	_ZL50rocblas_symv_kernel_upper_double_buffered_diagonalILi32ELi4E24rocblas_internal_val_ptrIdEPKPKdPKPdEvbiT1_lT2_lllSA_lllS9_lT3_llli ; -- Begin function _ZL50rocblas_symv_kernel_upper_double_buffered_diagonalILi32ELi4E24rocblas_internal_val_ptrIdEPKPKdPKPdEvbiT1_lT2_lllSA_lllS9_lT3_llli
	.p2align	8
	.type	_ZL50rocblas_symv_kernel_upper_double_buffered_diagonalILi32ELi4E24rocblas_internal_val_ptrIdEPKPKdPKPdEvbiT1_lT2_lllSA_lllS9_lT3_llli,@function
_ZL50rocblas_symv_kernel_upper_double_buffered_diagonalILi32ELi4E24rocblas_internal_val_ptrIdEPKPKdPKPdEvbiT1_lT2_lllSA_lllS9_lT3_llli: ; @_ZL50rocblas_symv_kernel_upper_double_buffered_diagonalILi32ELi4E24rocblas_internal_val_ptrIdEPKPKdPKPdEvbiT1_lT2_lllSA_lllS9_lT3_llli
; %bb.0:
	s_load_dword s0, s[4:5], 0x0
	s_load_dwordx8 s[8:15], s[4:5], 0x8
	s_mov_b32 s18, s7
	s_waitcnt lgkmcnt(0)
	s_bitcmp1_b32 s0, 0
	s_load_dwordx2 s[16:17], s[4:5], 0x28
	s_load_dwordx4 s[0:3], s[4:5], 0x58
	s_cselect_b64 s[22:23], -1, 0
	s_xor_b64 s[20:21], s[22:23], -1
	s_and_b64 vcc, exec, s[22:23]
	v_pk_mov_b32 v[2:3], s[8:9], s[8:9] op_sel:[0,1]
	s_cbranch_vccnz .LBB155_2
; %bb.1:
	s_mul_i32 s7, s18, s11
	s_mul_hi_u32 s11, s18, s10
	s_add_i32 s11, s11, s7
	s_mul_i32 s10, s18, s10
	s_lshl_b64 s[10:11], s[10:11], 3
	s_add_u32 s8, s8, s10
	s_addc_u32 s9, s9, s11
	v_pk_mov_b32 v[2:3], s[8:9], s[8:9] op_sel:[0,1]
	flat_load_dwordx2 v[2:3], v[2:3]
.LBB155_2:
	s_andn2_b64 vcc, exec, s[20:21]
	s_waitcnt lgkmcnt(0)
	v_pk_mov_b32 v[4:5], s[0:1], s[0:1] op_sel:[0,1]
	s_cbranch_vccnz .LBB155_4
; %bb.3:
	s_mul_i32 s3, s18, s3
	s_mul_hi_u32 s7, s18, s2
	s_add_i32 s3, s7, s3
	s_mul_i32 s2, s18, s2
	s_lshl_b64 s[2:3], s[2:3], 3
	s_add_u32 s0, s0, s2
	s_addc_u32 s1, s1, s3
	v_pk_mov_b32 v[4:5], s[0:1], s[0:1] op_sel:[0,1]
	flat_load_dwordx2 v[4:5], v[4:5]
.LBB155_4:
	s_waitcnt vmcnt(0)
	v_cmp_neq_f64_e32 vcc, 0, v[2:3]
	s_waitcnt lgkmcnt(0)
	v_cmp_neq_f64_e64 s[0:1], 1.0, v[4:5]
	s_or_b64 s[0:1], vcc, s[0:1]
	s_and_saveexec_b64 s[2:3], s[0:1]
	s_cbranch_execz .LBB155_40
; %bb.5:
	v_cmp_neq_f64_e64 s[0:1], 0, v[2:3]
	v_cmp_eq_f64_e32 vcc, 0, v[2:3]
                                        ; implicit-def: $sgpr10_sgpr11
	s_and_saveexec_b64 s[2:3], vcc
	s_xor_b64 s[2:3], exec, s[2:3]
; %bb.6:
	s_mov_b32 s19, 0
	s_mov_b64 s[10:11], 0
; %bb.7:
	s_or_saveexec_b64 s[8:9], s[2:3]
	s_load_dwordx2 s[2:3], s[4:5], 0x68
	v_pk_mov_b32 v[10:11], s[18:19], s[18:19] op_sel:[0,1]
	v_pk_mov_b32 v[6:7], s[10:11], s[10:11] op_sel:[0,1]
	s_xor_b64 exec, exec, s[8:9]
	s_cbranch_execz .LBB155_9
; %bb.8:
	s_mov_b32 s19, 0
	s_lshl_b64 s[10:11], s[18:19], 3
	s_add_u32 s10, s12, s10
	s_addc_u32 s11, s13, s11
	s_load_dwordx2 s[10:11], s[10:11], 0x0
	s_lshl_b64 s[12:13], s[14:15], 3
	v_pk_mov_b32 v[10:11], s[18:19], s[18:19] op_sel:[0,1]
	s_waitcnt lgkmcnt(0)
	s_add_u32 s10, s10, s12
	s_addc_u32 s11, s11, s13
	v_pk_mov_b32 v[6:7], s[10:11], s[10:11] op_sel:[0,1]
.LBB155_9:
	s_or_b64 exec, exec, s[8:9]
	s_load_dwordx4 s[8:11], s[4:5], 0x38
	s_load_dwordx2 s[12:13], s[4:5], 0x48
	v_pk_mov_b32 v[8:9], 0, 0
	v_lshlrev_b64 v[10:11], 3, v[10:11]
	s_and_saveexec_b64 s[14:15], s[0:1]
	s_cbranch_execz .LBB155_11
; %bb.10:
	s_waitcnt lgkmcnt(0)
	v_mov_b32_e32 v1, s9
	v_add_co_u32_e64 v8, s[0:1], s8, v10
	v_addc_co_u32_e64 v9, s[0:1], v1, v11, s[0:1]
	global_load_dwordx2 v[8:9], v[8:9], off
	s_lshl_b64 s[0:1], s[10:11], 3
	v_mov_b32_e32 v1, s1
	s_waitcnt vmcnt(0)
	v_add_co_u32_e64 v8, s[0:1], s0, v8
	v_addc_co_u32_e64 v9, s[0:1], v9, v1, s[0:1]
.LBB155_11:
	s_or_b64 exec, exec, s[14:15]
	s_waitcnt lgkmcnt(0)
	v_mov_b32_e32 v1, s3
	v_add_co_u32_e64 v10, s[0:1], s2, v10
	v_addc_co_u32_e64 v11, s[0:1], v1, v11, s[0:1]
	global_load_dwordx2 v[10:11], v[10:11], off
	s_load_dwordx4 s[0:3], s[4:5], 0x70
	s_lshl_b32 s8, s6, 5
	s_ashr_i32 s9, s8, 31
	v_and_b32_e32 v14, 0x3ff, v0
	v_bfe_u32 v17, v0, 10, 10
	s_waitcnt lgkmcnt(0)
	s_mul_i32 s5, s8, s3
	s_mul_hi_u32 s6, s8, s2
	s_mul_i32 s7, s9, s2
	s_add_i32 s5, s6, s5
	s_mul_i32 s4, s8, s2
	s_add_i32 s5, s5, s7
	s_lshl_b64 s[0:1], s[0:1], 3
	s_lshl_b64 s[4:5], s[4:5], 3
	s_add_u32 s0, s4, s0
	s_addc_u32 s1, s5, s1
	v_mov_b32_e32 v0, s1
	s_waitcnt vmcnt(0)
	v_add_co_u32_e64 v15, s[0:1], s0, v10
	v_addc_co_u32_e64 v16, s[0:1], v0, v11, s[0:1]
	s_and_saveexec_b64 s[0:1], vcc
	s_xor_b64 s[0:1], exec, s[0:1]
	s_cbranch_execz .LBB155_15
; %bb.12:
	v_cmp_eq_u32_e32 vcc, 0, v17
	s_and_saveexec_b64 s[4:5], vcc
	s_cbranch_execz .LBB155_14
; %bb.13:
	v_mad_u64_u32 v[0:1], s[6:7], v14, s2, 0
	v_mov_b32_e32 v2, v1
	v_mad_u64_u32 v[2:3], s[6:7], v14, s3, v[2:3]
	v_mov_b32_e32 v1, v2
	v_lshlrev_b64 v[0:1], 3, v[0:1]
	v_add_co_u32_e32 v0, vcc, v15, v0
	v_addc_co_u32_e32 v1, vcc, v16, v1, vcc
	global_load_dwordx2 v[2:3], v[0:1], off
	s_waitcnt vmcnt(0)
	v_mul_f64 v[2:3], v[4:5], v[2:3]
	global_store_dwordx2 v[0:1], v[2:3], off
.LBB155_14:
	s_or_b64 exec, exec, s[4:5]
                                        ; implicit-def: $vgpr17
                                        ; implicit-def: $vgpr2_vgpr3
                                        ; implicit-def: $vgpr4_vgpr5
                                        ; implicit-def: $vgpr14
                                        ; implicit-def: $vgpr15
                                        ; implicit-def: $vgpr16
                                        ; implicit-def: $vgpr6_vgpr7
                                        ; implicit-def: $vgpr8_vgpr9
.LBB155_15:
	s_andn2_saveexec_b64 s[0:1], s[0:1]
	s_cbranch_execz .LBB155_40
; %bb.16:
	v_cmp_eq_u32_e32 vcc, 0, v17
	v_pk_mov_b32 v[0:1], 0, 0
	s_and_saveexec_b64 s[4:5], vcc
	s_cbranch_execz .LBB155_20
; %bb.17:
	v_cmp_neq_f64_e64 s[0:1], 0, v[4:5]
	v_pk_mov_b32 v[0:1], 0, 0
	s_and_saveexec_b64 s[6:7], s[0:1]
	s_cbranch_execz .LBB155_19
; %bb.18:
	v_mad_u64_u32 v[0:1], s[0:1], v14, s2, 0
	v_mov_b32_e32 v10, v1
	v_mad_u64_u32 v[10:11], s[0:1], v14, s3, v[10:11]
	v_mov_b32_e32 v1, v10
	v_lshlrev_b64 v[0:1], 3, v[0:1]
	v_add_co_u32_e64 v0, s[0:1], v15, v0
	v_addc_co_u32_e64 v1, s[0:1], v16, v1, s[0:1]
	global_load_dwordx2 v[0:1], v[0:1], off
	s_waitcnt vmcnt(0)
	v_mul_f64 v[0:1], v[4:5], v[0:1]
.LBB155_19:
	s_or_b64 exec, exec, s[6:7]
	s_mul_i32 s0, s8, s13
	s_mul_hi_u32 s1, s8, s12
	s_add_i32 s0, s1, s0
	s_mul_i32 s1, s9, s12
	s_add_i32 s1, s0, s1
	s_mul_i32 s0, s8, s12
	s_lshl_b64 s[0:1], s[0:1], 3
	v_mov_b32_e32 v10, s1
	v_add_co_u32_e64 v12, s[0:1], s0, v8
	v_addc_co_u32_e64 v13, s[0:1], v9, v10, s[0:1]
	v_mad_u64_u32 v[8:9], s[0:1], v14, s12, 0
	v_mov_b32_e32 v10, v9
	v_mad_u64_u32 v[10:11], s[0:1], v14, s13, v[10:11]
	v_mov_b32_e32 v9, v10
	v_lshlrev_b64 v[8:9], 3, v[8:9]
	v_add_co_u32_e64 v8, s[0:1], v12, v8
	v_addc_co_u32_e64 v9, s[0:1], v13, v9, s[0:1]
	flat_load_dwordx2 v[8:9], v[8:9]
	v_lshlrev_b32_e32 v10, 3, v14
	s_waitcnt vmcnt(0) lgkmcnt(0)
	ds_write_b64 v10, v[8:9] offset:10240
.LBB155_20:
	s_or_b64 exec, exec, s[4:5]
	s_add_u32 s0, s16, 1
	s_addc_u32 s1, s17, 0
	s_mul_i32 s4, s0, s9
	s_mul_hi_u32 s5, s0, s8
	s_add_i32 s4, s5, s4
	s_mul_i32 s1, s1, s8
	s_add_i32 s1, s4, s1
	s_mul_i32 s0, s0, s8
	s_lshl_b64 s[0:1], s[0:1], 3
	v_mov_b32_e32 v8, s1
	v_add_co_u32_e64 v10, s[0:1], s0, v6
	v_addc_co_u32_e64 v11, s[0:1], v7, v8, s[0:1]
	v_mad_u64_u32 v[6:7], s[0:1], v17, s16, 0
	v_mov_b32_e32 v8, v7
	v_mad_u64_u32 v[8:9], s[0:1], v17, s17, v[8:9]
	v_mov_b32_e32 v7, v8
	v_lshlrev_b64 v[6:7], 3, v[6:7]
	v_add_co_u32_e64 v6, s[0:1], v10, v6
	v_addc_co_u32_e64 v7, s[0:1], v11, v7, s[0:1]
	v_lshlrev_b32_e32 v18, 3, v14
	v_add_co_u32_e64 v6, s[0:1], v6, v18
	v_addc_co_u32_e64 v7, s[0:1], 0, v7, s[0:1]
	v_cmp_lt_u32_e64 s[0:1], 15, v14
	s_mul_i32 s12, s17, 12
	s_mul_hi_u32 s13, s16, 12
	s_mul_i32 s4, s16, 12
                                        ; implicit-def: $sgpr8_sgpr9
                                        ; implicit-def: $sgpr10_sgpr11
	s_and_saveexec_b64 s[6:7], s[0:1]
	s_xor_b64 s[0:1], exec, s[6:7]
; %bb.21:
	s_lshl_b64 s[8:9], s[16:17], 2
	s_lshl_b64 s[10:11], s[16:17], 3
	s_add_i32 s5, s13, s12
; %bb.22:
	s_or_saveexec_b64 s[6:7], s[0:1]
	v_lshlrev_b32_e32 v19, 5, v17
	v_pk_mov_b32 v[8:9], s[4:5], s[4:5] op_sel:[0,1]
	v_pk_mov_b32 v[10:11], s[10:11], s[10:11] op_sel:[0,1]
	v_pk_mov_b32 v[12:13], s[8:9], s[8:9] op_sel:[0,1]
	s_xor_b64 exec, exec, s[6:7]
	s_cbranch_execz .LBB155_24
; %bb.23:
	flat_load_dwordx2 v[8:9], v[6:7]
	v_or_b32_e32 v10, v19, v14
	s_lshl_b64 s[8:9], s[16:17], 5
	v_lshlrev_b32_e32 v20, 3, v10
	v_mov_b32_e32 v12, s9
	v_add_co_u32_e64 v10, s[0:1], s8, v6
	v_addc_co_u32_e64 v11, s[0:1], v7, v12, s[0:1]
	s_add_i32 s5, s13, s12
	s_waitcnt vmcnt(0) lgkmcnt(0)
	ds_write_b64 v20, v[8:9]
	flat_load_dwordx2 v[8:9], v[10:11]
	v_add_co_u32_e64 v10, s[0:1], s8, v10
	v_addc_co_u32_e64 v11, s[0:1], v11, v12, s[0:1]
	s_waitcnt vmcnt(0) lgkmcnt(0)
	ds_write_b64 v20, v[8:9] offset:1024
	flat_load_dwordx2 v[8:9], v[10:11]
	v_add_co_u32_e64 v10, s[0:1], s8, v10
	v_addc_co_u32_e64 v11, s[0:1], v11, v12, s[0:1]
	s_lshl_b64 s[0:1], s[16:17], 2
	s_lshl_b64 s[8:9], s[16:17], 3
	s_waitcnt vmcnt(0) lgkmcnt(0)
	ds_write_b64 v20, v[8:9] offset:2048
	flat_load_dwordx2 v[12:13], v[10:11]
	v_pk_mov_b32 v[8:9], s[4:5], s[4:5] op_sel:[0,1]
	v_pk_mov_b32 v[10:11], s[8:9], s[8:9] op_sel:[0,1]
	s_waitcnt vmcnt(0) lgkmcnt(0)
	ds_write_b64 v20, v[12:13] offset:3072
	v_pk_mov_b32 v[12:13], s[0:1], s[0:1] op_sel:[0,1]
.LBB155_24:
	s_or_b64 exec, exec, s[6:7]
	s_lshl_b64 s[0:1], s[16:17], 7
	v_mov_b32_e32 v21, s1
	v_add_co_u32_e64 v20, s[0:1], s0, v6
	v_addc_co_u32_e64 v21, s[0:1], v7, v21, s[0:1]
	flat_load_dwordx2 v[22:23], v[20:21]
	v_lshlrev_b64 v[12:13], 3, v[12:13]
	v_add_lshl_u32 v6, v19, v14, 3
	v_add_co_u32_e64 v12, s[0:1], v20, v12
	v_addc_co_u32_e64 v13, s[0:1], v21, v13, s[0:1]
	v_lshlrev_b64 v[10:11], 3, v[10:11]
	v_add_co_u32_e64 v10, s[0:1], v20, v10
	v_addc_co_u32_e64 v11, s[0:1], v21, v11, s[0:1]
	v_lshlrev_b64 v[8:9], 3, v[8:9]
	v_add_co_u32_e64 v8, s[0:1], v20, v8
	v_addc_co_u32_e64 v9, s[0:1], v21, v9, s[0:1]
	v_add_u32_e32 v7, 0x1000, v6
	s_waitcnt vmcnt(0) lgkmcnt(0)
	ds_write_b64 v6, v[22:23] offset:4096
	flat_load_dwordx2 v[12:13], v[12:13]
	s_waitcnt vmcnt(0) lgkmcnt(0)
	ds_write_b64 v6, v[12:13] offset:5120
	flat_load_dwordx2 v[10:11], v[10:11]
	;; [unrolled: 3-line block ×3, first 2 shown]
	v_sub_u32_e32 v10, v14, v17
	v_sub_u32_e32 v12, 0, v10
	v_lshlrev_b32_e32 v11, 5, v14
	v_max_i32_e32 v13, v10, v12
	v_cmp_lt_u32_e64 s[0:1], 16, v13
	v_add_lshl_u32 v11, v17, v11, 3
	s_waitcnt vmcnt(0) lgkmcnt(0)
	ds_write_b64 v6, v[8:9] offset:7168
	s_waitcnt lgkmcnt(0)
	s_barrier
	s_and_saveexec_b64 s[4:5], s[0:1]
	s_cbranch_execz .LBB155_26
; %bb.25:
	ds_read_b64 v[8:9], v11 offset:128
	s_waitcnt lgkmcnt(0)
	ds_write_b64 v7, v[8:9]
.LBB155_26:
	s_or_b64 exec, exec, s[4:5]
	v_add_u32_e32 v8, 0x1400, v6
	v_cmp_lt_u32_e64 s[0:1], 20, v13
	s_and_saveexec_b64 s[4:5], s[0:1]
	s_cbranch_execz .LBB155_28
; %bb.27:
	ds_read_b64 v[20:21], v11 offset:160
	s_waitcnt lgkmcnt(0)
	ds_write_b64 v8, v[20:21]
.LBB155_28:
	s_or_b64 exec, exec, s[4:5]
	v_add_u32_e32 v9, 0x1800, v6
	v_cmp_lt_u32_e64 s[0:1], 24, v13
	;; [unrolled: 10-line block ×3, first 2 shown]
	s_and_saveexec_b64 s[4:5], s[0:1]
	s_cbranch_execz .LBB155_32
; %bb.31:
	ds_read_b64 v[20:21], v11 offset:224
	s_waitcnt lgkmcnt(0)
	ds_write_b64 v10, v[20:21]
.LBB155_32:
	s_or_b64 exec, exec, s[4:5]
	v_add_u32_e32 v12, v19, v14
	v_cmp_ge_u32_e64 s[0:1], v14, v17
	v_lshlrev_b32_e32 v12, 3, v12
	s_and_saveexec_b64 s[4:5], s[0:1]
	s_cbranch_execnz .LBB155_41
; %bb.33:
	s_or_b64 exec, exec, s[4:5]
	v_cmp_lt_u32_e64 s[0:1], 4, v13
	s_and_saveexec_b64 s[4:5], s[0:1]
	s_cbranch_execnz .LBB155_42
.LBB155_34:
	s_or_b64 exec, exec, s[4:5]
	v_cmp_lt_u32_e64 s[0:1], 8, v13
	s_and_saveexec_b64 s[4:5], s[0:1]
	s_cbranch_execz .LBB155_36
.LBB155_35:
	ds_read_b64 v[20:21], v11 offset:64
	s_waitcnt lgkmcnt(0)
	ds_write_b64 v6, v[20:21] offset:2048
.LBB155_36:
	s_or_b64 exec, exec, s[4:5]
	s_movk_i32 s4, 0x180
	v_cmp_lt_u32_e64 s[0:1], 12, v13
	v_add3_u32 v13, v19, v14, s4
	v_lshlrev_b32_e32 v13, 3, v13
	s_and_saveexec_b64 s[4:5], s[0:1]
	s_cbranch_execz .LBB155_38
; %bb.37:
	ds_read_b64 v[20:21], v11 offset:96
	s_waitcnt lgkmcnt(0)
	ds_write_b64 v13, v[20:21]
.LBB155_38:
	s_or_b64 exec, exec, s[4:5]
	v_lshlrev_b32_e32 v11, 3, v17
	v_add_u32_e32 v11, 0x2800, v11
	s_waitcnt lgkmcnt(0)
	s_barrier
	ds_read2_b64 v[20:23], v11 offset1:4
	ds_read_b64 v[32:33], v12
	ds_read2st64_b64 v[24:27], v6 offset0:2 offset1:4
	ds_read2_b64 v[28:31], v11 offset0:8 offset1:12
	ds_read_b64 v[34:35], v13
	s_waitcnt lgkmcnt(3)
	v_fma_f64 v[32:33], v[32:33], v[20:21], 0
	s_waitcnt lgkmcnt(2)
	v_fmac_f64_e32 v[32:33], v[24:25], v[22:23]
	s_waitcnt lgkmcnt(1)
	v_fmac_f64_e32 v[32:33], v[26:27], v[28:29]
	ds_read2_b64 v[20:23], v11 offset0:16 offset1:20
	ds_read2_b64 v[24:27], v11 offset0:24 offset1:28
	ds_read_b64 v[6:7], v7
	ds_read_b64 v[28:29], v8
	;; [unrolled: 1-line block ×4, first 2 shown]
	s_waitcnt lgkmcnt(6)
	v_fmac_f64_e32 v[32:33], v[34:35], v[30:31]
	s_waitcnt lgkmcnt(3)
	v_fmac_f64_e32 v[32:33], v[6:7], v[20:21]
	;; [unrolled: 2-line block ×5, first 2 shown]
	ds_write_b64 v12, v[32:33] offset:8192
	s_waitcnt lgkmcnt(0)
	s_barrier
	s_and_saveexec_b64 s[0:1], vcc
	s_cbranch_execz .LBB155_40
; %bb.39:
	v_add_u32_e32 v10, 0x2000, v18
	ds_read2_b64 v[6:9], v10 offset1:32
	ds_read2_b64 v[10:13], v10 offset0:64 offset1:96
	v_cmp_neq_f64_e32 vcc, 0, v[4:5]
	s_waitcnt lgkmcnt(1)
	v_add_f64 v[6:7], v[6:7], 0
	v_add_f64 v[6:7], v[6:7], v[8:9]
	s_waitcnt lgkmcnt(0)
	v_add_f64 v[6:7], v[6:7], v[10:11]
	v_add_f64 v[6:7], v[6:7], v[12:13]
	v_mul_f64 v[8:9], v[2:3], v[6:7]
	v_fmac_f64_e32 v[0:1], v[2:3], v[6:7]
	v_mad_u64_u32 v[2:3], s[0:1], v14, s2, 0
	v_mov_b32_e32 v4, v3
	v_mad_u64_u32 v[4:5], s[0:1], v14, s3, v[4:5]
	v_mov_b32_e32 v3, v4
	v_lshlrev_b64 v[2:3], 3, v[2:3]
	v_cndmask_b32_e32 v1, v9, v1, vcc
	v_cndmask_b32_e32 v0, v8, v0, vcc
	v_add_co_u32_e32 v2, vcc, v15, v2
	v_addc_co_u32_e32 v3, vcc, v16, v3, vcc
	global_store_dwordx2 v[2:3], v[0:1], off
.LBB155_40:
	s_endpgm
.LBB155_41:
	ds_read_b64 v[20:21], v11
	s_waitcnt lgkmcnt(0)
	ds_write_b64 v12, v[20:21]
	s_or_b64 exec, exec, s[4:5]
	v_cmp_lt_u32_e64 s[0:1], 4, v13
	s_and_saveexec_b64 s[4:5], s[0:1]
	s_cbranch_execz .LBB155_34
.LBB155_42:
	ds_read_b64 v[20:21], v11 offset:32
	s_waitcnt lgkmcnt(0)
	ds_write_b64 v6, v[20:21] offset:1024
	s_or_b64 exec, exec, s[4:5]
	v_cmp_lt_u32_e64 s[0:1], 8, v13
	s_and_saveexec_b64 s[4:5], s[0:1]
	s_cbranch_execnz .LBB155_35
	s_branch .LBB155_36
	.section	.rodata,"a",@progbits
	.p2align	6, 0x0
	.amdhsa_kernel _ZL50rocblas_symv_kernel_upper_double_buffered_diagonalILi32ELi4E24rocblas_internal_val_ptrIdEPKPKdPKPdEvbiT1_lT2_lllSA_lllS9_lT3_llli
		.amdhsa_group_segment_fixed_size 10496
		.amdhsa_private_segment_fixed_size 0
		.amdhsa_kernarg_size 140
		.amdhsa_user_sgpr_count 6
		.amdhsa_user_sgpr_private_segment_buffer 1
		.amdhsa_user_sgpr_dispatch_ptr 0
		.amdhsa_user_sgpr_queue_ptr 0
		.amdhsa_user_sgpr_kernarg_segment_ptr 1
		.amdhsa_user_sgpr_dispatch_id 0
		.amdhsa_user_sgpr_flat_scratch_init 0
		.amdhsa_user_sgpr_kernarg_preload_length 0
		.amdhsa_user_sgpr_kernarg_preload_offset 0
		.amdhsa_user_sgpr_private_segment_size 0
		.amdhsa_uses_dynamic_stack 0
		.amdhsa_system_sgpr_private_segment_wavefront_offset 0
		.amdhsa_system_sgpr_workgroup_id_x 1
		.amdhsa_system_sgpr_workgroup_id_y 0
		.amdhsa_system_sgpr_workgroup_id_z 1
		.amdhsa_system_sgpr_workgroup_info 0
		.amdhsa_system_vgpr_workitem_id 1
		.amdhsa_next_free_vgpr 36
		.amdhsa_next_free_sgpr 24
		.amdhsa_accum_offset 36
		.amdhsa_reserve_vcc 1
		.amdhsa_reserve_flat_scratch 0
		.amdhsa_float_round_mode_32 0
		.amdhsa_float_round_mode_16_64 0
		.amdhsa_float_denorm_mode_32 3
		.amdhsa_float_denorm_mode_16_64 3
		.amdhsa_dx10_clamp 1
		.amdhsa_ieee_mode 1
		.amdhsa_fp16_overflow 0
		.amdhsa_tg_split 0
		.amdhsa_exception_fp_ieee_invalid_op 0
		.amdhsa_exception_fp_denorm_src 0
		.amdhsa_exception_fp_ieee_div_zero 0
		.amdhsa_exception_fp_ieee_overflow 0
		.amdhsa_exception_fp_ieee_underflow 0
		.amdhsa_exception_fp_ieee_inexact 0
		.amdhsa_exception_int_div_zero 0
	.end_amdhsa_kernel
	.section	.text._ZL50rocblas_symv_kernel_upper_double_buffered_diagonalILi32ELi4E24rocblas_internal_val_ptrIdEPKPKdPKPdEvbiT1_lT2_lllSA_lllS9_lT3_llli,"axG",@progbits,_ZL50rocblas_symv_kernel_upper_double_buffered_diagonalILi32ELi4E24rocblas_internal_val_ptrIdEPKPKdPKPdEvbiT1_lT2_lllSA_lllS9_lT3_llli,comdat
.Lfunc_end155:
	.size	_ZL50rocblas_symv_kernel_upper_double_buffered_diagonalILi32ELi4E24rocblas_internal_val_ptrIdEPKPKdPKPdEvbiT1_lT2_lllSA_lllS9_lT3_llli, .Lfunc_end155-_ZL50rocblas_symv_kernel_upper_double_buffered_diagonalILi32ELi4E24rocblas_internal_val_ptrIdEPKPKdPKPdEvbiT1_lT2_lllSA_lllS9_lT3_llli
                                        ; -- End function
	.section	.AMDGPU.csdata,"",@progbits
; Kernel info:
; codeLenInByte = 2276
; NumSgprs: 28
; NumVgprs: 36
; NumAgprs: 0
; TotalNumVgprs: 36
; ScratchSize: 0
; MemoryBound: 0
; FloatMode: 240
; IeeeMode: 1
; LDSByteSize: 10496 bytes/workgroup (compile time only)
; SGPRBlocks: 3
; VGPRBlocks: 4
; NumSGPRsForWavesPerEU: 28
; NumVGPRsForWavesPerEU: 36
; AccumOffset: 36
; Occupancy: 3
; WaveLimiterHint : 1
; COMPUTE_PGM_RSRC2:SCRATCH_EN: 0
; COMPUTE_PGM_RSRC2:USER_SGPR: 6
; COMPUTE_PGM_RSRC2:TRAP_HANDLER: 0
; COMPUTE_PGM_RSRC2:TGID_X_EN: 1
; COMPUTE_PGM_RSRC2:TGID_Y_EN: 0
; COMPUTE_PGM_RSRC2:TGID_Z_EN: 1
; COMPUTE_PGM_RSRC2:TIDIG_COMP_CNT: 1
; COMPUTE_PGM_RSRC3_GFX90A:ACCUM_OFFSET: 8
; COMPUTE_PGM_RSRC3_GFX90A:TG_SPLIT: 0
	.section	.text._ZL54rocblas_symv_kernel_upper_double_buffered_non_diagonalILi32ELi4ELi4E24rocblas_internal_val_ptrIdEPKPKdPKPdEvbiT2_lT3_lllSA_lllT4_llli,"axG",@progbits,_ZL54rocblas_symv_kernel_upper_double_buffered_non_diagonalILi32ELi4ELi4E24rocblas_internal_val_ptrIdEPKPKdPKPdEvbiT2_lT3_lllSA_lllT4_llli,comdat
	.globl	_ZL54rocblas_symv_kernel_upper_double_buffered_non_diagonalILi32ELi4ELi4E24rocblas_internal_val_ptrIdEPKPKdPKPdEvbiT2_lT3_lllSA_lllT4_llli ; -- Begin function _ZL54rocblas_symv_kernel_upper_double_buffered_non_diagonalILi32ELi4ELi4E24rocblas_internal_val_ptrIdEPKPKdPKPdEvbiT2_lT3_lllSA_lllT4_llli
	.p2align	8
	.type	_ZL54rocblas_symv_kernel_upper_double_buffered_non_diagonalILi32ELi4ELi4E24rocblas_internal_val_ptrIdEPKPKdPKPdEvbiT2_lT3_lllSA_lllT4_llli,@function
_ZL54rocblas_symv_kernel_upper_double_buffered_non_diagonalILi32ELi4ELi4E24rocblas_internal_val_ptrIdEPKPKdPKPdEvbiT2_lT3_lllSA_lllT4_llli: ; @_ZL54rocblas_symv_kernel_upper_double_buffered_non_diagonalILi32ELi4ELi4E24rocblas_internal_val_ptrIdEPKPKdPKPdEvbiT2_lT3_lllSA_lllT4_llli
; %bb.0:
	s_load_dword s0, s[4:5], 0x0
	s_load_dwordx8 s[12:19], s[4:5], 0x8
	s_load_dwordx2 s[2:3], s[4:5], 0x28
	s_waitcnt lgkmcnt(0)
	s_bitcmp1_b32 s0, 0
	s_cselect_b64 s[0:1], -1, 0
	s_and_b64 vcc, exec, s[0:1]
	v_pk_mov_b32 v[8:9], s[12:13], s[12:13] op_sel:[0,1]
	s_cbranch_vccnz .LBB156_2
; %bb.1:
	s_mul_i32 s0, s8, s15
	s_mul_hi_u32 s1, s8, s14
	s_add_i32 s1, s1, s0
	s_mul_i32 s0, s8, s14
	s_lshl_b64 s[0:1], s[0:1], 3
	s_add_u32 s0, s12, s0
	s_addc_u32 s1, s13, s1
	v_pk_mov_b32 v[2:3], s[0:1], s[0:1] op_sel:[0,1]
	flat_load_dwordx2 v[8:9], v[2:3]
.LBB156_2:
	s_waitcnt vmcnt(0) lgkmcnt(0)
	v_cmp_neq_f64_e32 vcc, 0, v[8:9]
	s_and_saveexec_b64 s[0:1], vcc
	s_cbranch_execz .LBB156_22
; %bb.3:
	s_load_dword s10, s[4:5], 0x84
	s_mov_b32 s9, 0
	s_cmp_eq_u32 s6, 0
	s_waitcnt lgkmcnt(0)
	v_cvt_f32_u32_e32 v1, s10
	v_rcp_iflag_f32_e32 v1, v1
	v_mul_f32_e32 v1, 0x4f7ffffe, v1
	v_cvt_u32_f32_e32 v1, v1
	v_readfirstlane_b32 s0, v1
	s_cbranch_scc1 .LBB156_22
; %bb.4:
	s_sub_i32 s1, 0, s10
	s_mul_i32 s1, s1, s0
	s_mul_hi_u32 s1, s0, s1
	s_load_dwordx4 s[20:23], s[4:5], 0x38
	s_load_dwordx2 s[12:13], s[4:5], 0x48
	s_add_i32 s11, s0, s1
	s_lshl_b64 s[0:1], s[8:9], 3
	s_add_u32 s14, s16, s0
	s_addc_u32 s15, s17, s1
	s_waitcnt lgkmcnt(0)
	s_add_u32 s8, s20, s0
	s_addc_u32 s9, s21, s1
	s_load_dwordx2 s[16:17], s[8:9], 0x0
	s_load_dwordx2 s[20:21], s[4:5], 0x58
	s_lshl_b64 s[8:9], s[22:23], 3
	v_and_b32_e32 v68, 0x3ff, v0
	v_bfe_u32 v0, v0, 10, 10
	s_waitcnt lgkmcnt(0)
	s_add_u32 s23, s16, s8
	s_addc_u32 s24, s17, s9
	s_add_u32 s16, s20, s0
	s_addc_u32 s17, s21, s1
	s_lshl_b32 s20, s6, 5
	s_mul_hi_u32 s11, s6, s11
	s_ashr_i32 s21, s20, 31
	v_cmp_eq_u32_e32 vcc, 0, v0
	s_and_saveexec_b64 s[8:9], vcc
	s_cbranch_execz .LBB156_6
; %bb.5:
	s_mul_i32 s0, s20, s13
	s_mul_hi_u32 s1, s20, s12
	s_add_i32 s0, s1, s0
	s_mul_i32 s1, s21, s12
	s_add_i32 s1, s0, s1
	s_mul_i32 s0, s20, s12
	s_lshl_b64 s[0:1], s[0:1], 3
	s_add_u32 s22, s23, s0
	s_addc_u32 s25, s24, s1
	v_mad_u64_u32 v[2:3], s[0:1], v68, s12, 0
	v_mov_b32_e32 v4, v3
	v_mad_u64_u32 v[4:5], s[0:1], v68, s13, v[4:5]
	v_mov_b32_e32 v3, v4
	v_lshlrev_b64 v[2:3], 3, v[2:3]
	v_mov_b32_e32 v1, s25
	v_add_co_u32_e64 v2, s[0:1], s22, v2
	v_addc_co_u32_e64 v3, s[0:1], v1, v3, s[0:1]
	global_load_dwordx2 v[2:3], v[2:3], off
	v_lshlrev_b32_e32 v1, 3, v68
	s_waitcnt vmcnt(0)
	ds_write_b64 v1, v[2:3] offset:6144
.LBB156_6:
	s_or_b64 exec, exec, s[8:9]
	s_mul_i32 s0, s11, s10
	s_sub_i32 s0, s6, s0
	s_add_i32 s1, s11, 1
	s_sub_i32 s8, s0, s10
	s_cmp_ge_u32 s0, s10
	s_cselect_b32 s1, s1, s11
	s_cselect_b32 s0, s8, s0
	s_add_i32 s8, s1, 1
	s_cmp_ge_u32 s0, s10
	s_cselect_b32 s0, s8, s1
	s_add_i32 s1, s10, -1
	s_cmp_lg_u32 s7, s1
	s_mov_b32 s22, s0
	s_cbranch_scc1 .LBB156_8
; %bb.7:
	s_mul_i32 s1, s0, s10
	s_sub_i32 s1, s6, s1
	s_add_i32 s22, s1, s0
.LBB156_8:
	s_cmp_eq_u32 s22, 0
	s_cbranch_scc1 .LBB156_22
; %bb.9:
	s_load_dwordx4 s[8:11], s[4:5], 0x60
	s_load_dwordx2 s[26:27], s[16:17], 0x0
	v_lshl_add_u32 v0, v0, 5, v68
	v_pk_mov_b32 v[20:21], 0, 0
	v_and_b32_e32 v10, 15, v68
	s_waitcnt lgkmcnt(0)
	s_lshl_b64 s[4:5], s[8:9], 3
	s_add_u32 s16, s26, s4
	s_addc_u32 s17, s27, s5
	v_lshrrev_b32_e32 v69, 4, v0
	s_cmp_lt_i32 s22, 1
	v_pk_mov_b32 v[24:25], v[20:21], v[20:21] op_sel:[0,1]
	v_pk_mov_b32 v[26:27], v[20:21], v[20:21] op_sel:[0,1]
	;; [unrolled: 1-line block ×3, first 2 shown]
	s_barrier
	s_cbranch_scc1 .LBB156_19
; %bb.10:
	v_lshlrev_b32_e32 v3, 2, v69
	v_mov_b32_e32 v11, 0
	v_mad_u64_u32 v[0:1], s[4:5], v3, s2, v[10:11]
	v_mov_b32_e32 v2, v1
	v_mad_u64_u32 v[2:3], s[4:5], v3, s3, v[2:3]
	;; [unrolled: 2-line block ×3, first 2 shown]
	v_mov_b32_e32 v4, v3
	s_mul_i32 s7, s7, s0
	v_mad_u64_u32 v[4:5], s[4:5], v10, s13, v[4:5]
	s_lshl_b32 s0, s7, 5
	s_ashr_i32 s1, s0, 31
	s_mul_i32 s4, s0, s11
	s_mul_hi_u32 s5, s0, s10
	s_load_dwordx2 s[8:9], s[14:15], 0x0
	s_add_i32 s4, s5, s4
	s_mul_i32 s5, s1, s10
	s_add_i32 s5, s4, s5
	s_mul_i32 s4, s0, s10
	s_lshl_b64 s[4:5], s[4:5], 3
	s_add_u32 s4, s16, s4
	s_addc_u32 s5, s17, s5
	s_lshl_b64 s[6:7], s[18:19], 3
	s_waitcnt lgkmcnt(0)
	s_add_u32 s8, s8, s6
	s_addc_u32 s9, s9, s7
	s_mul_i32 s6, s20, s3
	s_mul_hi_u32 s7, s20, s2
	s_add_i32 s6, s7, s6
	s_mul_i32 s7, s21, s2
	s_add_i32 s7, s6, s7
	s_mul_i32 s6, s20, s2
	s_lshl_b64 s[6:7], s[6:7], 3
	s_add_u32 s8, s8, s6
	s_addc_u32 s9, s9, s7
	s_lshl_b64 s[6:7], s[0:1], 3
	s_add_u32 s14, s8, s6
	s_addc_u32 s15, s9, s7
	s_mul_i32 s6, s0, s13
	s_mul_hi_u32 s7, s0, s12
	s_add_i32 s6, s7, s6
	s_mul_i32 s1, s1, s12
	s_add_i32 s1, s6, s1
	s_mul_i32 s0, s0, s12
	s_lshl_b64 s[0:1], s[0:1], 3
	s_add_u32 s18, s23, s0
	v_lshlrev_b64 v[12:13], 3, v[0:1]
	s_addc_u32 s19, s24, s1
	v_mov_b32_e32 v1, s15
	v_add_co_u32_e64 v0, s[0:1], s14, v12
	v_addc_co_u32_e64 v1, s[0:1], v1, v13, s[0:1]
	s_lshl_b64 s[6:7], s[2:3], 3
	v_mov_b32_e32 v3, v4
	v_mov_b32_e32 v11, s7
	v_add_co_u32_e64 v4, s[0:1], s6, v0
	v_addc_co_u32_e64 v5, s[0:1], v1, v11, s[0:1]
	global_load_dwordx2 v[18:19], v[0:1], off
	global_load_dwordx2 v[22:23], v[4:5], off
	v_add_co_u32_e64 v0, s[0:1], s6, v4
	v_addc_co_u32_e64 v1, s[0:1], v5, v11, s[0:1]
	v_lshlrev_b64 v[14:15], 3, v[2:3]
	v_mov_b32_e32 v3, s19
	v_add_co_u32_e64 v2, s[0:1], s18, v14
	v_addc_co_u32_e64 v3, s[0:1], v3, v15, s[0:1]
	global_load_dwordx2 v[28:29], v[0:1], off
	v_add_co_u32_e64 v0, s[0:1], s6, v0
	v_addc_co_u32_e64 v1, s[0:1], v1, v11, s[0:1]
	global_load_dwordx2 v[30:31], v[2:3], off
	global_load_dwordx2 v[38:39], v[0:1], off
	v_or_b32_e32 v3, 16, v10
	v_mad_u64_u32 v[0:1], s[0:1], v3, s12, 0
	v_mov_b32_e32 v2, v1
	v_mad_u64_u32 v[2:3], s[0:1], v3, s13, v[2:3]
	v_lshlrev_b32_e32 v6, 5, v69
	v_mov_b32_e32 v1, v2
	v_or_b32_e32 v2, v6, v10
	v_mov_b32_e32 v7, 0x1000
	v_lshl_add_u32 v70, v2, 3, v7
	v_mad_u64_u32 v[2:3], s[0:1], v68, s10, 0
	v_mov_b32_e32 v4, v3
	v_mad_u64_u32 v[4:5], s[0:1], v68, s11, v[4:5]
	v_mov_b32_e32 v3, v4
	v_pk_mov_b32 v[16:17], 0, 0
	s_lshl_b64 s[8:9], s[12:13], 8
	s_add_i32 s23, s22, -1
	s_lshl_b64 s[12:13], s[10:11], 8
	v_add_u32_e32 v71, 0x1800, v6
	v_lshl_add_u32 v72, v68, 3, v7
	s_mov_b32 s24, 0
	v_pk_mov_b32 v[32:33], s[4:5], s[4:5] op_sel:[0,1]
	v_lshlrev_b64 v[34:35], 3, v[0:1]
	v_lshlrev_b64 v[36:37], 3, v[2:3]
	v_pk_mov_b32 v[26:27], v[16:17], v[16:17] op_sel:[0,1]
	v_pk_mov_b32 v[24:25], v[16:17], v[16:17] op_sel:[0,1]
	;; [unrolled: 1-line block ×3, first 2 shown]
	s_waitcnt vmcnt(4)
	v_pk_mov_b32 v[40:41], v[18:19], v[18:19] op_sel:[0,1]
	s_waitcnt vmcnt(3)
	v_pk_mov_b32 v[42:43], v[22:23], v[22:23] op_sel:[0,1]
	;; [unrolled: 2-line block ×5, first 2 shown]
.LBB156_11:                             ; =>This Loop Header: Depth=1
                                        ;     Child Loop BB156_15 Depth 2
	v_mov_b32_e32 v1, s19
	v_add_co_u32_e64 v0, s[0:1], s18, v34
	v_addc_co_u32_e64 v1, s[0:1], v1, v35, s[0:1]
	global_load_dwordx2 v[50:51], v[0:1], off
	v_mov_b32_e32 v0, s15
	v_add_co_u32_e64 v60, s[0:1], s14, v12
	v_addc_co_u32_e64 v61, s[0:1], v0, v13, s[0:1]
	v_add_co_u32_e64 v62, s[0:1], s6, v60
	v_addc_co_u32_e64 v63, s[0:1], v61, v11, s[0:1]
	v_add_co_u32_e64 v64, s[0:1], s6, v62
	v_addc_co_u32_e64 v65, s[2:3], v63, v11, s[0:1]
	v_add_co_u32_e64 v66, s[2:3], s6, v64
	global_load_dwordx2 v[52:53], v[60:61], off offset:128
	global_load_dwordx2 v[54:55], v[62:63], off offset:128
	v_addc_co_u32_e64 v67, s[4:5], v65, v11, s[2:3]
	global_load_dwordx2 v[56:57], v[64:65], off offset:128
	global_load_dwordx2 v[58:59], v[66:67], off offset:128
	ds_read_b128 v[4:7], v71
	ds_read_b128 v[0:3], v71 offset:16
	s_add_u32 s18, s18, s8
	s_addc_u32 s19, s19, s9
	s_cmp_eq_u32 s24, s23
	s_cbranch_scc1 .LBB156_13
; %bb.12:                               ;   in Loop: Header=BB156_11 Depth=1
	v_mov_b32_e32 v40, s7
	v_addc_co_u32_e64 v65, s[0:1], v63, v40, s[0:1]
	v_addc_co_u32_e64 v67, s[0:1], v65, v40, s[2:3]
	global_load_dwordx2 v[40:41], v[60:61], off offset:256
	global_load_dwordx2 v[42:43], v[62:63], off offset:256
	;; [unrolled: 1-line block ×4, first 2 shown]
	v_mov_b32_e32 v49, s19
	v_add_co_u32_e64 v48, s[0:1], s18, v14
	v_addc_co_u32_e64 v49, s[0:1], v49, v15, s[0:1]
	global_load_dwordx2 v[48:49], v[48:49], off
.LBB156_13:                             ;   in Loop: Header=BB156_11 Depth=1
	s_waitcnt lgkmcnt(1)
	v_fma_f64 v[60:61], v[18:19], v[4:5], 0
	s_waitcnt vmcnt(3)
	v_fma_f64 v[4:5], v[52:53], v[4:5], 0
	v_fmac_f64_e32 v[60:61], v[22:23], v[6:7]
	s_waitcnt vmcnt(2)
	v_fmac_f64_e32 v[4:5], v[54:55], v[6:7]
	s_waitcnt lgkmcnt(0)
	v_fmac_f64_e32 v[60:61], v[28:29], v[0:1]
	s_waitcnt vmcnt(1)
	v_fmac_f64_e32 v[4:5], v[56:57], v[0:1]
	v_fmac_f64_e32 v[60:61], v[38:39], v[2:3]
	s_waitcnt vmcnt(0)
	v_fmac_f64_e32 v[4:5], v[58:59], v[2:3]
	s_barrier
	ds_write2_b64 v70, v[60:61], v[4:5] offset1:16
	s_waitcnt lgkmcnt(0)
	s_barrier
	s_and_saveexec_b64 s[2:3], vcc
	s_cbranch_execz .LBB156_17
; %bb.14:                               ;   in Loop: Header=BB156_11 Depth=1
	v_add_co_u32_e64 v4, s[0:1], v32, v36
	v_addc_co_u32_e64 v5, s[0:1], v33, v37, s[0:1]
	global_load_dwordx2 v[2:3], v[4:5], off
	ds_read2_b64 v[60:63], v72 offset1:32
	ds_read2_b64 v[64:67], v72 offset0:64 offset1:96
	ds_read2_b64 v[74:77], v72 offset0:128 offset1:160
	s_mov_b64 s[4:5], 0
	s_waitcnt lgkmcnt(2)
	v_add_f64 v[0:1], v[60:61], 0
	v_add_f64 v[0:1], v[0:1], v[62:63]
	ds_read2_b64 v[60:63], v72 offset0:192 offset1:224
	s_waitcnt lgkmcnt(2)
	v_add_f64 v[0:1], v[0:1], v[64:65]
	v_add_f64 v[0:1], v[0:1], v[66:67]
	s_waitcnt lgkmcnt(1)
	v_add_f64 v[0:1], v[0:1], v[74:75]
	v_add_f64 v[0:1], v[0:1], v[76:77]
	;; [unrolled: 3-line block ×3, first 2 shown]
	v_mul_f64 v[6:7], v[8:9], v[0:1]
.LBB156_15:                             ;   Parent Loop BB156_11 Depth=1
                                        ; =>  This Inner Loop Header: Depth=2
	s_waitcnt vmcnt(0)
	v_add_f64 v[0:1], v[2:3], v[6:7]
	global_atomic_cmpswap_x2 v[0:1], v[4:5], v[0:3], off glc
	s_waitcnt vmcnt(0)
	v_cmp_eq_u64_e64 s[0:1], v[0:1], v[2:3]
	s_or_b64 s[4:5], s[0:1], s[4:5]
	v_pk_mov_b32 v[2:3], v[0:1], v[0:1] op_sel:[0,1]
	s_andn2_b64 exec, exec, s[4:5]
	s_cbranch_execnz .LBB156_15
; %bb.16:                               ;   in Loop: Header=BB156_11 Depth=1
	s_or_b64 exec, exec, s[4:5]
	v_mov_b32_e32 v0, s13
	v_add_co_u32_e64 v32, s[0:1], s12, v32
	v_addc_co_u32_e64 v33, s[0:1], v33, v0, s[0:1]
.LBB156_17:                             ;   in Loop: Header=BB156_11 Depth=1
	s_or_b64 exec, exec, s[2:3]
	s_add_u32 s14, s14, 0x100
	v_fmac_f64_e32 v[16:17], v[30:31], v[18:19]
	v_fmac_f64_e32 v[26:27], v[30:31], v[22:23]
	;; [unrolled: 1-line block ×4, first 2 shown]
	s_addc_u32 s15, s15, 0
	s_add_i32 s24, s24, 1
	v_fmac_f64_e32 v[16:17], v[50:51], v[52:53]
	v_fmac_f64_e32 v[26:27], v[50:51], v[54:55]
	v_fmac_f64_e32 v[24:25], v[50:51], v[56:57]
	v_fmac_f64_e32 v[20:21], v[50:51], v[58:59]
	s_cmp_eq_u32 s24, s22
	s_cbranch_scc1 .LBB156_19
; %bb.18:                               ;   in Loop: Header=BB156_11 Depth=1
	v_pk_mov_b32 v[30:31], v[48:49], v[48:49] op_sel:[0,1]
	v_pk_mov_b32 v[18:19], v[40:41], v[40:41] op_sel:[0,1]
	;; [unrolled: 1-line block ×5, first 2 shown]
	s_branch .LBB156_11
.LBB156_19:
	v_lshlrev_b32_e32 v0, 3, v10
	v_lshl_or_b32 v0, v69, 9, v0
	ds_write2_b64 v0, v[16:17], v[26:27] offset1:16
	ds_write2_b64 v0, v[24:25], v[20:21] offset0:32 offset1:48
	s_waitcnt lgkmcnt(0)
	s_barrier
	s_and_b64 exec, exec, vcc
	s_cbranch_execz .LBB156_22
; %bb.20:
	s_mul_i32 s0, s20, s11
	s_mul_hi_u32 s1, s20, s10
	s_add_i32 s0, s1, s0
	s_mul_i32 s21, s21, s10
	s_add_i32 s1, s0, s21
	s_mul_i32 s0, s20, s10
	s_lshl_b64 s[0:1], s[0:1], 3
	s_add_u32 s2, s16, s0
	s_addc_u32 s3, s17, s1
	v_mad_u64_u32 v[0:1], s[0:1], v68, s10, 0
	v_mov_b32_e32 v2, v1
	v_mad_u64_u32 v[2:3], s[0:1], v68, s11, v[2:3]
	v_mov_b32_e32 v1, v2
	v_lshlrev_b64 v[0:1], 3, v[0:1]
	v_mov_b32_e32 v2, s3
	v_add_co_u32_e32 v4, vcc, s2, v0
	v_addc_co_u32_e32 v5, vcc, v2, v1, vcc
	global_load_dwordx2 v[2:3], v[4:5], off
	v_lshlrev_b32_e32 v18, 4, v68
	v_add_u32_e32 v1, 1, v68
	v_and_or_b32 v1, v1, 15, v18
	v_lshlrev_b32_e32 v6, 3, v1
	v_add_u32_e32 v1, 2, v68
	v_or_b32_e32 v19, v10, v18
	v_and_or_b32 v1, v1, 15, v18
	v_lshlrev_b32_e32 v0, 3, v19
	v_lshlrev_b32_e32 v10, 3, v1
	v_add_u32_e32 v1, 3, v68
	v_and_or_b32 v12, v1, 15, v18
	ds_read_b64 v[0:1], v0
	ds_read_b64 v[6:7], v6
	;; [unrolled: 1-line block ×3, first 2 shown]
	v_lshlrev_b32_e32 v12, 3, v12
	ds_read_b64 v[12:13], v12
	s_waitcnt lgkmcnt(3)
	v_add_f64 v[0:1], v[0:1], 0
	s_waitcnt lgkmcnt(2)
	v_add_f64 v[0:1], v[0:1], v[6:7]
	v_add_u32_e32 v7, 5, v68
	v_and_or_b32 v7, v7, 15, v18
	s_waitcnt lgkmcnt(1)
	v_add_f64 v[0:1], v[0:1], v[10:11]
	v_lshlrev_b32_e32 v10, 3, v7
	v_add_u32_e32 v7, 6, v68
	v_and_or_b32 v7, v7, 15, v18
	v_add_u32_e32 v6, 4, v68
	v_lshlrev_b32_e32 v14, 3, v7
	v_add_u32_e32 v7, 7, v68
	v_and_or_b32 v6, v6, 15, v18
	v_and_or_b32 v7, v7, 15, v18
	v_lshlrev_b32_e32 v6, 3, v6
	v_lshlrev_b32_e32 v16, 3, v7
	ds_read_b64 v[6:7], v6
	ds_read_b64 v[10:11], v10
	;; [unrolled: 1-line block ×4, first 2 shown]
	s_waitcnt lgkmcnt(4)
	v_add_f64 v[0:1], v[0:1], v[12:13]
	s_waitcnt lgkmcnt(3)
	v_add_f64 v[0:1], v[0:1], v[6:7]
	v_add_u32_e32 v7, 9, v68
	v_and_or_b32 v7, v7, 15, v18
	s_waitcnt lgkmcnt(2)
	v_add_f64 v[0:1], v[0:1], v[10:11]
	v_lshlrev_b32_e32 v10, 3, v7
	v_add_u32_e32 v7, 10, v68
	v_xor_b32_e32 v6, 8, v19
	v_and_or_b32 v7, v7, 15, v18
	v_lshlrev_b32_e32 v6, 3, v6
	v_lshlrev_b32_e32 v12, 3, v7
	v_add_u32_e32 v7, 11, v68
	s_waitcnt lgkmcnt(1)
	v_add_f64 v[0:1], v[0:1], v[14:15]
	v_and_or_b32 v14, v7, 15, v18
	ds_read_b64 v[6:7], v6
	ds_read_b64 v[10:11], v10
	;; [unrolled: 1-line block ×3, first 2 shown]
	s_waitcnt lgkmcnt(3)
	v_add_f64 v[0:1], v[0:1], v[16:17]
	v_lshlrev_b32_e32 v14, 3, v14
	s_waitcnt lgkmcnt(2)
	v_add_f64 v[0:1], v[0:1], v[6:7]
	v_add_u32_e32 v7, 13, v68
	v_and_or_b32 v7, v7, 15, v18
	s_waitcnt lgkmcnt(1)
	v_add_f64 v[0:1], v[0:1], v[10:11]
	v_lshlrev_b32_e32 v10, 3, v7
	v_add_u32_e32 v7, 14, v68
	ds_read_b64 v[14:15], v14
	v_and_or_b32 v7, v7, 15, v18
	s_waitcnt lgkmcnt(1)
	v_add_f64 v[0:1], v[0:1], v[12:13]
	v_add_u32_e32 v6, 12, v68
	v_lshlrev_b32_e32 v12, 3, v7
	v_add_u32_e32 v7, -1, v68
	v_and_or_b32 v6, v6, 15, v18
	v_and_or_b32 v7, v7, 15, v18
	v_lshlrev_b32_e32 v6, 3, v6
	v_lshlrev_b32_e32 v16, 3, v7
	ds_read_b64 v[6:7], v6
	ds_read_b64 v[10:11], v10
	;; [unrolled: 1-line block ×4, first 2 shown]
	s_waitcnt lgkmcnt(4)
	v_add_f64 v[0:1], v[0:1], v[14:15]
	s_waitcnt lgkmcnt(3)
	v_add_f64 v[0:1], v[0:1], v[6:7]
	;; [unrolled: 2-line block ×5, first 2 shown]
	s_mov_b64 s[0:1], 0
	v_mul_f64 v[6:7], v[8:9], v[0:1]
.LBB156_21:                             ; =>This Inner Loop Header: Depth=1
	s_waitcnt vmcnt(0)
	v_add_f64 v[0:1], v[2:3], v[6:7]
	global_atomic_cmpswap_x2 v[0:1], v[4:5], v[0:3], off glc
	s_waitcnt vmcnt(0)
	v_cmp_eq_u64_e32 vcc, v[0:1], v[2:3]
	s_or_b64 s[0:1], vcc, s[0:1]
	v_pk_mov_b32 v[2:3], v[0:1], v[0:1] op_sel:[0,1]
	s_andn2_b64 exec, exec, s[0:1]
	s_cbranch_execnz .LBB156_21
.LBB156_22:
	s_endpgm
	.section	.rodata,"a",@progbits
	.p2align	6, 0x0
	.amdhsa_kernel _ZL54rocblas_symv_kernel_upper_double_buffered_non_diagonalILi32ELi4ELi4E24rocblas_internal_val_ptrIdEPKPKdPKPdEvbiT2_lT3_lllSA_lllT4_llli
		.amdhsa_group_segment_fixed_size 6400
		.amdhsa_private_segment_fixed_size 0
		.amdhsa_kernarg_size 384
		.amdhsa_user_sgpr_count 6
		.amdhsa_user_sgpr_private_segment_buffer 1
		.amdhsa_user_sgpr_dispatch_ptr 0
		.amdhsa_user_sgpr_queue_ptr 0
		.amdhsa_user_sgpr_kernarg_segment_ptr 1
		.amdhsa_user_sgpr_dispatch_id 0
		.amdhsa_user_sgpr_flat_scratch_init 0
		.amdhsa_user_sgpr_kernarg_preload_length 0
		.amdhsa_user_sgpr_kernarg_preload_offset 0
		.amdhsa_user_sgpr_private_segment_size 0
		.amdhsa_uses_dynamic_stack 0
		.amdhsa_system_sgpr_private_segment_wavefront_offset 0
		.amdhsa_system_sgpr_workgroup_id_x 1
		.amdhsa_system_sgpr_workgroup_id_y 1
		.amdhsa_system_sgpr_workgroup_id_z 1
		.amdhsa_system_sgpr_workgroup_info 0
		.amdhsa_system_vgpr_workitem_id 1
		.amdhsa_next_free_vgpr 78
		.amdhsa_next_free_sgpr 28
		.amdhsa_accum_offset 80
		.amdhsa_reserve_vcc 1
		.amdhsa_reserve_flat_scratch 0
		.amdhsa_float_round_mode_32 0
		.amdhsa_float_round_mode_16_64 0
		.amdhsa_float_denorm_mode_32 3
		.amdhsa_float_denorm_mode_16_64 3
		.amdhsa_dx10_clamp 1
		.amdhsa_ieee_mode 1
		.amdhsa_fp16_overflow 0
		.amdhsa_tg_split 0
		.amdhsa_exception_fp_ieee_invalid_op 0
		.amdhsa_exception_fp_denorm_src 0
		.amdhsa_exception_fp_ieee_div_zero 0
		.amdhsa_exception_fp_ieee_overflow 0
		.amdhsa_exception_fp_ieee_underflow 0
		.amdhsa_exception_fp_ieee_inexact 0
		.amdhsa_exception_int_div_zero 0
	.end_amdhsa_kernel
	.section	.text._ZL54rocblas_symv_kernel_upper_double_buffered_non_diagonalILi32ELi4ELi4E24rocblas_internal_val_ptrIdEPKPKdPKPdEvbiT2_lT3_lllSA_lllT4_llli,"axG",@progbits,_ZL54rocblas_symv_kernel_upper_double_buffered_non_diagonalILi32ELi4ELi4E24rocblas_internal_val_ptrIdEPKPKdPKPdEvbiT2_lT3_lllSA_lllT4_llli,comdat
.Lfunc_end156:
	.size	_ZL54rocblas_symv_kernel_upper_double_buffered_non_diagonalILi32ELi4ELi4E24rocblas_internal_val_ptrIdEPKPKdPKPdEvbiT2_lT3_lllSA_lllT4_llli, .Lfunc_end156-_ZL54rocblas_symv_kernel_upper_double_buffered_non_diagonalILi32ELi4ELi4E24rocblas_internal_val_ptrIdEPKPKdPKPdEvbiT2_lT3_lllSA_lllT4_llli
                                        ; -- End function
	.section	.AMDGPU.csdata,"",@progbits
; Kernel info:
; codeLenInByte = 2588
; NumSgprs: 32
; NumVgprs: 78
; NumAgprs: 0
; TotalNumVgprs: 78
; ScratchSize: 0
; MemoryBound: 0
; FloatMode: 240
; IeeeMode: 1
; LDSByteSize: 6400 bytes/workgroup (compile time only)
; SGPRBlocks: 3
; VGPRBlocks: 9
; NumSGPRsForWavesPerEU: 32
; NumVGPRsForWavesPerEU: 78
; AccumOffset: 80
; Occupancy: 5
; WaveLimiterHint : 1
; COMPUTE_PGM_RSRC2:SCRATCH_EN: 0
; COMPUTE_PGM_RSRC2:USER_SGPR: 6
; COMPUTE_PGM_RSRC2:TRAP_HANDLER: 0
; COMPUTE_PGM_RSRC2:TGID_X_EN: 1
; COMPUTE_PGM_RSRC2:TGID_Y_EN: 1
; COMPUTE_PGM_RSRC2:TGID_Z_EN: 1
; COMPUTE_PGM_RSRC2:TIDIG_COMP_CNT: 1
; COMPUTE_PGM_RSRC3_GFX90A:ACCUM_OFFSET: 19
; COMPUTE_PGM_RSRC3_GFX90A:TG_SPLIT: 0
	.section	.text._ZL58rocblas_symv_kernel_upper_double_buffered_diagonal_genericILi32ELi8E24rocblas_internal_val_ptrIdEPKPKdPKPdEvbiT1_lT2_lllSA_lllS9_lT3_lllii,"axG",@progbits,_ZL58rocblas_symv_kernel_upper_double_buffered_diagonal_genericILi32ELi8E24rocblas_internal_val_ptrIdEPKPKdPKPdEvbiT1_lT2_lllSA_lllS9_lT3_lllii,comdat
	.globl	_ZL58rocblas_symv_kernel_upper_double_buffered_diagonal_genericILi32ELi8E24rocblas_internal_val_ptrIdEPKPKdPKPdEvbiT1_lT2_lllSA_lllS9_lT3_lllii ; -- Begin function _ZL58rocblas_symv_kernel_upper_double_buffered_diagonal_genericILi32ELi8E24rocblas_internal_val_ptrIdEPKPKdPKPdEvbiT1_lT2_lllSA_lllS9_lT3_lllii
	.p2align	8
	.type	_ZL58rocblas_symv_kernel_upper_double_buffered_diagonal_genericILi32ELi8E24rocblas_internal_val_ptrIdEPKPKdPKPdEvbiT1_lT2_lllSA_lllS9_lT3_lllii,@function
_ZL58rocblas_symv_kernel_upper_double_buffered_diagonal_genericILi32ELi8E24rocblas_internal_val_ptrIdEPKPKdPKPdEvbiT1_lT2_lllSA_lllS9_lT3_lllii: ; @_ZL58rocblas_symv_kernel_upper_double_buffered_diagonal_genericILi32ELi8E24rocblas_internal_val_ptrIdEPKPKdPKPdEvbiT1_lT2_lllSA_lllS9_lT3_lllii
; %bb.0:
	s_load_dword s0, s[4:5], 0x0
	s_load_dwordx8 s[8:15], s[4:5], 0x8
	s_mov_b32 s18, s7
	s_waitcnt lgkmcnt(0)
	s_bitcmp1_b32 s0, 0
	s_load_dwordx2 s[16:17], s[4:5], 0x28
	s_load_dwordx4 s[0:3], s[4:5], 0x58
	s_cselect_b64 s[22:23], -1, 0
	s_xor_b64 s[20:21], s[22:23], -1
	s_and_b64 vcc, exec, s[22:23]
	v_pk_mov_b32 v[4:5], s[8:9], s[8:9] op_sel:[0,1]
	s_cbranch_vccnz .LBB157_2
; %bb.1:
	s_mul_i32 s7, s18, s11
	s_mul_hi_u32 s11, s18, s10
	s_add_i32 s11, s11, s7
	s_mul_i32 s10, s18, s10
	s_lshl_b64 s[10:11], s[10:11], 3
	s_add_u32 s8, s8, s10
	s_addc_u32 s9, s9, s11
	v_pk_mov_b32 v[2:3], s[8:9], s[8:9] op_sel:[0,1]
	flat_load_dwordx2 v[4:5], v[2:3]
.LBB157_2:
	s_andn2_b64 vcc, exec, s[20:21]
	s_waitcnt lgkmcnt(0)
	v_pk_mov_b32 v[2:3], s[0:1], s[0:1] op_sel:[0,1]
	s_cbranch_vccnz .LBB157_4
; %bb.3:
	s_mul_i32 s3, s18, s3
	s_mul_hi_u32 s7, s18, s2
	s_add_i32 s3, s7, s3
	s_mul_i32 s2, s18, s2
	s_lshl_b64 s[2:3], s[2:3], 3
	s_add_u32 s0, s0, s2
	s_addc_u32 s1, s1, s3
	v_pk_mov_b32 v[2:3], s[0:1], s[0:1] op_sel:[0,1]
	flat_load_dwordx2 v[2:3], v[2:3]
.LBB157_4:
	s_waitcnt vmcnt(0)
	v_cmp_neq_f64_e32 vcc, 0, v[4:5]
	s_waitcnt lgkmcnt(0)
	v_cmp_neq_f64_e64 s[0:1], 1.0, v[2:3]
	s_or_b64 s[0:1], vcc, s[0:1]
	s_and_saveexec_b64 s[2:3], s[0:1]
	s_cbranch_execz .LBB157_55
; %bb.5:
	v_cmp_neq_f64_e64 s[0:1], 0, v[4:5]
	v_cmp_eq_f64_e32 vcc, 0, v[4:5]
                                        ; implicit-def: $sgpr10_sgpr11
	s_and_saveexec_b64 s[2:3], vcc
	s_xor_b64 s[2:3], exec, s[2:3]
; %bb.6:
	s_mov_b32 s19, 0
	s_mov_b64 s[10:11], 0
; %bb.7:
	s_or_saveexec_b64 s[8:9], s[2:3]
	s_load_dwordx2 s[2:3], s[4:5], 0x68
	v_pk_mov_b32 v[10:11], s[18:19], s[18:19] op_sel:[0,1]
	v_pk_mov_b32 v[6:7], s[10:11], s[10:11] op_sel:[0,1]
	s_xor_b64 exec, exec, s[8:9]
	s_cbranch_execz .LBB157_9
; %bb.8:
	s_mov_b32 s19, 0
	s_lshl_b64 s[10:11], s[18:19], 3
	s_add_u32 s10, s12, s10
	s_addc_u32 s11, s13, s11
	s_load_dwordx2 s[10:11], s[10:11], 0x0
	s_lshl_b64 s[12:13], s[14:15], 3
	v_pk_mov_b32 v[10:11], s[18:19], s[18:19] op_sel:[0,1]
	s_waitcnt lgkmcnt(0)
	s_add_u32 s10, s10, s12
	s_addc_u32 s11, s11, s13
	v_pk_mov_b32 v[6:7], s[10:11], s[10:11] op_sel:[0,1]
.LBB157_9:
	s_or_b64 exec, exec, s[8:9]
	s_load_dwordx4 s[8:11], s[4:5], 0x38
	s_load_dwordx2 s[12:13], s[4:5], 0x48
	v_pk_mov_b32 v[8:9], 0, 0
	v_lshlrev_b64 v[10:11], 3, v[10:11]
	s_and_saveexec_b64 s[14:15], s[0:1]
	s_cbranch_execz .LBB157_11
; %bb.10:
	s_waitcnt lgkmcnt(0)
	v_mov_b32_e32 v1, s9
	v_add_co_u32_e64 v8, s[0:1], s8, v10
	v_addc_co_u32_e64 v9, s[0:1], v1, v11, s[0:1]
	global_load_dwordx2 v[8:9], v[8:9], off
	s_lshl_b64 s[0:1], s[10:11], 3
	v_mov_b32_e32 v1, s1
	s_waitcnt vmcnt(0)
	v_add_co_u32_e64 v8, s[0:1], s0, v8
	v_addc_co_u32_e64 v9, s[0:1], v9, v1, s[0:1]
.LBB157_11:
	s_or_b64 exec, exec, s[14:15]
	s_waitcnt lgkmcnt(0)
	v_mov_b32_e32 v1, s3
	v_add_co_u32_e64 v10, s[0:1], s2, v10
	v_addc_co_u32_e64 v11, s[0:1], v1, v11, s[0:1]
	global_load_dwordx2 v[10:11], v[10:11], off
	s_load_dwordx4 s[8:11], s[4:5], 0x70
	s_load_dword s7, s[4:5], 0x88
	s_lshl_b32 s22, s6, 5
	s_ashr_i32 s23, s22, 31
	v_and_b32_e32 v19, 0x3ff, v0
	s_waitcnt lgkmcnt(0)
	s_lshl_b64 s[0:1], s[8:9], 3
	s_mul_i32 s3, s22, s11
	s_mul_hi_u32 s8, s22, s10
	s_mul_i32 s9, s23, s10
	s_add_i32 s3, s8, s3
	s_mul_i32 s2, s22, s10
	s_add_i32 s3, s3, s9
	s_lshl_b64 s[2:3], s[2:3], 3
	s_add_u32 s0, s2, s0
	s_addc_u32 s1, s3, s1
	v_bfe_u32 v22, v0, 10, 10
	v_mov_b32_e32 v0, s1
	s_waitcnt vmcnt(0)
	v_add_co_u32_e64 v20, s[0:1], s0, v10
	v_addc_co_u32_e64 v21, s[0:1], v0, v11, s[0:1]
	s_and_saveexec_b64 s[0:1], vcc
	s_xor_b64 s[0:1], exec, s[0:1]
	s_cbranch_execz .LBB157_18
; %bb.12:
	v_cmp_eq_u32_e32 vcc, 0, v22
	s_and_saveexec_b64 s[2:3], vcc
	s_cbranch_execz .LBB157_17
; %bb.13:
	v_cmp_gt_i32_e64 s[8:9], s7, v19
	v_cmp_le_i32_e32 vcc, s7, v19
	s_and_saveexec_b64 s[14:15], vcc
	s_cbranch_execz .LBB157_15
; %bb.14:
	s_load_dword s18, s[4:5], 0x90
	s_waitcnt lgkmcnt(0)
	s_add_i32 s18, s18, -1
	s_cmp_lt_u32 s6, s18
	s_cselect_b64 s[18:19], -1, 0
	s_andn2_b64 s[8:9], s[8:9], exec
	s_and_b64 s[18:19], s[18:19], exec
	s_or_b64 s[8:9], s[8:9], s[18:19]
.LBB157_15:
	s_or_b64 exec, exec, s[14:15]
	s_and_b64 exec, exec, s[8:9]
	s_cbranch_execz .LBB157_17
; %bb.16:
	v_mad_u64_u32 v[0:1], s[8:9], v19, s10, 0
	v_mov_b32_e32 v4, v1
	v_mad_u64_u32 v[4:5], s[8:9], v19, s11, v[4:5]
	v_mov_b32_e32 v1, v4
	v_lshlrev_b64 v[0:1], 3, v[0:1]
	v_add_co_u32_e32 v0, vcc, v20, v0
	v_addc_co_u32_e32 v1, vcc, v21, v1, vcc
	global_load_dwordx2 v[4:5], v[0:1], off
	s_waitcnt vmcnt(0)
	v_mul_f64 v[2:3], v[2:3], v[4:5]
	global_store_dwordx2 v[0:1], v[2:3], off
.LBB157_17:
	s_or_b64 exec, exec, s[2:3]
                                        ; implicit-def: $vgpr22
                                        ; implicit-def: $vgpr19
                                        ; implicit-def: $vgpr2_vgpr3
                                        ; implicit-def: $vgpr4_vgpr5
                                        ; implicit-def: $vgpr20
                                        ; implicit-def: $vgpr21
                                        ; implicit-def: $vgpr6_vgpr7
                                        ; implicit-def: $vgpr8_vgpr9
.LBB157_18:
	s_andn2_saveexec_b64 s[0:1], s[0:1]
	s_cbranch_execz .LBB157_55
; %bb.19:
	v_cmp_ne_u32_e64 s[2:3], 0, v22
	v_cmp_eq_u32_e64 s[0:1], 0, v22
	v_pk_mov_b32 v[0:1], 0, 0
	s_and_saveexec_b64 s[8:9], s[0:1]
	s_cbranch_execz .LBB157_27
; %bb.20:
	v_cmp_gt_i32_e64 s[18:19], s7, v19
	v_cmp_le_i32_e32 vcc, s7, v19
                                        ; implicit-def: $sgpr14_sgpr15
	s_and_saveexec_b64 s[20:21], vcc
	s_cbranch_execz .LBB157_22
; %bb.21:
	s_load_dword s24, s[4:5], 0x90
	s_mov_b64 s[14:15], 0
	s_waitcnt lgkmcnt(0)
	s_add_i32 s24, s24, -1
	s_cmp_lt_u32 s6, s24
	s_cselect_b64 s[24:25], -1, 0
	s_andn2_b64 s[18:19], s[18:19], exec
	s_and_b64 s[24:25], s[24:25], exec
	s_or_b64 s[18:19], s[18:19], s[24:25]
.LBB157_22:
	s_or_b64 exec, exec, s[20:21]
	v_pk_mov_b32 v[0:1], s[14:15], s[14:15] op_sel:[0,1]
	s_and_saveexec_b64 s[14:15], s[18:19]
	s_cbranch_execz .LBB157_26
; %bb.23:
	s_mul_i32 s18, s22, s13
	s_mul_hi_u32 s19, s22, s12
	s_add_i32 s18, s19, s18
	s_mul_i32 s19, s23, s12
	s_add_i32 s19, s18, s19
	s_mul_i32 s18, s22, s12
	s_lshl_b64 s[18:19], s[18:19], 3
	v_mov_b32_e32 v0, s19
	v_add_co_u32_e32 v10, vcc, s18, v8
	v_addc_co_u32_e32 v11, vcc, v9, v0, vcc
	v_mad_u64_u32 v[0:1], s[18:19], v19, s12, 0
	v_mov_b32_e32 v8, v1
	v_mad_u64_u32 v[8:9], s[12:13], v19, s13, v[8:9]
	v_mov_b32_e32 v1, v8
	v_lshlrev_b64 v[0:1], 3, v[0:1]
	v_add_co_u32_e32 v0, vcc, v10, v0
	v_addc_co_u32_e32 v1, vcc, v11, v1, vcc
	flat_load_dwordx2 v[0:1], v[0:1]
	v_lshlrev_b32_e32 v8, 3, v19
	v_cmp_neq_f64_e32 vcc, 0, v[2:3]
	s_waitcnt vmcnt(0) lgkmcnt(0)
	ds_write_b64 v8, v[0:1] offset:12288
	v_pk_mov_b32 v[0:1], 0, 0
	s_and_saveexec_b64 s[12:13], vcc
	s_cbranch_execz .LBB157_25
; %bb.24:
	v_mad_u64_u32 v[0:1], s[18:19], v19, s10, 0
	v_mov_b32_e32 v8, v1
	v_mad_u64_u32 v[8:9], s[18:19], v19, s11, v[8:9]
	v_mov_b32_e32 v1, v8
	v_lshlrev_b64 v[0:1], 3, v[0:1]
	v_add_co_u32_e32 v0, vcc, v20, v0
	v_addc_co_u32_e32 v1, vcc, v21, v1, vcc
	global_load_dwordx2 v[0:1], v[0:1], off
	s_waitcnt vmcnt(0)
	v_mul_f64 v[0:1], v[2:3], v[0:1]
.LBB157_25:
	s_or_b64 exec, exec, s[12:13]
.LBB157_26:
	s_or_b64 exec, exec, s[14:15]
.LBB157_27:
	s_or_b64 exec, exec, s[8:9]
	s_add_u32 s8, s16, 1
	s_addc_u32 s9, s17, 0
	s_mul_i32 s12, s8, s23
	s_mul_hi_u32 s13, s8, s22
	s_add_i32 s12, s13, s12
	s_mul_i32 s9, s9, s22
	s_add_i32 s9, s12, s9
	s_mul_i32 s8, s8, s22
	s_lshl_b64 s[8:9], s[8:9], 3
	v_mov_b32_e32 v8, s9
	v_add_co_u32_e32 v12, vcc, s8, v6
	v_addc_co_u32_e32 v13, vcc, v7, v8, vcc
	v_mad_u64_u32 v[8:9], s[12:13], v22, s16, 0
	v_mov_b32_e32 v10, v9
	v_mad_u64_u32 v[10:11], s[12:13], v22, s17, v[10:11]
	s_load_dword s14, s[4:5], 0x90
	v_mov_b32_e32 v9, v10
	v_lshlrev_b64 v[8:9], 3, v[8:9]
	v_add_co_u32_e32 v12, vcc, v12, v8
	v_addc_co_u32_e32 v9, vcc, v13, v9, vcc
	v_lshlrev_b32_e32 v8, 3, v19
	v_add_co_u32_e32 v10, vcc, v12, v8
	v_lshl_add_u32 v25, v22, 5, v19
	s_waitcnt lgkmcnt(0)
	s_add_i32 s14, s14, -1
	v_addc_co_u32_e32 v11, vcc, 0, v9, vcc
	s_cmp_eq_u32 s6, s14
	v_lshlrev_b32_e32 v23, 3, v25
	v_add_u32_e32 v24, 16, v22
	s_cbranch_scc1 .LBB157_30
; %bb.28:
	flat_load_dwordx2 v[14:15], v[10:11]
	s_lshl_b64 s[4:5], s[16:17], 6
	v_lshlrev_b32_e32 v13, 3, v25
	v_mov_b32_e32 v18, s5
	v_add_co_u32_e32 v16, vcc, s4, v10
	v_addc_co_u32_e32 v17, vcc, v11, v18, vcc
	s_mul_i32 s15, s17, 0xc0
	s_waitcnt vmcnt(0) lgkmcnt(0)
	ds_write_b64 v13, v[14:15]
	flat_load_dwordx2 v[14:15], v[16:17]
	v_add_co_u32_e32 v16, vcc, s4, v16
	v_addc_co_u32_e32 v17, vcc, v17, v18, vcc
	s_waitcnt vmcnt(0) lgkmcnt(0)
	ds_write_b64 v13, v[14:15] offset:2048
	flat_load_dwordx2 v[26:27], v[16:17]
	v_add_u32_e32 v16, 16, v22
	v_mov_b32_e32 v14, 0xc0
	v_lshlrev_b32_e32 v17, 5, v16
	v_mad_u64_u32 v[14:15], s[4:5], s16, v14, v[10:11]
	v_add_u32_e32 v13, 0x300, v25
	v_add_lshl_u32 v17, v17, v19, 3
	v_add_u32_e32 v15, s15, v15
	s_mov_b64 s[4:5], -1
	s_waitcnt vmcnt(0) lgkmcnt(0)
	ds_write_b64 v17, v[26:27]
	s_cbranch_execz .LBB157_31
; %bb.29:
                                        ; implicit-def: $vgpr24
	s_and_saveexec_b64 s[2:3], s[4:5]
	s_cbranch_execnz .LBB157_45
	s_branch .LBB157_46
.LBB157_30:
	s_mov_b64 s[4:5], 0
                                        ; implicit-def: $vgpr16
                                        ; implicit-def: $vgpr14_vgpr15
                                        ; implicit-def: $vgpr13
.LBB157_31:
	s_mov_b32 s12, 0
	v_cmp_gt_i32_e32 vcc, s7, v19
	s_mov_b32 s13, s12
	v_lshlrev_b32_e32 v13, 5, v24
	s_or_b64 s[2:3], s[2:3], vcc
	v_pk_mov_b32 v[14:15], s[12:13], s[12:13] op_sel:[0,1]
	v_add_lshl_u32 v13, v13, v19, 3
	s_xor_b64 s[12:13], s[2:3], -1
	ds_write2st64_b64 v23, v[14:15], v[14:15] offset1:4
	ds_write_b64 v13, v[14:15]
	ds_write_b64 v23, v[14:15] offset:6144
	s_and_saveexec_b64 s[2:3], s[12:13]
	s_cbranch_execz .LBB157_33
; %bb.32:
	v_mov_b32_e32 v14, 0
	v_mov_b32_e32 v15, v14
	ds_write_b64 v8, v[14:15] offset:12288
.LBB157_33:
	s_or_b64 exec, exec, s[2:3]
                                        ; implicit-def: $vgpr16
                                        ; implicit-def: $vgpr14_vgpr15
                                        ; implicit-def: $vgpr13
	s_and_saveexec_b64 s[2:3], vcc
	s_cbranch_execz .LBB157_44
; %bb.34:
	s_cmp_lt_u32 s7, 8
	s_mov_b32 s15, 0
	s_cbranch_scc1 .LBB157_41
; %bb.35:
	s_lshr_b32 s15, s7, 3
	s_add_i32 s12, s15, -1
	s_cmp_lt_u32 s12, 3
	s_mov_b32 s18, 0
	s_cbranch_scc1 .LBB157_38
; %bb.36:
	v_lshlrev_b32_e32 v30, 3, v22
	v_add_u32_e32 v13, 0xc0, v30
	v_pk_mov_b32 v[26:27], s[8:9], s[8:9] op_sel:[0,1]
	v_mad_u64_u32 v[14:15], s[12:13], s16, v13, v[26:27]
	v_mov_b32_e32 v16, v15
	v_mad_u64_u32 v[16:17], s[12:13], s17, v13, v[16:17]
	v_add_u32_e32 v15, 0x80, v30
	v_mov_b32_e32 v13, v16
	v_mad_u64_u32 v[16:17], s[20:21], s16, v15, v[26:27]
	v_add_co_u32_e32 v14, vcc, v6, v14
	v_mov_b32_e32 v18, v17
	v_add_u32_e32 v17, 64, v30
	v_addc_co_u32_e32 v13, vcc, v7, v13, vcc
	v_mad_u64_u32 v[28:29], s[20:21], s17, v15, v[18:19]
	v_mad_u64_u32 v[26:27], s[20:21], s16, v17, v[26:27]
	v_mov_b32_e32 v15, v28
	v_add_co_u32_e32 v16, vcc, v6, v16
	v_mov_b32_e32 v18, v27
	v_addc_co_u32_e32 v15, vcc, v7, v15, vcc
	v_mad_u64_u32 v[28:29], s[20:21], s17, v17, v[18:19]
	s_lshl_b64 s[12:13], s[16:17], 8
	v_mov_b32_e32 v17, v28
	v_add_co_u32_e32 v18, vcc, v6, v26
	s_and_b32 s18, s15, 0x1ffffffc
	v_addc_co_u32_e32 v17, vcc, v7, v17, vcc
	s_mov_b32 s19, 0
	v_mov_b32_e32 v26, s13
	v_mov_b32_e32 v27, v23
.LBB157_37:                             ; =>This Inner Loop Header: Depth=1
	v_add_co_u32_e32 v28, vcc, v12, v8
	v_addc_co_u32_e32 v29, vcc, 0, v9, vcc
	flat_load_dwordx2 v[28:29], v[28:29]
	v_add_co_u32_e32 v30, vcc, v18, v8
	v_addc_co_u32_e32 v31, vcc, 0, v17, vcc
	s_add_i32 s19, s19, 4
	s_cmp_lg_u32 s18, s19
	s_waitcnt vmcnt(0) lgkmcnt(0)
	ds_write_b64 v27, v[28:29]
	flat_load_dwordx2 v[28:29], v[30:31]
	v_add_co_u32_e32 v30, vcc, v16, v8
	v_addc_co_u32_e32 v31, vcc, 0, v15, vcc
	s_waitcnt vmcnt(0) lgkmcnt(0)
	ds_write_b64 v27, v[28:29] offset:2048
	flat_load_dwordx2 v[28:29], v[30:31]
	v_add_co_u32_e32 v30, vcc, v14, v8
	v_addc_co_u32_e32 v31, vcc, 0, v13, vcc
	v_add_co_u32_e32 v14, vcc, s12, v14
	v_addc_co_u32_e32 v13, vcc, v13, v26, vcc
	;; [unrolled: 2-line block ×5, first 2 shown]
	s_waitcnt vmcnt(0) lgkmcnt(0)
	ds_write_b64 v27, v[28:29] offset:4096
	flat_load_dwordx2 v[28:29], v[30:31]
	s_waitcnt vmcnt(0) lgkmcnt(0)
	ds_write_b64 v27, v[28:29] offset:6144
	v_add_u32_e32 v27, 0x2000, v27
	s_cbranch_scc1 .LBB157_37
.LBB157_38:
	s_bfe_u32 s19, s7, 0x20003
	s_cmp_eq_u32 s19, 0
	s_mov_b32 s13, 0
	s_cbranch_scc1 .LBB157_41
; %bb.39:
	s_lshl_b32 s12, s18, 11
	v_lshlrev_b32_e32 v9, 8, v22
	v_add3_u32 v9, s12, v9, v8
	s_lshl_b32 s12, s18, 3
	v_lshlrev_b32_e32 v12, 3, v22
	s_lshl_b64 s[12:13], s[12:13], 3
	v_mov_b32_e32 v13, s13
	v_add_co_u32_e32 v14, vcc, s12, v12
	v_addc_co_u32_e32 v12, vcc, 0, v13, vcc
	v_mul_lo_u32 v15, s16, v12
	v_pk_mov_b32 v[12:13], s[8:9], s[8:9] op_sel:[0,1]
	v_mul_lo_u32 v16, s17, v14
	v_mad_u64_u32 v[12:13], s[8:9], s16, v14, v[12:13]
	v_add3_u32 v13, v16, v13, v15
	v_add_co_u32_e32 v12, vcc, v12, v8
	v_addc_co_u32_e32 v13, vcc, 0, v13, vcc
	v_add_co_u32_e32 v6, vcc, v6, v12
	s_lshl_b64 s[8:9], s[16:17], 6
	v_addc_co_u32_e32 v7, vcc, v7, v13, vcc
	v_mov_b32_e32 v12, s9
.LBB157_40:                             ; =>This Inner Loop Header: Depth=1
	flat_load_dwordx2 v[14:15], v[6:7]
	v_add_co_u32_e32 v6, vcc, s8, v6
	s_add_i32 s19, s19, -1
	v_addc_co_u32_e32 v7, vcc, v7, v12, vcc
	s_cmp_lg_u32 s19, 0
	s_waitcnt vmcnt(0) lgkmcnt(0)
	ds_write_b64 v9, v[14:15]
	v_add_u32_e32 v9, 0x800, v9
	s_cbranch_scc1 .LBB157_40
.LBB157_41:
	s_and_b32 s8, s7, 7
	v_cmp_gt_u32_e32 vcc, s8, v22
	s_mov_b64 s[12:13], s[4:5]
                                        ; implicit-def: $vgpr14_vgpr15
                                        ; implicit-def: $vgpr13
	s_and_saveexec_b64 s[8:9], vcc
; %bb.42:
	s_lshl_b32 s12, s15, 3
	s_mul_i32 s13, s12, s17
	s_mul_hi_u32 s17, s12, s16
	s_add_i32 s13, s17, s13
	s_mul_i32 s12, s12, s16
	s_lshl_b64 s[12:13], s[12:13], 3
	v_mov_b32_e32 v6, s13
	v_add_co_u32_e32 v14, vcc, s12, v10
	v_addc_co_u32_e32 v15, vcc, v11, v6, vcc
	v_lshl_add_u32 v13, s15, 8, v25
	s_or_b64 s[12:13], s[4:5], exec
; %bb.43:
	s_or_b64 exec, exec, s[8:9]
	s_andn2_b64 s[4:5], s[4:5], exec
	s_and_b64 s[8:9], s[12:13], exec
	s_or_b64 s[4:5], s[4:5], s[8:9]
	v_mov_b32_e32 v16, v24
.LBB157_44:
	s_or_b64 exec, exec, s[2:3]
	s_and_saveexec_b64 s[2:3], s[4:5]
	s_cbranch_execz .LBB157_46
.LBB157_45:
	flat_load_dwordx2 v[6:7], v[14:15]
	v_lshlrev_b32_e32 v9, 3, v13
	v_mov_b32_e32 v24, v16
	s_waitcnt vmcnt(0) lgkmcnt(0)
	ds_write_b64 v9, v[6:7]
.LBB157_46:
	s_or_b64 exec, exec, s[2:3]
	v_sub_u32_e32 v6, v19, v22
	v_sub_u32_e32 v7, 0, v6
	v_max_i32_e32 v9, v6, v7
	v_lshlrev_b32_e32 v7, 5, v19
	v_add_u32_e32 v10, v24, v7
	v_cmp_lt_u32_e32 vcc, 16, v9
	v_lshlrev_b32_e32 v6, 5, v24
	v_lshlrev_b32_e32 v10, 3, v10
	s_waitcnt lgkmcnt(0)
	s_barrier
	s_and_saveexec_b64 s[2:3], vcc
	s_cbranch_execnz .LBB157_56
; %bb.47:
	s_or_b64 exec, exec, s[2:3]
	v_cmp_lt_u32_e32 vcc, 24, v9
	s_and_saveexec_b64 s[2:3], vcc
	s_cbranch_execnz .LBB157_57
.LBB157_48:
	s_or_b64 exec, exec, s[2:3]
	v_cmp_ge_u32_e32 vcc, v19, v22
	s_and_saveexec_b64 s[2:3], vcc
	s_cbranch_execz .LBB157_50
.LBB157_49:
	v_add_lshl_u32 v10, v7, v22, 3
	ds_read_b64 v[10:11], v10
	s_waitcnt lgkmcnt(0)
	ds_write_b64 v23, v[10:11]
.LBB157_50:
	s_or_b64 exec, exec, s[2:3]
	v_cmp_lt_u32_e32 vcc, 8, v9
	v_lshlrev_b32_e32 v9, 5, v22
	s_movk_i32 s2, 0x100
	v_add3_u32 v10, v9, v19, s2
	v_lshlrev_b32_e32 v10, 3, v10
	s_and_saveexec_b64 s[2:3], vcc
	s_cbranch_execz .LBB157_52
; %bb.51:
	v_add_lshl_u32 v7, v22, v7, 3
	ds_read_b64 v[12:13], v7 offset:64
	s_waitcnt lgkmcnt(0)
	ds_write_b64 v10, v[12:13]
.LBB157_52:
	s_or_b64 exec, exec, s[2:3]
	v_lshlrev_b32_e32 v18, 3, v22
	v_add_u32_e32 v7, 0x3000, v18
	s_waitcnt lgkmcnt(0)
	s_barrier
	ds_read2_b64 v[12:15], v7 offset1:8
	ds_read_b64 v[16:17], v23
	ds_read_b64 v[10:11], v10
	v_add_lshl_u32 v22, v6, v19, 3
	v_lshlrev_b32_e32 v6, 3, v24
	v_add_lshl_u32 v9, v9, v19, 3
	ds_read_b64 v[6:7], v6 offset:12288
	ds_read_b64 v[24:25], v9 offset:6144
	ds_read_b64 v[26:27], v22
	ds_read_b64 v[28:29], v18 offset:12480
	s_waitcnt lgkmcnt(5)
	v_fma_f64 v[12:13], v[16:17], v[12:13], 0
	s_waitcnt lgkmcnt(4)
	v_fmac_f64_e32 v[12:13], v[10:11], v[14:15]
	s_waitcnt lgkmcnt(1)
	v_fmac_f64_e32 v[12:13], v[26:27], v[6:7]
	;; [unrolled: 2-line block ×3, first 2 shown]
	ds_write_b64 v23, v[12:13] offset:8192
	s_waitcnt lgkmcnt(0)
	s_barrier
	s_and_saveexec_b64 s[2:3], s[0:1]
	s_cbranch_execz .LBB157_55
; %bb.53:
	s_cmp_lt_u32 s6, s14
	v_cmp_gt_i32_e32 vcc, s7, v19
	s_cselect_b64 s[0:1], -1, 0
	s_or_b64 s[0:1], vcc, s[0:1]
	s_and_b64 exec, exec, s[0:1]
	s_cbranch_execz .LBB157_55
; %bb.54:
	v_add_u32_e32 v18, 0x2000, v8
	ds_read2_b64 v[6:9], v18 offset1:32
	ds_read2_b64 v[10:13], v18 offset0:64 offset1:96
	ds_read2_b64 v[14:17], v18 offset0:128 offset1:160
	;; [unrolled: 1-line block ×3, first 2 shown]
	v_cmp_neq_f64_e32 vcc, 0, v[2:3]
	s_waitcnt lgkmcnt(3)
	v_add_f64 v[6:7], v[6:7], 0
	v_add_f64 v[6:7], v[6:7], v[8:9]
	s_waitcnt lgkmcnt(2)
	v_add_f64 v[6:7], v[6:7], v[10:11]
	v_add_f64 v[6:7], v[6:7], v[12:13]
	;; [unrolled: 3-line block ×4, first 2 shown]
	v_mad_u64_u32 v[2:3], s[0:1], v19, s10, 0
	v_mul_f64 v[8:9], v[4:5], v[6:7]
	v_fmac_f64_e32 v[0:1], v[4:5], v[6:7]
	v_mov_b32_e32 v4, v3
	v_mad_u64_u32 v[4:5], s[0:1], v19, s11, v[4:5]
	v_mov_b32_e32 v3, v4
	v_lshlrev_b64 v[2:3], 3, v[2:3]
	v_cndmask_b32_e32 v1, v9, v1, vcc
	v_cndmask_b32_e32 v0, v8, v0, vcc
	v_add_co_u32_e32 v2, vcc, v20, v2
	v_addc_co_u32_e32 v3, vcc, v21, v3, vcc
	global_store_dwordx2 v[2:3], v[0:1], off
.LBB157_55:
	s_endpgm
.LBB157_56:
	ds_read_b64 v[12:13], v10
	v_add_lshl_u32 v11, v6, v19, 3
	s_waitcnt lgkmcnt(0)
	ds_write_b64 v11, v[12:13]
	s_or_b64 exec, exec, s[2:3]
	v_cmp_lt_u32_e32 vcc, 24, v9
	s_and_saveexec_b64 s[2:3], vcc
	s_cbranch_execz .LBB157_48
.LBB157_57:
	ds_read_b64 v[10:11], v10 offset:64
	s_waitcnt lgkmcnt(0)
	ds_write_b64 v23, v[10:11] offset:6144
	s_or_b64 exec, exec, s[2:3]
	v_cmp_ge_u32_e32 vcc, v19, v22
	s_and_saveexec_b64 s[2:3], vcc
	s_cbranch_execnz .LBB157_49
	s_branch .LBB157_50
	.section	.rodata,"a",@progbits
	.p2align	6, 0x0
	.amdhsa_kernel _ZL58rocblas_symv_kernel_upper_double_buffered_diagonal_genericILi32ELi8E24rocblas_internal_val_ptrIdEPKPKdPKPdEvbiT1_lT2_lllSA_lllS9_lT3_lllii
		.amdhsa_group_segment_fixed_size 12544
		.amdhsa_private_segment_fixed_size 0
		.amdhsa_kernarg_size 400
		.amdhsa_user_sgpr_count 6
		.amdhsa_user_sgpr_private_segment_buffer 1
		.amdhsa_user_sgpr_dispatch_ptr 0
		.amdhsa_user_sgpr_queue_ptr 0
		.amdhsa_user_sgpr_kernarg_segment_ptr 1
		.amdhsa_user_sgpr_dispatch_id 0
		.amdhsa_user_sgpr_flat_scratch_init 0
		.amdhsa_user_sgpr_kernarg_preload_length 0
		.amdhsa_user_sgpr_kernarg_preload_offset 0
		.amdhsa_user_sgpr_private_segment_size 0
		.amdhsa_uses_dynamic_stack 0
		.amdhsa_system_sgpr_private_segment_wavefront_offset 0
		.amdhsa_system_sgpr_workgroup_id_x 1
		.amdhsa_system_sgpr_workgroup_id_y 0
		.amdhsa_system_sgpr_workgroup_id_z 1
		.amdhsa_system_sgpr_workgroup_info 0
		.amdhsa_system_vgpr_workitem_id 1
		.amdhsa_next_free_vgpr 32
		.amdhsa_next_free_sgpr 26
		.amdhsa_accum_offset 32
		.amdhsa_reserve_vcc 1
		.amdhsa_reserve_flat_scratch 0
		.amdhsa_float_round_mode_32 0
		.amdhsa_float_round_mode_16_64 0
		.amdhsa_float_denorm_mode_32 3
		.amdhsa_float_denorm_mode_16_64 3
		.amdhsa_dx10_clamp 1
		.amdhsa_ieee_mode 1
		.amdhsa_fp16_overflow 0
		.amdhsa_tg_split 0
		.amdhsa_exception_fp_ieee_invalid_op 0
		.amdhsa_exception_fp_denorm_src 0
		.amdhsa_exception_fp_ieee_div_zero 0
		.amdhsa_exception_fp_ieee_overflow 0
		.amdhsa_exception_fp_ieee_underflow 0
		.amdhsa_exception_fp_ieee_inexact 0
		.amdhsa_exception_int_div_zero 0
	.end_amdhsa_kernel
	.section	.text._ZL58rocblas_symv_kernel_upper_double_buffered_diagonal_genericILi32ELi8E24rocblas_internal_val_ptrIdEPKPKdPKPdEvbiT1_lT2_lllSA_lllS9_lT3_lllii,"axG",@progbits,_ZL58rocblas_symv_kernel_upper_double_buffered_diagonal_genericILi32ELi8E24rocblas_internal_val_ptrIdEPKPKdPKPdEvbiT1_lT2_lllSA_lllS9_lT3_lllii,comdat
.Lfunc_end157:
	.size	_ZL58rocblas_symv_kernel_upper_double_buffered_diagonal_genericILi32ELi8E24rocblas_internal_val_ptrIdEPKPKdPKPdEvbiT1_lT2_lllSA_lllS9_lT3_lllii, .Lfunc_end157-_ZL58rocblas_symv_kernel_upper_double_buffered_diagonal_genericILi32ELi8E24rocblas_internal_val_ptrIdEPKPKdPKPdEvbiT1_lT2_lllSA_lllS9_lT3_lllii
                                        ; -- End function
	.section	.AMDGPU.csdata,"",@progbits
; Kernel info:
; codeLenInByte = 2744
; NumSgprs: 30
; NumVgprs: 32
; NumAgprs: 0
; TotalNumVgprs: 32
; ScratchSize: 0
; MemoryBound: 0
; FloatMode: 240
; IeeeMode: 1
; LDSByteSize: 12544 bytes/workgroup (compile time only)
; SGPRBlocks: 3
; VGPRBlocks: 3
; NumSGPRsForWavesPerEU: 30
; NumVGPRsForWavesPerEU: 32
; AccumOffset: 32
; Occupancy: 5
; WaveLimiterHint : 1
; COMPUTE_PGM_RSRC2:SCRATCH_EN: 0
; COMPUTE_PGM_RSRC2:USER_SGPR: 6
; COMPUTE_PGM_RSRC2:TRAP_HANDLER: 0
; COMPUTE_PGM_RSRC2:TGID_X_EN: 1
; COMPUTE_PGM_RSRC2:TGID_Y_EN: 0
; COMPUTE_PGM_RSRC2:TGID_Z_EN: 1
; COMPUTE_PGM_RSRC2:TIDIG_COMP_CNT: 1
; COMPUTE_PGM_RSRC3_GFX90A:ACCUM_OFFSET: 7
; COMPUTE_PGM_RSRC3_GFX90A:TG_SPLIT: 0
	.section	.text._ZL62rocblas_symv_kernel_upper_double_buffered_non_diagonal_genericILi32ELi8ELi2ELi0E24rocblas_internal_val_ptrIdEPKPKdPKPdEvbiT3_lT4_lllSA_lllT5_lllii,"axG",@progbits,_ZL62rocblas_symv_kernel_upper_double_buffered_non_diagonal_genericILi32ELi8ELi2ELi0E24rocblas_internal_val_ptrIdEPKPKdPKPdEvbiT3_lT4_lllSA_lllT5_lllii,comdat
	.globl	_ZL62rocblas_symv_kernel_upper_double_buffered_non_diagonal_genericILi32ELi8ELi2ELi0E24rocblas_internal_val_ptrIdEPKPKdPKPdEvbiT3_lT4_lllSA_lllT5_lllii ; -- Begin function _ZL62rocblas_symv_kernel_upper_double_buffered_non_diagonal_genericILi32ELi8ELi2ELi0E24rocblas_internal_val_ptrIdEPKPKdPKPdEvbiT3_lT4_lllSA_lllT5_lllii
	.p2align	8
	.type	_ZL62rocblas_symv_kernel_upper_double_buffered_non_diagonal_genericILi32ELi8ELi2ELi0E24rocblas_internal_val_ptrIdEPKPKdPKPdEvbiT3_lT4_lllSA_lllT5_lllii,@function
_ZL62rocblas_symv_kernel_upper_double_buffered_non_diagonal_genericILi32ELi8ELi2ELi0E24rocblas_internal_val_ptrIdEPKPKdPKPdEvbiT3_lT4_lllSA_lllT5_lllii: ; @_ZL62rocblas_symv_kernel_upper_double_buffered_non_diagonal_genericILi32ELi8ELi2ELi0E24rocblas_internal_val_ptrIdEPKPKdPKPdEvbiT3_lT4_lllSA_lllT5_lllii
; %bb.0:
	s_load_dword s0, s[4:5], 0x0
	s_load_dwordx8 s[12:19], s[4:5], 0x8
	s_load_dwordx2 s[20:21], s[4:5], 0x28
	s_waitcnt lgkmcnt(0)
	s_bitcmp1_b32 s0, 0
	s_cselect_b64 s[0:1], -1, 0
	s_and_b64 vcc, exec, s[0:1]
	v_pk_mov_b32 v[12:13], s[12:13], s[12:13] op_sel:[0,1]
	s_cbranch_vccnz .LBB158_2
; %bb.1:
	s_mul_i32 s0, s8, s15
	s_mul_hi_u32 s1, s8, s14
	s_add_i32 s1, s1, s0
	s_mul_i32 s0, s8, s14
	s_lshl_b64 s[0:1], s[0:1], 3
	s_add_u32 s0, s12, s0
	s_addc_u32 s1, s13, s1
	v_pk_mov_b32 v[2:3], s[0:1], s[0:1] op_sel:[0,1]
	flat_load_dwordx2 v[12:13], v[2:3]
.LBB158_2:
	s_waitcnt vmcnt(0) lgkmcnt(0)
	v_cmp_neq_f64_e32 vcc, 0, v[12:13]
	s_and_saveexec_b64 s[0:1], vcc
	s_cbranch_execz .LBB158_40
; %bb.3:
	s_load_dword s14, s[4:5], 0x84
	s_add_u32 s10, s4, 0x80
	s_addc_u32 s11, s5, 0
	s_mov_b32 s9, 0
	s_cmp_eq_u32 s6, 0
	s_waitcnt lgkmcnt(0)
	v_cvt_f32_u32_e32 v1, s14
	v_rcp_iflag_f32_e32 v1, v1
	v_mul_f32_e32 v1, 0x4f7ffffe, v1
	v_cvt_u32_f32_e32 v1, v1
	v_readfirstlane_b32 s0, v1
	s_cbranch_scc1 .LBB158_40
; %bb.4:
	s_sub_i32 s1, 0, s14
	s_mul_i32 s1, s1, s0
	s_mul_hi_u32 s1, s0, s1
	s_add_i32 s12, s0, s1
	s_load_dwordx2 s[22:23], s[4:5], 0x58
	s_load_dwordx4 s[0:3], s[4:5], 0x38
	s_lshl_b64 s[8:9], s[8:9], 3
	s_mul_hi_u32 s15, s6, s12
	s_add_u32 s12, s16, s8
	s_addc_u32 s13, s17, s9
	s_waitcnt lgkmcnt(0)
	s_add_u32 s0, s0, s8
	s_addc_u32 s1, s1, s9
	s_add_u32 s16, s22, s8
	s_mul_i32 s8, s15, s14
	s_addc_u32 s17, s23, s9
	s_sub_i32 s8, s6, s8
	s_add_i32 s9, s15, 1
	s_sub_i32 s22, s8, s14
	s_cmp_ge_u32 s8, s14
	s_cselect_b32 s9, s9, s15
	s_cselect_b32 s8, s22, s8
	s_add_i32 s15, s9, 1
	s_cmp_ge_u32 s8, s14
	s_cselect_b32 s27, s15, s9
	s_add_i32 s8, s14, -1
	s_cmp_lg_u32 s7, s8
	s_mov_b32 s22, s27
	s_cbranch_scc1 .LBB158_6
; %bb.5:
	s_mul_i32 s8, s27, s14
	s_sub_i32 s8, s6, s8
	s_add_i32 s22, s8, s27
.LBB158_6:
	s_cmp_eq_u32 s22, 0
	s_cbranch_scc1 .LBB158_40
; %bb.7:
	s_load_dwordx2 s[24:25], s[0:1], 0x0
	s_load_dwordx2 s[8:9], s[12:13], 0x0
	;; [unrolled: 1-line block ×3, first 2 shown]
	s_lshl_b64 s[0:1], s[2:3], 3
	s_load_dwordx2 s[12:13], s[4:5], 0x48
	s_waitcnt lgkmcnt(0)
	s_add_u32 s28, s24, s0
	s_addc_u32 s29, s25, s1
	s_load_dword s25, s[4:5], 0x78
	s_lshl_b32 s23, s6, 5
	s_ashr_i32 s24, s23, 31
	s_mul_i32 s0, s23, s13
	s_mul_hi_u32 s1, s23, s12
	s_load_dword s26, s[10:11], 0x0
	s_add_i32 s0, s1, s0
	s_mul_i32 s1, s24, s12
	s_add_i32 s1, s0, s1
	s_mul_i32 s0, s23, s12
	s_lshl_b64 s[0:1], s[0:1], 3
	s_add_u32 s30, s28, s0
	s_addc_u32 s31, s29, s1
	s_waitcnt lgkmcnt(0)
	s_add_i32 s26, s26, -1
	v_and_b32_e32 v46, 0x3ff, v0
	v_bfe_u32 v0, v0, 10, 10
	s_cmp_lg_u32 s6, s26
	v_lshl_add_u32 v1, v0, 5, v46
	s_cselect_b64 s[2:3], -1, 0
	v_and_b32_e32 v14, 15, v46
	v_lshrrev_b32_e32 v6, 4, v1
	v_cmp_eq_u32_e64 s[0:1], 0, v0
	s_mov_b64 s[10:11], -1
	s_and_b64 vcc, exec, s[2:3]
	s_cbranch_vccnz .LBB158_13
; %bb.8:
	s_and_saveexec_b64 s[10:11], s[0:1]
	s_cbranch_execz .LBB158_12
; %bb.9:
	v_cmp_gt_i32_e32 vcc, s25, v46
	v_pk_mov_b32 v[0:1], 0, 0
	s_and_saveexec_b64 s[16:17], vcc
	s_cbranch_execz .LBB158_11
; %bb.10:
	v_mad_u64_u32 v[0:1], s[34:35], v46, s12, 0
	v_mov_b32_e32 v2, v1
	v_mad_u64_u32 v[2:3], s[34:35], v46, s13, v[2:3]
	v_mov_b32_e32 v1, v2
	v_lshlrev_b64 v[0:1], 3, v[0:1]
	v_mov_b32_e32 v2, s31
	v_add_co_u32_e32 v0, vcc, s30, v0
	v_addc_co_u32_e32 v1, vcc, v2, v1, vcc
	global_load_dwordx2 v[0:1], v[0:1], off
.LBB158_11:
	s_or_b64 exec, exec, s[16:17]
	v_lshlrev_b32_e32 v2, 3, v46
	s_waitcnt vmcnt(0)
	ds_write_b64 v2, v[0:1] offset:8192
.LBB158_12:
	s_or_b64 exec, exec, s[10:11]
	s_mov_b32 s10, 0
	v_lshlrev_b32_e32 v0, 3, v14
	s_mov_b32 s11, s10
	v_lshl_or_b32 v2, v6, 8, v0
	v_pk_mov_b32 v[0:1], s[10:11], s[10:11] op_sel:[0,1]
	ds_write2_b64 v2, v[0:1], v[0:1] offset1:16
	v_add_u32_e32 v2, 0x1000, v2
	s_mov_b64 s[10:11], 0
	ds_write2_b64 v2, v[0:1], v[0:1] offset1:16
.LBB158_13:
	s_and_b64 vcc, exec, s[10:11]
	s_cbranch_vccz .LBB158_17
; %bb.14:
	s_and_saveexec_b64 s[10:11], s[0:1]
	s_cbranch_execz .LBB158_16
; %bb.15:
	v_mad_u64_u32 v[0:1], s[16:17], v46, s12, 0
	v_mov_b32_e32 v2, v1
	v_mad_u64_u32 v[2:3], s[16:17], v46, s13, v[2:3]
	v_mov_b32_e32 v1, v2
	v_lshlrev_b64 v[0:1], 3, v[0:1]
	v_mov_b32_e32 v2, s31
	v_add_co_u32_e32 v0, vcc, s30, v0
	v_addc_co_u32_e32 v1, vcc, v2, v1, vcc
	global_load_dwordx2 v[0:1], v[0:1], off
	v_lshlrev_b32_e32 v2, 3, v46
	s_waitcnt vmcnt(0)
	ds_write_b64 v2, v[0:1] offset:8192
.LBB158_16:
	s_or_b64 exec, exec, s[10:11]
.LBB158_17:
	s_lshr_b32 s10, s25, 31
	s_add_i32 s10, s25, s10
	s_ashr_i32 s30, s10, 1
	s_lshl_b64 s[10:11], s[18:19], 3
	s_add_u32 s10, s8, s10
	s_addc_u32 s11, s9, s11
	s_mul_i32 s8, s23, s21
	s_mul_hi_u32 s9, s23, s20
	s_add_i32 s8, s9, s8
	s_mul_i32 s9, s24, s20
	s_add_i32 s9, s8, s9
	s_mul_i32 s8, s23, s20
	s_lshl_b64 s[8:9], s[8:9], 3
	s_add_u32 s10, s10, s8
	s_mul_i32 s7, s7, s27
	s_addc_u32 s11, s11, s9
	s_lshl_b32 s16, s7, 5
	s_ashr_i32 s17, s16, 31
	s_lshl_b64 s[8:9], s[16:17], 3
	s_add_u32 s7, s10, s8
	v_lshlrev_b32_e32 v7, 1, v6
	v_mov_b32_e32 v15, 0
	s_addc_u32 s18, s11, s9
	v_mad_u64_u32 v[4:5], s[8:9], v7, s20, v[14:15]
	v_mov_b32_e32 v0, v5
	v_mad_u64_u32 v[0:1], s[8:9], v7, s21, v[0:1]
	s_mov_b32 s8, 0
	s_mov_b32 s9, s8
	v_mov_b32_e32 v5, v0
	v_cmp_gt_i32_e32 vcc, s30, v6
	s_mov_b32 s10, s8
	s_mov_b32 s11, s8
	v_pk_mov_b32 v[0:1], s[8:9], s[8:9] op_sel:[0,1]
	s_or_b64 s[2:3], s[2:3], vcc
	v_pk_mov_b32 v[2:3], s[10:11], s[10:11] op_sel:[0,1]
	v_lshlrev_b64 v[16:17], 3, v[4:5]
	s_waitcnt lgkmcnt(0)
	s_barrier
	s_and_saveexec_b64 s[8:9], s[2:3]
	s_cbranch_execz .LBB158_19
; %bb.18:
	v_mov_b32_e32 v0, s18
	v_add_co_u32_e32 v8, vcc, s7, v16
	v_addc_co_u32_e32 v9, vcc, v0, v17, vcc
	s_lshl_b64 s[10:11], s[20:21], 3
	v_mov_b32_e32 v0, s11
	v_add_co_u32_e32 v10, vcc, s10, v8
	v_addc_co_u32_e32 v11, vcc, v9, v0, vcc
	global_load_dwordx2 v[0:1], v[8:9], off
	global_load_dwordx2 v[2:3], v[10:11], off
.LBB158_19:
	s_or_b64 exec, exec, s[8:9]
	s_load_dwordx4 s[8:11], s[4:5], 0x60
	v_lshl_or_b32 v15, v6, 5, v14
	s_waitcnt lgkmcnt(0)
	s_lshl_b64 s[4:5], s[8:9], 3
	s_add_u32 s19, s14, s4
	s_addc_u32 s27, s15, s5
	s_cmp_gt_i32 s22, 0
	s_cbranch_scc1 .LBB158_21
; %bb.20:
	v_lshl_or_b32 v6, v6, 5, v14
	v_or_b32_e32 v47, 16, v6
	s_mov_b64 s[8:9], 0
	v_pk_mov_b32 v[24:25], s[8:9], s[8:9] op_sel:[0,1]
	v_pk_mov_b32 v[20:21], s[8:9], s[8:9] op_sel:[0,1]
	s_cbranch_execz .LBB158_22
	s_branch .LBB158_36
.LBB158_21:
                                        ; implicit-def: $sgpr8_sgpr9
                                        ; implicit-def: $vgpr6
                                        ; implicit-def: $vgpr47
	v_pk_mov_b32 v[24:25], s[8:9], s[8:9] op_sel:[0,1]
	v_pk_mov_b32 v[20:21], s[8:9], s[8:9] op_sel:[0,1]
.LBB158_22:
	v_mad_u64_u32 v[8:9], s[4:5], v14, s12, 0
	v_mov_b32_e32 v6, v9
	v_mad_u64_u32 v[10:11], s[4:5], v14, s13, v[6:7]
	s_mul_i32 s4, s16, s13
	s_mul_hi_u32 s5, s16, s12
	s_add_i32 s4, s5, s4
	s_mul_i32 s5, s17, s12
	s_add_i32 s5, s4, s5
	s_mul_i32 s4, s16, s12
	s_lshl_b64 s[4:5], s[4:5], 3
	v_mov_b32_e32 v9, v10
	s_add_u32 s28, s28, s4
	s_addc_u32 s29, s29, s5
	v_lshlrev_b64 v[18:19], 3, v[8:9]
	v_mov_b32_e32 v6, s29
	v_add_co_u32_e32 v8, vcc, s28, v18
	v_addc_co_u32_e32 v9, vcc, v6, v19, vcc
	global_load_dwordx2 v[22:23], v[8:9], off
	s_mul_i32 s4, s16, s11
	s_mul_hi_u32 s5, s16, s10
	s_add_i32 s4, s5, s4
	s_mul_i32 s5, s17, s10
	s_add_i32 s5, s4, s5
	s_mul_i32 s4, s16, s10
	s_lshl_b64 s[4:5], s[4:5], 3
	s_add_u32 s14, s19, s4
	v_or_b32_e32 v10, 16, v14
	s_addc_u32 s15, s27, s5
	v_mad_u64_u32 v[8:9], s[4:5], v10, s12, 0
	v_mov_b32_e32 v6, v9
	v_mad_u64_u32 v[10:11], s[4:5], v10, s13, v[6:7]
	v_mov_b32_e32 v9, v10
	v_mad_u64_u32 v[10:11], s[8:9], v46, s10, 0
	v_mov_b32_e32 v6, v11
	v_mad_u64_u32 v[20:21], s[8:9], v46, s11, v[6:7]
	v_mov_b32_e32 v6, 0x2000
	v_lshl_add_u32 v49, v7, 3, v6
	v_mov_b32_e32 v6, s21
	v_add_co_u32_e32 v4, vcc, s20, v4
	v_mov_b32_e32 v11, v20
	v_addc_co_u32_e32 v5, vcc, v5, v6, vcc
	v_pk_mov_b32 v[20:21], 0, 0
	s_lshl_b64 s[4:5], s[12:13], 8
	s_add_i32 s30, s22, -1
	v_lshlrev_b32_e32 v48, 3, v15
	v_or_b32_e32 v47, 16, v15
	s_lshl_b64 s[8:9], s[10:11], 8
	v_lshlrev_b32_e32 v50, 3, v46
	s_mov_b32 s31, 0
	v_pk_mov_b32 v[26:27], s[14:15], s[14:15] op_sel:[0,1]
	v_lshlrev_b64 v[28:29], 3, v[8:9]
	v_lshlrev_b64 v[30:31], 3, v[4:5]
	s_lshl_b64 s[12:13], s[20:21], 3
	v_lshlrev_b64 v[32:33], 3, v[10:11]
	v_pk_mov_b32 v[24:25], v[20:21], v[20:21] op_sel:[0,1]
	v_pk_mov_b32 v[34:35], v[20:21], v[20:21] op_sel:[0,1]
	;; [unrolled: 1-line block ×3, first 2 shown]
.LBB158_23:                             ; =>This Loop Header: Depth=1
                                        ;     Child Loop BB158_31 Depth 2
	v_mov_b32_e32 v5, s29
	v_add_co_u32_e32 v4, vcc, s28, v28
	v_addc_co_u32_e32 v5, vcc, v5, v29, vcc
	global_load_dwordx2 v[38:39], v[4:5], off
	s_and_saveexec_b64 s[14:15], s[2:3]
	s_cbranch_execz .LBB158_25
; %bb.24:                               ;   in Loop: Header=BB158_23 Depth=1
	v_mov_b32_e32 v7, s18
	v_add_co_u32_e32 v4, vcc, s7, v30
	v_addc_co_u32_e32 v5, vcc, v7, v31, vcc
	v_add_co_u32_e32 v6, vcc, s7, v16
	v_addc_co_u32_e32 v7, vcc, v7, v17, vcc
	global_load_dwordx2 v[34:35], v[6:7], off offset:128
	global_load_dwordx2 v[36:37], v[4:5], off offset:128
.LBB158_25:                             ;   in Loop: Header=BB158_23 Depth=1
	s_or_b64 exec, exec, s[14:15]
	ds_read_b128 v[8:11], v49
	s_add_u32 s28, s28, s4
	s_addc_u32 s29, s29, s5
	s_waitcnt vmcnt(2)
	v_pk_mov_b32 v[6:7], v[2:3], v[2:3] op_sel:[0,1]
	s_cmp_eq_u32 s31, s30
	s_waitcnt vmcnt(1)
	v_pk_mov_b32 v[40:41], v[22:23], v[22:23] op_sel:[0,1]
	v_pk_mov_b32 v[4:5], v[0:1], v[0:1] op_sel:[0,1]
	s_cbranch_scc1 .LBB158_29
; %bb.26:                               ;   in Loop: Header=BB158_23 Depth=1
	v_pk_mov_b32 v[6:7], v[2:3], v[2:3] op_sel:[0,1]
	v_pk_mov_b32 v[4:5], v[0:1], v[0:1] op_sel:[0,1]
	s_and_saveexec_b64 s[14:15], s[2:3]
	s_cbranch_execz .LBB158_28
; %bb.27:                               ;   in Loop: Header=BB158_23 Depth=1
	v_mov_b32_e32 v4, s18
	v_add_co_u32_e32 v40, vcc, s7, v16
	v_addc_co_u32_e32 v41, vcc, v4, v17, vcc
	v_mov_b32_e32 v4, s13
	v_add_co_u32_e32 v42, vcc, s12, v40
	v_addc_co_u32_e32 v43, vcc, v41, v4, vcc
	global_load_dwordx2 v[4:5], v[40:41], off offset:256
	global_load_dwordx2 v[6:7], v[42:43], off offset:256
.LBB158_28:                             ;   in Loop: Header=BB158_23 Depth=1
	s_or_b64 exec, exec, s[14:15]
	v_mov_b32_e32 v41, s29
	v_add_co_u32_e32 v40, vcc, s28, v18
	v_addc_co_u32_e32 v41, vcc, v41, v19, vcc
	global_load_dwordx2 v[40:41], v[40:41], off
.LBB158_29:                             ;   in Loop: Header=BB158_23 Depth=1
	s_waitcnt lgkmcnt(0)
	v_fma_f64 v[42:43], v[0:1], v[8:9], 0
	v_fma_f64 v[8:9], v[34:35], v[8:9], 0
	v_fmac_f64_e32 v[42:43], v[2:3], v[10:11]
	s_waitcnt vmcnt(0)
	v_fmac_f64_e32 v[8:9], v[36:37], v[10:11]
	s_barrier
	ds_write2_b64 v48, v[42:43], v[8:9] offset1:16
	s_waitcnt lgkmcnt(0)
	s_barrier
	s_and_saveexec_b64 s[14:15], s[0:1]
	s_cbranch_execz .LBB158_33
; %bb.30:                               ;   in Loop: Header=BB158_23 Depth=1
	v_add_co_u32_e32 v42, vcc, v26, v32
	v_addc_co_u32_e32 v43, vcc, v27, v33, vcc
	global_load_dwordx2 v[10:11], v[42:43], off
	ds_read2_b64 v[52:55], v50 offset1:32
	ds_read2_b64 v[56:59], v50 offset0:64 offset1:96
	ds_read2_b64 v[60:63], v50 offset0:128 offset1:160
	v_add_u32_e32 v44, 0x800, v50
	s_mov_b64 s[16:17], 0
	s_waitcnt lgkmcnt(2)
	v_add_f64 v[8:9], v[52:53], 0
	v_add_f64 v[8:9], v[8:9], v[54:55]
	ds_read2_b64 v[52:55], v50 offset0:192 offset1:224
	s_waitcnt lgkmcnt(2)
	v_add_f64 v[8:9], v[8:9], v[56:57]
	v_add_f64 v[8:9], v[8:9], v[58:59]
	s_waitcnt lgkmcnt(1)
	v_add_f64 v[8:9], v[8:9], v[60:61]
	ds_read2_b64 v[56:59], v44 offset1:32
	v_add_f64 v[8:9], v[8:9], v[62:63]
	s_waitcnt lgkmcnt(1)
	v_add_f64 v[8:9], v[8:9], v[52:53]
	v_add_f64 v[8:9], v[8:9], v[54:55]
	ds_read2_b64 v[52:55], v44 offset0:64 offset1:96
	ds_read2_b64 v[60:63], v44 offset0:128 offset1:160
	s_waitcnt lgkmcnt(2)
	v_add_f64 v[8:9], v[8:9], v[56:57]
	v_add_f64 v[8:9], v[8:9], v[58:59]
	ds_read2_b64 v[56:59], v44 offset0:192 offset1:224
	s_waitcnt lgkmcnt(2)
	v_add_f64 v[8:9], v[8:9], v[52:53]
	v_add_f64 v[8:9], v[8:9], v[54:55]
	s_waitcnt lgkmcnt(1)
	v_add_f64 v[8:9], v[8:9], v[60:61]
	v_add_f64 v[8:9], v[8:9], v[62:63]
	;; [unrolled: 3-line block ×3, first 2 shown]
	v_mul_f64 v[44:45], v[12:13], v[8:9]
.LBB158_31:                             ;   Parent Loop BB158_23 Depth=1
                                        ; =>  This Inner Loop Header: Depth=2
	s_waitcnt vmcnt(0)
	v_add_f64 v[8:9], v[10:11], v[44:45]
	global_atomic_cmpswap_x2 v[8:9], v[42:43], v[8:11], off glc
	s_waitcnt vmcnt(0)
	v_cmp_eq_u64_e32 vcc, v[8:9], v[10:11]
	s_or_b64 s[16:17], vcc, s[16:17]
	v_pk_mov_b32 v[10:11], v[8:9], v[8:9] op_sel:[0,1]
	s_andn2_b64 exec, exec, s[16:17]
	s_cbranch_execnz .LBB158_31
; %bb.32:                               ;   in Loop: Header=BB158_23 Depth=1
	s_or_b64 exec, exec, s[16:17]
	v_mov_b32_e32 v8, s9
	v_add_co_u32_e32 v26, vcc, s8, v26
	v_addc_co_u32_e32 v27, vcc, v27, v8, vcc
.LBB158_33:                             ;   in Loop: Header=BB158_23 Depth=1
	s_or_b64 exec, exec, s[14:15]
	s_add_u32 s7, s7, 0x100
	v_fmac_f64_e32 v[20:21], v[22:23], v[0:1]
	v_fmac_f64_e32 v[24:25], v[22:23], v[2:3]
	s_addc_u32 s18, s18, 0
	s_add_i32 s31, s31, 1
	v_fmac_f64_e32 v[20:21], v[38:39], v[34:35]
	v_fmac_f64_e32 v[24:25], v[38:39], v[36:37]
	s_cmp_eq_u32 s31, s22
	s_cbranch_scc1 .LBB158_35
; %bb.34:                               ;   in Loop: Header=BB158_23 Depth=1
	v_pk_mov_b32 v[0:1], v[4:5], v[4:5] op_sel:[0,1]
	v_pk_mov_b32 v[22:23], v[40:41], v[40:41] op_sel:[0,1]
	;; [unrolled: 1-line block ×3, first 2 shown]
	s_branch .LBB158_23
.LBB158_35:
	v_mov_b32_e32 v6, v15
.LBB158_36:
	s_waitcnt vmcnt(1)
	v_lshlrev_b32_e32 v0, 3, v6
	ds_write_b64 v0, v[20:21] offset:4096
	v_lshlrev_b32_e32 v0, 3, v47
	ds_write_b64 v0, v[24:25] offset:4096
	s_waitcnt lgkmcnt(0)
	s_barrier
	s_and_b64 exec, exec, s[0:1]
	s_cbranch_execz .LBB158_40
; %bb.37:
	s_cmp_lt_u32 s6, s26
	v_cmp_gt_i32_e32 vcc, s25, v46
	s_cselect_b64 s[0:1], -1, 0
	s_or_b64 s[0:1], vcc, s[0:1]
	s_and_b64 exec, exec, s[0:1]
	s_cbranch_execz .LBB158_40
; %bb.38:
	s_mul_i32 s0, s23, s11
	s_mul_hi_u32 s1, s23, s10
	s_add_i32 s0, s1, s0
	s_mul_i32 s1, s24, s10
	s_add_i32 s1, s0, s1
	s_mul_i32 s0, s23, s10
	s_lshl_b64 s[0:1], s[0:1], 3
	s_add_u32 s2, s19, s0
	s_addc_u32 s3, s27, s1
	v_mad_u64_u32 v[0:1], s[0:1], v46, s10, 0
	s_waitcnt vmcnt(0)
	v_mov_b32_e32 v2, v1
	v_mad_u64_u32 v[2:3], s[0:1], v46, s11, v[2:3]
	v_mov_b32_e32 v1, v2
	v_lshlrev_b64 v[0:1], 3, v[0:1]
	v_mov_b32_e32 v2, s3
	v_add_co_u32_e32 v4, vcc, s2, v0
	v_addc_co_u32_e32 v5, vcc, v2, v1, vcc
	global_load_dwordx2 v[2:3], v[4:5], off
	v_lshlrev_b32_e32 v18, 4, v46
	v_add_u32_e32 v1, 1, v46
	v_and_or_b32 v1, v1, 15, v18
	v_lshlrev_b32_e32 v6, 3, v1
	v_add_u32_e32 v1, 2, v46
	v_or_b32_e32 v19, v14, v18
	v_and_or_b32 v1, v1, 15, v18
	v_lshlrev_b32_e32 v0, 3, v19
	v_lshlrev_b32_e32 v8, 3, v1
	v_add_u32_e32 v1, 3, v46
	v_and_or_b32 v10, v1, 15, v18
	ds_read_b64 v[0:1], v0 offset:4096
	ds_read_b64 v[6:7], v6 offset:4096
	ds_read_b64 v[8:9], v8 offset:4096
	v_lshlrev_b32_e32 v10, 3, v10
	ds_read_b64 v[10:11], v10 offset:4096
	s_waitcnt lgkmcnt(3)
	v_add_f64 v[0:1], v[0:1], 0
	s_waitcnt lgkmcnt(2)
	v_add_f64 v[0:1], v[0:1], v[6:7]
	v_add_u32_e32 v7, 5, v46
	v_and_or_b32 v7, v7, 15, v18
	s_waitcnt lgkmcnt(1)
	v_add_f64 v[0:1], v[0:1], v[8:9]
	v_lshlrev_b32_e32 v8, 3, v7
	v_add_u32_e32 v7, 6, v46
	v_and_or_b32 v7, v7, 15, v18
	v_add_u32_e32 v6, 4, v46
	v_lshlrev_b32_e32 v14, 3, v7
	v_add_u32_e32 v7, 7, v46
	v_and_or_b32 v6, v6, 15, v18
	v_and_or_b32 v7, v7, 15, v18
	v_lshlrev_b32_e32 v6, 3, v6
	v_lshlrev_b32_e32 v16, 3, v7
	ds_read_b64 v[6:7], v6 offset:4096
	ds_read_b64 v[8:9], v8 offset:4096
	;; [unrolled: 1-line block ×4, first 2 shown]
	s_waitcnt lgkmcnt(4)
	v_add_f64 v[0:1], v[0:1], v[10:11]
	s_waitcnt lgkmcnt(3)
	v_add_f64 v[0:1], v[0:1], v[6:7]
	v_add_u32_e32 v7, 9, v46
	v_and_or_b32 v7, v7, 15, v18
	s_waitcnt lgkmcnt(2)
	v_add_f64 v[0:1], v[0:1], v[8:9]
	v_lshlrev_b32_e32 v8, 3, v7
	v_add_u32_e32 v7, 10, v46
	v_xor_b32_e32 v6, 8, v19
	v_and_or_b32 v7, v7, 15, v18
	v_lshlrev_b32_e32 v6, 3, v6
	v_lshlrev_b32_e32 v10, 3, v7
	v_add_u32_e32 v7, 11, v46
	s_waitcnt lgkmcnt(1)
	v_add_f64 v[0:1], v[0:1], v[14:15]
	v_and_or_b32 v14, v7, 15, v18
	ds_read_b64 v[6:7], v6 offset:4096
	ds_read_b64 v[8:9], v8 offset:4096
	;; [unrolled: 1-line block ×3, first 2 shown]
	s_waitcnt lgkmcnt(3)
	v_add_f64 v[0:1], v[0:1], v[16:17]
	v_lshlrev_b32_e32 v14, 3, v14
	s_waitcnt lgkmcnt(2)
	v_add_f64 v[0:1], v[0:1], v[6:7]
	v_add_u32_e32 v7, 13, v46
	v_and_or_b32 v7, v7, 15, v18
	s_waitcnt lgkmcnt(1)
	v_add_f64 v[0:1], v[0:1], v[8:9]
	v_lshlrev_b32_e32 v8, 3, v7
	v_add_u32_e32 v7, 14, v46
	ds_read_b64 v[14:15], v14 offset:4096
	v_and_or_b32 v7, v7, 15, v18
	s_waitcnt lgkmcnt(1)
	v_add_f64 v[0:1], v[0:1], v[10:11]
	v_add_u32_e32 v6, 12, v46
	v_lshlrev_b32_e32 v10, 3, v7
	v_add_u32_e32 v7, -1, v46
	v_and_or_b32 v6, v6, 15, v18
	v_and_or_b32 v7, v7, 15, v18
	v_lshlrev_b32_e32 v6, 3, v6
	v_lshlrev_b32_e32 v16, 3, v7
	ds_read_b64 v[6:7], v6 offset:4096
	ds_read_b64 v[8:9], v8 offset:4096
	;; [unrolled: 1-line block ×4, first 2 shown]
	s_waitcnt lgkmcnt(4)
	v_add_f64 v[0:1], v[0:1], v[14:15]
	s_waitcnt lgkmcnt(3)
	v_add_f64 v[0:1], v[0:1], v[6:7]
	;; [unrolled: 2-line block ×5, first 2 shown]
	s_mov_b64 s[0:1], 0
	v_mul_f64 v[6:7], v[12:13], v[0:1]
.LBB158_39:                             ; =>This Inner Loop Header: Depth=1
	s_waitcnt vmcnt(0)
	v_add_f64 v[0:1], v[2:3], v[6:7]
	global_atomic_cmpswap_x2 v[0:1], v[4:5], v[0:3], off glc
	s_waitcnt vmcnt(0)
	v_cmp_eq_u64_e32 vcc, v[0:1], v[2:3]
	s_or_b64 s[0:1], vcc, s[0:1]
	v_pk_mov_b32 v[2:3], v[0:1], v[0:1] op_sel:[0,1]
	s_andn2_b64 exec, exec, s[0:1]
	s_cbranch_execnz .LBB158_39
.LBB158_40:
	s_endpgm
	.section	.rodata,"a",@progbits
	.p2align	6, 0x0
	.amdhsa_kernel _ZL62rocblas_symv_kernel_upper_double_buffered_non_diagonal_genericILi32ELi8ELi2ELi0E24rocblas_internal_val_ptrIdEPKPKdPKPdEvbiT3_lT4_lllSA_lllT5_lllii
		.amdhsa_group_segment_fixed_size 8448
		.amdhsa_private_segment_fixed_size 0
		.amdhsa_kernarg_size 384
		.amdhsa_user_sgpr_count 6
		.amdhsa_user_sgpr_private_segment_buffer 1
		.amdhsa_user_sgpr_dispatch_ptr 0
		.amdhsa_user_sgpr_queue_ptr 0
		.amdhsa_user_sgpr_kernarg_segment_ptr 1
		.amdhsa_user_sgpr_dispatch_id 0
		.amdhsa_user_sgpr_flat_scratch_init 0
		.amdhsa_user_sgpr_kernarg_preload_length 0
		.amdhsa_user_sgpr_kernarg_preload_offset 0
		.amdhsa_user_sgpr_private_segment_size 0
		.amdhsa_uses_dynamic_stack 0
		.amdhsa_system_sgpr_private_segment_wavefront_offset 0
		.amdhsa_system_sgpr_workgroup_id_x 1
		.amdhsa_system_sgpr_workgroup_id_y 1
		.amdhsa_system_sgpr_workgroup_id_z 1
		.amdhsa_system_sgpr_workgroup_info 0
		.amdhsa_system_vgpr_workitem_id 1
		.amdhsa_next_free_vgpr 64
		.amdhsa_next_free_sgpr 36
		.amdhsa_accum_offset 64
		.amdhsa_reserve_vcc 1
		.amdhsa_reserve_flat_scratch 0
		.amdhsa_float_round_mode_32 0
		.amdhsa_float_round_mode_16_64 0
		.amdhsa_float_denorm_mode_32 3
		.amdhsa_float_denorm_mode_16_64 3
		.amdhsa_dx10_clamp 1
		.amdhsa_ieee_mode 1
		.amdhsa_fp16_overflow 0
		.amdhsa_tg_split 0
		.amdhsa_exception_fp_ieee_invalid_op 0
		.amdhsa_exception_fp_denorm_src 0
		.amdhsa_exception_fp_ieee_div_zero 0
		.amdhsa_exception_fp_ieee_overflow 0
		.amdhsa_exception_fp_ieee_underflow 0
		.amdhsa_exception_fp_ieee_inexact 0
		.amdhsa_exception_int_div_zero 0
	.end_amdhsa_kernel
	.section	.text._ZL62rocblas_symv_kernel_upper_double_buffered_non_diagonal_genericILi32ELi8ELi2ELi0E24rocblas_internal_val_ptrIdEPKPKdPKPdEvbiT3_lT4_lllSA_lllT5_lllii,"axG",@progbits,_ZL62rocblas_symv_kernel_upper_double_buffered_non_diagonal_genericILi32ELi8ELi2ELi0E24rocblas_internal_val_ptrIdEPKPKdPKPdEvbiT3_lT4_lllSA_lllT5_lllii,comdat
.Lfunc_end158:
	.size	_ZL62rocblas_symv_kernel_upper_double_buffered_non_diagonal_genericILi32ELi8ELi2ELi0E24rocblas_internal_val_ptrIdEPKPKdPKPdEvbiT3_lT4_lllSA_lllT5_lllii, .Lfunc_end158-_ZL62rocblas_symv_kernel_upper_double_buffered_non_diagonal_genericILi32ELi8ELi2ELi0E24rocblas_internal_val_ptrIdEPKPKdPKPdEvbiT3_lT4_lllSA_lllT5_lllii
                                        ; -- End function
	.section	.AMDGPU.csdata,"",@progbits
; Kernel info:
; codeLenInByte = 2824
; NumSgprs: 40
; NumVgprs: 64
; NumAgprs: 0
; TotalNumVgprs: 64
; ScratchSize: 0
; MemoryBound: 1
; FloatMode: 240
; IeeeMode: 1
; LDSByteSize: 8448 bytes/workgroup (compile time only)
; SGPRBlocks: 4
; VGPRBlocks: 7
; NumSGPRsForWavesPerEU: 40
; NumVGPRsForWavesPerEU: 64
; AccumOffset: 64
; Occupancy: 7
; WaveLimiterHint : 1
; COMPUTE_PGM_RSRC2:SCRATCH_EN: 0
; COMPUTE_PGM_RSRC2:USER_SGPR: 6
; COMPUTE_PGM_RSRC2:TRAP_HANDLER: 0
; COMPUTE_PGM_RSRC2:TGID_X_EN: 1
; COMPUTE_PGM_RSRC2:TGID_Y_EN: 1
; COMPUTE_PGM_RSRC2:TGID_Z_EN: 1
; COMPUTE_PGM_RSRC2:TIDIG_COMP_CNT: 1
; COMPUTE_PGM_RSRC3_GFX90A:ACCUM_OFFSET: 15
; COMPUTE_PGM_RSRC3_GFX90A:TG_SPLIT: 0
	.section	.text._ZL62rocblas_symv_kernel_upper_double_buffered_non_diagonal_genericILi32ELi8ELi2ELi1E24rocblas_internal_val_ptrIdEPKPKdPKPdEvbiT3_lT4_lllSA_lllT5_lllii,"axG",@progbits,_ZL62rocblas_symv_kernel_upper_double_buffered_non_diagonal_genericILi32ELi8ELi2ELi1E24rocblas_internal_val_ptrIdEPKPKdPKPdEvbiT3_lT4_lllSA_lllT5_lllii,comdat
	.globl	_ZL62rocblas_symv_kernel_upper_double_buffered_non_diagonal_genericILi32ELi8ELi2ELi1E24rocblas_internal_val_ptrIdEPKPKdPKPdEvbiT3_lT4_lllSA_lllT5_lllii ; -- Begin function _ZL62rocblas_symv_kernel_upper_double_buffered_non_diagonal_genericILi32ELi8ELi2ELi1E24rocblas_internal_val_ptrIdEPKPKdPKPdEvbiT3_lT4_lllSA_lllT5_lllii
	.p2align	8
	.type	_ZL62rocblas_symv_kernel_upper_double_buffered_non_diagonal_genericILi32ELi8ELi2ELi1E24rocblas_internal_val_ptrIdEPKPKdPKPdEvbiT3_lT4_lllSA_lllT5_lllii,@function
_ZL62rocblas_symv_kernel_upper_double_buffered_non_diagonal_genericILi32ELi8ELi2ELi1E24rocblas_internal_val_ptrIdEPKPKdPKPdEvbiT3_lT4_lllSA_lllT5_lllii: ; @_ZL62rocblas_symv_kernel_upper_double_buffered_non_diagonal_genericILi32ELi8ELi2ELi1E24rocblas_internal_val_ptrIdEPKPKdPKPdEvbiT3_lT4_lllSA_lllT5_lllii
; %bb.0:
	s_load_dword s0, s[4:5], 0x0
	s_load_dwordx8 s[12:19], s[4:5], 0x8
	s_load_dwordx2 s[20:21], s[4:5], 0x28
	s_waitcnt lgkmcnt(0)
	s_bitcmp1_b32 s0, 0
	s_cselect_b64 s[0:1], -1, 0
	s_and_b64 vcc, exec, s[0:1]
	v_pk_mov_b32 v[12:13], s[12:13], s[12:13] op_sel:[0,1]
	s_cbranch_vccnz .LBB159_2
; %bb.1:
	s_mul_i32 s0, s8, s15
	s_mul_hi_u32 s1, s8, s14
	s_add_i32 s1, s1, s0
	s_mul_i32 s0, s8, s14
	s_lshl_b64 s[0:1], s[0:1], 3
	s_add_u32 s0, s12, s0
	s_addc_u32 s1, s13, s1
	v_pk_mov_b32 v[2:3], s[0:1], s[0:1] op_sel:[0,1]
	flat_load_dwordx2 v[12:13], v[2:3]
.LBB159_2:
	s_waitcnt vmcnt(0) lgkmcnt(0)
	v_cmp_neq_f64_e32 vcc, 0, v[12:13]
	s_and_saveexec_b64 s[0:1], vcc
	s_cbranch_execz .LBB159_64
; %bb.3:
	s_load_dword s12, s[4:5], 0x84
	s_add_u32 s10, s4, 0x80
	s_addc_u32 s11, s5, 0
	s_mov_b32 s9, 0
	s_cmp_eq_u32 s6, 0
	s_waitcnt lgkmcnt(0)
	v_cvt_f32_u32_e32 v1, s12
	v_rcp_iflag_f32_e32 v1, v1
	v_mul_f32_e32 v1, 0x4f7ffffe, v1
	v_cvt_u32_f32_e32 v1, v1
	v_readfirstlane_b32 s0, v1
	s_cbranch_scc1 .LBB159_64
; %bb.4:
	s_sub_i32 s1, 0, s12
	s_mul_i32 s1, s1, s0
	s_mul_hi_u32 s1, s0, s1
	s_add_i32 s13, s0, s1
	s_load_dwordx2 s[14:15], s[4:5], 0x58
	s_load_dwordx4 s[0:3], s[4:5], 0x38
	s_lshl_b64 s[8:9], s[8:9], 3
	s_add_u32 s16, s16, s8
	s_addc_u32 s17, s17, s9
	s_mul_hi_u32 s13, s6, s13
	s_waitcnt lgkmcnt(0)
	s_add_u32 s0, s0, s8
	s_addc_u32 s1, s1, s9
	s_add_u32 s22, s14, s8
	s_mul_i32 s8, s13, s12
	s_addc_u32 s23, s15, s9
	s_sub_i32 s8, s6, s8
	s_add_i32 s9, s13, 1
	s_sub_i32 s14, s8, s12
	s_cmp_ge_u32 s8, s12
	s_cselect_b32 s9, s9, s13
	s_cselect_b32 s8, s14, s8
	s_add_i32 s13, s9, 1
	s_cmp_ge_u32 s8, s12
	s_cselect_b32 s27, s13, s9
	s_add_i32 s8, s12, -1
	s_cmp_lg_u32 s7, s8
	s_mov_b32 s24, s27
	s_cbranch_scc1 .LBB159_6
; %bb.5:
	s_mul_i32 s8, s27, s12
	s_sub_i32 s8, s6, s8
	s_add_i32 s24, s8, s27
.LBB159_6:
	s_cmp_eq_u32 s24, 0
	s_cbranch_scc1 .LBB159_64
; %bb.7:
	s_load_dwordx2 s[28:29], s[0:1], 0x0
	s_load_dwordx2 s[12:13], s[4:5], 0x48
	;; [unrolled: 1-line block ×4, first 2 shown]
	s_lshl_b64 s[0:1], s[2:3], 3
	s_waitcnt lgkmcnt(0)
	s_add_u32 s30, s28, s0
	s_addc_u32 s31, s29, s1
	s_lshl_b32 s22, s6, 5
	s_ashr_i32 s23, s22, 31
	s_mul_i32 s0, s22, s13
	s_mul_hi_u32 s1, s22, s12
	s_load_dword s25, s[10:11], 0x0
	s_add_i32 s0, s1, s0
	s_mul_i32 s1, s23, s12
	s_add_i32 s1, s0, s1
	s_mul_i32 s0, s22, s12
	s_lshl_b64 s[0:1], s[0:1], 3
	s_add_u32 s28, s30, s0
	s_addc_u32 s29, s31, s1
	s_waitcnt lgkmcnt(0)
	s_add_i32 s25, s25, -1
	s_cmp_lg_u32 s6, s25
	v_and_b32_e32 v44, 0x3ff, v0
	v_bfe_u32 v1, v0, 10, 10
	s_cselect_b64 s[10:11], -1, 0
	v_lshl_add_u32 v0, v1, 5, v44
	v_cmp_eq_u32_e64 s[0:1], 0, v1
	s_mov_b64 s[2:3], -1
	s_and_b64 vcc, exec, s[10:11]
	s_cbranch_vccz .LBB159_11
; %bb.8:
	s_and_saveexec_b64 s[2:3], s[0:1]
	s_cbranch_execz .LBB159_10
; %bb.9:
	v_mad_u64_u32 v[2:3], s[16:17], v44, s12, 0
	v_mov_b32_e32 v4, v3
	v_mad_u64_u32 v[4:5], s[16:17], v44, s13, v[4:5]
	v_mov_b32_e32 v3, v4
	v_lshlrev_b64 v[2:3], 3, v[2:3]
	v_mov_b32_e32 v1, s29
	v_add_co_u32_e32 v2, vcc, s28, v2
	v_addc_co_u32_e32 v3, vcc, v1, v3, vcc
	global_load_dwordx2 v[2:3], v[2:3], off
	v_lshlrev_b32_e32 v1, 3, v44
	s_waitcnt vmcnt(0)
	ds_write_b64 v1, v[2:3] offset:8192
.LBB159_10:
	s_or_b64 exec, exec, s[2:3]
	s_mov_b64 s[2:3], 0
.LBB159_11:
	s_load_dword s26, s[4:5], 0x78
	v_and_b32_e32 v14, 15, v44
	s_andn2_b64 vcc, exec, s[2:3]
	v_lshrrev_b32_e32 v4, 4, v0
	s_cbranch_vccnz .LBB159_17
; %bb.12:
	s_and_saveexec_b64 s[2:3], s[0:1]
	s_cbranch_execz .LBB159_16
; %bb.13:
	s_waitcnt lgkmcnt(0)
	v_cmp_gt_i32_e32 vcc, s26, v44
	v_pk_mov_b32 v[0:1], 0, 0
	s_and_saveexec_b64 s[16:17], vcc
	s_cbranch_execz .LBB159_15
; %bb.14:
	v_mad_u64_u32 v[0:1], s[34:35], v44, s12, 0
	v_mov_b32_e32 v2, v1
	v_mad_u64_u32 v[2:3], s[34:35], v44, s13, v[2:3]
	v_mov_b32_e32 v1, v2
	v_lshlrev_b64 v[0:1], 3, v[0:1]
	v_mov_b32_e32 v2, s29
	v_add_co_u32_e32 v0, vcc, s28, v0
	v_addc_co_u32_e32 v1, vcc, v2, v1, vcc
	global_load_dwordx2 v[0:1], v[0:1], off
.LBB159_15:
	s_or_b64 exec, exec, s[16:17]
	v_lshlrev_b32_e32 v2, 3, v44
	s_waitcnt vmcnt(0)
	ds_write_b64 v2, v[0:1] offset:8192
.LBB159_16:
	s_or_b64 exec, exec, s[2:3]
	s_mov_b32 s2, 0
	v_lshlrev_b32_e32 v0, 3, v14
	s_mov_b32 s3, s2
	v_lshl_or_b32 v2, v4, 8, v0
	v_pk_mov_b32 v[0:1], s[2:3], s[2:3] op_sel:[0,1]
	ds_write2_b64 v2, v[0:1], v[0:1] offset1:16
	v_add_u32_e32 v2, 0x1000, v2
	ds_write2_b64 v2, v[0:1], v[0:1] offset1:16
.LBB159_17:
	s_waitcnt lgkmcnt(0)
	s_lshr_b32 s2, s26, 31
	s_add_i32 s2, s26, s2
	s_ashr_i32 s33, s2, 1
	s_lshl_b64 s[2:3], s[18:19], 3
	s_add_u32 s8, s8, s2
	s_addc_u32 s9, s9, s3
	s_mul_i32 s2, s22, s21
	s_mul_hi_u32 s3, s22, s20
	s_add_i32 s2, s3, s2
	s_mul_i32 s3, s23, s20
	s_add_i32 s3, s2, s3
	s_mul_i32 s2, s22, s20
	s_lshl_b64 s[2:3], s[2:3], 3
	s_add_u32 s8, s8, s2
	s_mul_i32 s7, s7, s27
	s_addc_u32 s9, s9, s3
	s_lshl_b32 s16, s7, 5
	s_ashr_i32 s17, s16, 31
	s_lshl_b64 s[2:3], s[16:17], 3
	s_add_u32 s7, s8, s2
	v_lshlrev_b32_e32 v5, 1, v4
	v_mov_b32_e32 v15, 0
	s_addc_u32 s27, s9, s3
	v_mad_u64_u32 v[0:1], s[2:3], v5, s20, v[14:15]
	v_mov_b32_e32 v2, v1
	v_mad_u64_u32 v[2:3], s[2:3], v5, s21, v[2:3]
	v_mov_b32_e32 v1, v2
	v_cndmask_b32_e64 v2, 0, 1, s[10:11]
	v_cmp_ne_u32_e64 s[2:3], 1, v2
	s_andn2_b64 vcc, exec, s[10:11]
	v_lshlrev_b64 v[16:17], 3, v[0:1]
	s_barrier
	s_cbranch_vccnz .LBB159_19
; %bb.18:
	v_mov_b32_e32 v0, s27
	v_add_co_u32_e32 v6, vcc, s7, v16
	v_addc_co_u32_e32 v7, vcc, v0, v17, vcc
	s_lshl_b64 s[8:9], s[20:21], 3
	v_mov_b32_e32 v0, s9
	v_add_co_u32_e32 v8, vcc, s8, v6
	v_addc_co_u32_e32 v9, vcc, v7, v0, vcc
	global_load_dwordx2 v[0:1], v[6:7], off
	global_load_dwordx2 v[2:3], v[8:9], off
	v_cmp_le_i32_e64 s[8:9], s33, v4
	s_cbranch_execz .LBB159_20
	s_branch .LBB159_27
.LBB159_19:
                                        ; implicit-def: $vgpr0_vgpr1_vgpr2_vgpr3
	v_cmp_le_i32_e64 s[8:9], s33, v4
.LBB159_20:
                                        ; implicit-def: $vgpr0_vgpr1_vgpr2_vgpr3
	s_and_saveexec_b64 s[10:11], s[8:9]
	s_xor_b64 s[8:9], exec, s[10:11]
	s_cbranch_execz .LBB159_24
; %bb.21:
	s_mov_b32 s36, 0
	s_mov_b32 s37, s36
	;; [unrolled: 1-line block ×4, first 2 shown]
	s_waitcnt vmcnt(0)
	v_pk_mov_b32 v[0:1], s[36:37], s[36:37] op_sel:[0,1]
	v_cmp_eq_u32_e32 vcc, s33, v4
	v_pk_mov_b32 v[2:3], s[38:39], s[38:39] op_sel:[0,1]
	s_and_saveexec_b64 s[10:11], vcc
	s_cbranch_execz .LBB159_23
; %bb.22:
	v_mov_b32_e32 v1, s27
	v_add_co_u32_e32 v0, vcc, s7, v16
	v_addc_co_u32_e32 v1, vcc, v1, v17, vcc
	global_load_dwordx2 v[0:1], v[0:1], off
	v_mov_b32_e32 v2, 0
	v_mov_b32_e32 v3, v2
.LBB159_23:
	s_or_b64 exec, exec, s[10:11]
.LBB159_24:
	s_andn2_saveexec_b64 s[8:9], s[8:9]
	s_cbranch_execz .LBB159_26
; %bb.25:
	s_waitcnt vmcnt(0)
	v_mov_b32_e32 v0, s27
	v_add_co_u32_e32 v6, vcc, s7, v16
	v_addc_co_u32_e32 v7, vcc, v0, v17, vcc
	s_lshl_b64 s[10:11], s[20:21], 3
	v_mov_b32_e32 v0, s11
	v_add_co_u32_e32 v8, vcc, s10, v6
	v_addc_co_u32_e32 v9, vcc, v7, v0, vcc
	global_load_dwordx2 v[0:1], v[6:7], off
	global_load_dwordx2 v[2:3], v[8:9], off
.LBB159_26:
	s_or_b64 exec, exec, s[8:9]
.LBB159_27:
	s_load_dwordx4 s[8:11], s[4:5], 0x60
	v_lshl_or_b32 v15, v4, 5, v14
	s_waitcnt lgkmcnt(0)
	s_lshl_b64 s[4:5], s[8:9], 3
	s_add_u32 s28, s14, s4
	s_addc_u32 s29, s15, s5
	s_cmp_gt_i32 s24, 0
	s_cbranch_scc1 .LBB159_29
; %bb.28:
	v_lshl_or_b32 v6, v4, 5, v14
	v_or_b32_e32 v45, 16, v6
	s_mov_b64 s[8:9], 0
	v_pk_mov_b32 v[24:25], s[8:9], s[8:9] op_sel:[0,1]
	v_pk_mov_b32 v[20:21], s[8:9], s[8:9] op_sel:[0,1]
	s_cbranch_execz .LBB159_30
	s_branch .LBB159_60
.LBB159_29:
                                        ; implicit-def: $sgpr8_sgpr9
                                        ; implicit-def: $vgpr6
                                        ; implicit-def: $vgpr45
	v_pk_mov_b32 v[24:25], s[8:9], s[8:9] op_sel:[0,1]
	v_pk_mov_b32 v[20:21], s[8:9], s[8:9] op_sel:[0,1]
.LBB159_30:
	v_mad_u64_u32 v[6:7], s[4:5], v14, s12, 0
	v_mov_b32_e32 v8, v7
	v_mad_u64_u32 v[8:9], s[4:5], v14, s13, v[8:9]
	s_mul_i32 s4, s16, s13
	s_mul_hi_u32 s5, s16, s12
	s_add_i32 s4, s5, s4
	s_mul_i32 s5, s17, s12
	s_add_i32 s5, s4, s5
	s_mul_i32 s4, s16, s12
	s_lshl_b64 s[4:5], s[4:5], 3
	v_mov_b32_e32 v7, v8
	s_add_u32 s30, s30, s4
	s_addc_u32 s31, s31, s5
	v_lshlrev_b64 v[18:19], 3, v[6:7]
	v_mov_b32_e32 v7, s31
	v_add_co_u32_e32 v6, vcc, s30, v18
	v_addc_co_u32_e32 v7, vcc, v7, v19, vcc
	global_load_dwordx2 v[22:23], v[6:7], off
	s_mul_i32 s4, s16, s11
	s_mul_hi_u32 s5, s16, s10
	s_add_i32 s4, s5, s4
	s_mul_i32 s5, s17, s10
	s_add_i32 s5, s4, s5
	s_mul_i32 s4, s16, s10
	s_lshl_b64 s[4:5], s[4:5], 3
	s_add_u32 s16, s28, s4
	v_or_b32_e32 v9, 16, v14
	s_addc_u32 s17, s29, s5
	v_mad_u64_u32 v[6:7], s[4:5], v9, s12, 0
	v_mov_b32_e32 v8, v7
	v_mad_u64_u32 v[8:9], s[4:5], v9, s13, v[8:9]
	v_mov_b32_e32 v7, v8
	v_mad_u64_u32 v[8:9], s[14:15], v44, s10, 0
	v_cmp_le_i32_e64 s[4:5], s33, v4
	v_cmp_eq_u32_e64 s[8:9], s33, v4
	v_mov_b32_e32 v4, v9
	v_mad_u64_u32 v[10:11], s[14:15], v44, s11, v[4:5]
	v_mov_b32_e32 v9, v10
	v_mov_b32_e32 v4, 0x2000
	v_pk_mov_b32 v[20:21], 0, 0
	s_lshl_b64 s[12:13], s[12:13], 8
	s_add_i32 s33, s24, -1
	v_lshlrev_b32_e32 v46, 3, v15
	v_or_b32_e32 v45, 16, v15
	s_lshl_b64 s[14:15], s[10:11], 8
	v_lshl_add_u32 v47, v5, 3, v4
	v_lshlrev_b32_e32 v48, 3, v44
	s_mov_b32 s34, 0
	v_pk_mov_b32 v[26:27], s[16:17], s[16:17] op_sel:[0,1]
	v_lshlrev_b64 v[28:29], 3, v[6:7]
	s_lshl_b64 s[16:17], s[20:21], 3
	v_lshlrev_b64 v[30:31], 3, v[8:9]
	v_pk_mov_b32 v[24:25], v[20:21], v[20:21] op_sel:[0,1]
	v_pk_mov_b32 v[6:7], v[20:21], v[20:21] op_sel:[0,1]
	;; [unrolled: 1-line block ×3, first 2 shown]
.LBB159_31:                             ; =>This Loop Header: Depth=1
                                        ;     Child Loop BB159_55 Depth 2
	v_mov_b32_e32 v9, s31
	v_add_co_u32_e32 v8, vcc, s30, v28
	v_addc_co_u32_e32 v9, vcc, v9, v29, vcc
	global_load_dwordx2 v[32:33], v[8:9], off
	s_and_b64 vcc, exec, s[2:3]
	s_cbranch_vccnz .LBB159_33
; %bb.32:                               ;   in Loop: Header=BB159_31 Depth=1
	v_mov_b32_e32 v9, s27
	v_add_co_u32_e32 v8, vcc, s7, v16
	v_addc_co_u32_e32 v9, vcc, v9, v17, vcc
	v_mov_b32_e32 v11, s17
	v_add_co_u32_e32 v10, vcc, s16, v8
	v_addc_co_u32_e32 v11, vcc, v9, v11, vcc
	global_load_dwordx2 v[34:35], v[8:9], off offset:128
	global_load_dwordx2 v[36:37], v[10:11], off offset:128
	s_cbranch_execz .LBB159_34
	s_branch .LBB159_41
.LBB159_33:                             ;   in Loop: Header=BB159_31 Depth=1
                                        ; implicit-def: $vgpr36_vgpr37
                                        ; implicit-def: $vgpr34_vgpr35
.LBB159_34:                             ;   in Loop: Header=BB159_31 Depth=1
	s_and_saveexec_b64 s[18:19], s[4:5]
	s_xor_b64 s[18:19], exec, s[18:19]
	s_cbranch_execz .LBB159_38
; %bb.35:                               ;   in Loop: Header=BB159_31 Depth=1
	s_and_saveexec_b64 s[20:21], s[8:9]
	s_cbranch_execz .LBB159_37
; %bb.36:                               ;   in Loop: Header=BB159_31 Depth=1
	v_mov_b32_e32 v7, s27
	v_add_co_u32_e32 v6, vcc, s7, v16
	v_addc_co_u32_e32 v7, vcc, v7, v17, vcc
	global_load_dwordx2 v[6:7], v[6:7], off offset:128
.LBB159_37:                             ;   in Loop: Header=BB159_31 Depth=1
	s_or_b64 exec, exec, s[20:21]
.LBB159_38:                             ;   in Loop: Header=BB159_31 Depth=1
	s_andn2_saveexec_b64 s[18:19], s[18:19]
	s_cbranch_execz .LBB159_40
; %bb.39:                               ;   in Loop: Header=BB159_31 Depth=1
	v_mov_b32_e32 v4, s27
	v_add_co_u32_e32 v8, vcc, s7, v16
	v_addc_co_u32_e32 v9, vcc, v4, v17, vcc
	v_mov_b32_e32 v4, s17
	v_add_co_u32_e32 v10, vcc, s16, v8
	v_addc_co_u32_e32 v11, vcc, v9, v4, vcc
	global_load_dwordx2 v[6:7], v[8:9], off offset:128
	global_load_dwordx2 v[4:5], v[10:11], off offset:128
.LBB159_40:                             ;   in Loop: Header=BB159_31 Depth=1
	s_or_b64 exec, exec, s[18:19]
	s_waitcnt vmcnt(0)
	v_pk_mov_b32 v[34:35], v[6:7], v[6:7] op_sel:[0,1]
	v_pk_mov_b32 v[36:37], v[4:5], v[4:5] op_sel:[0,1]
.LBB159_41:                             ;   in Loop: Header=BB159_31 Depth=1
	ds_read_b128 v[8:11], v47
	s_add_u32 s30, s30, s12
	s_addc_u32 s31, s31, s13
	s_waitcnt vmcnt(2)
	v_pk_mov_b32 v[6:7], v[2:3], v[2:3] op_sel:[0,1]
	s_cmp_eq_u32 s34, s33
	s_waitcnt vmcnt(1)
	v_pk_mov_b32 v[38:39], v[22:23], v[22:23] op_sel:[0,1]
	v_pk_mov_b32 v[4:5], v[0:1], v[0:1] op_sel:[0,1]
	s_cbranch_scc1 .LBB159_53
; %bb.42:                               ;   in Loop: Header=BB159_31 Depth=1
	s_and_b64 vcc, exec, s[2:3]
	s_cbranch_vccnz .LBB159_44
; %bb.43:                               ;   in Loop: Header=BB159_31 Depth=1
	v_mov_b32_e32 v4, s27
	v_add_co_u32_e32 v38, vcc, s7, v16
	v_addc_co_u32_e32 v39, vcc, v4, v17, vcc
	v_mov_b32_e32 v4, s17
	v_add_co_u32_e32 v40, vcc, s16, v38
	v_addc_co_u32_e32 v41, vcc, v39, v4, vcc
	global_load_dwordx2 v[4:5], v[38:39], off offset:256
	global_load_dwordx2 v[6:7], v[40:41], off offset:256
	s_cbranch_execz .LBB159_45
	s_branch .LBB159_52
.LBB159_44:                             ;   in Loop: Header=BB159_31 Depth=1
                                        ; implicit-def: $vgpr4_vgpr5_vgpr6_vgpr7
.LBB159_45:                             ;   in Loop: Header=BB159_31 Depth=1
                                        ; implicit-def: $vgpr4_vgpr5_vgpr6_vgpr7
	s_and_saveexec_b64 s[18:19], s[4:5]
	s_xor_b64 s[18:19], exec, s[18:19]
	s_cbranch_execz .LBB159_49
; %bb.46:                               ;   in Loop: Header=BB159_31 Depth=1
	s_waitcnt vmcnt(0)
	v_pk_mov_b32 v[6:7], v[2:3], v[2:3] op_sel:[0,1]
	v_pk_mov_b32 v[4:5], v[0:1], v[0:1] op_sel:[0,1]
	s_and_saveexec_b64 s[20:21], s[8:9]
	s_cbranch_execz .LBB159_48
; %bb.47:                               ;   in Loop: Header=BB159_31 Depth=1
	v_mov_b32_e32 v5, s27
	v_add_co_u32_e32 v4, vcc, s7, v16
	v_addc_co_u32_e32 v5, vcc, v5, v17, vcc
	global_load_dwordx2 v[38:39], v[4:5], off offset:256
	v_pk_mov_b32 v[6:7], v[2:3], v[2:3] op_sel:[0,1]
	v_pk_mov_b32 v[4:5], v[0:1], v[0:1] op_sel:[0,1]
	s_waitcnt vmcnt(0)
	v_mov_b32_e32 v4, v38
	v_mov_b32_e32 v5, v39
.LBB159_48:                             ;   in Loop: Header=BB159_31 Depth=1
	s_or_b64 exec, exec, s[20:21]
.LBB159_49:                             ;   in Loop: Header=BB159_31 Depth=1
	s_andn2_saveexec_b64 s[18:19], s[18:19]
	s_cbranch_execz .LBB159_51
; %bb.50:                               ;   in Loop: Header=BB159_31 Depth=1
	s_waitcnt vmcnt(1)
	v_mov_b32_e32 v4, s27
	v_add_co_u32_e32 v38, vcc, s7, v16
	v_addc_co_u32_e32 v39, vcc, v4, v17, vcc
	v_mov_b32_e32 v4, s17
	v_add_co_u32_e32 v40, vcc, s16, v38
	v_addc_co_u32_e32 v41, vcc, v39, v4, vcc
	global_load_dwordx2 v[4:5], v[38:39], off offset:256
	global_load_dwordx2 v[6:7], v[40:41], off offset:256
.LBB159_51:                             ;   in Loop: Header=BB159_31 Depth=1
	s_or_b64 exec, exec, s[18:19]
.LBB159_52:                             ;   in Loop: Header=BB159_31 Depth=1
	v_mov_b32_e32 v39, s31
	v_add_co_u32_e32 v38, vcc, s30, v18
	v_addc_co_u32_e32 v39, vcc, v39, v19, vcc
	global_load_dwordx2 v[38:39], v[38:39], off
.LBB159_53:                             ;   in Loop: Header=BB159_31 Depth=1
	s_waitcnt lgkmcnt(0)
	v_fma_f64 v[40:41], v[0:1], v[8:9], 0
	v_fma_f64 v[8:9], v[34:35], v[8:9], 0
	v_fmac_f64_e32 v[40:41], v[2:3], v[10:11]
	s_waitcnt vmcnt(0)
	v_fmac_f64_e32 v[8:9], v[36:37], v[10:11]
	s_barrier
	ds_write2_b64 v46, v[40:41], v[8:9] offset1:16
	s_waitcnt lgkmcnt(0)
	s_barrier
	s_and_saveexec_b64 s[18:19], s[0:1]
	s_cbranch_execz .LBB159_57
; %bb.54:                               ;   in Loop: Header=BB159_31 Depth=1
	v_add_co_u32_e32 v40, vcc, v26, v30
	v_addc_co_u32_e32 v41, vcc, v27, v31, vcc
	global_load_dwordx2 v[10:11], v[40:41], off
	ds_read2_b64 v[50:53], v48 offset1:32
	ds_read2_b64 v[54:57], v48 offset0:64 offset1:96
	ds_read2_b64 v[58:61], v48 offset0:128 offset1:160
	v_add_u32_e32 v42, 0x800, v48
	s_mov_b64 s[20:21], 0
	s_waitcnt lgkmcnt(2)
	v_add_f64 v[8:9], v[50:51], 0
	v_add_f64 v[8:9], v[8:9], v[52:53]
	ds_read2_b64 v[50:53], v48 offset0:192 offset1:224
	s_waitcnt lgkmcnt(2)
	v_add_f64 v[8:9], v[8:9], v[54:55]
	v_add_f64 v[8:9], v[8:9], v[56:57]
	s_waitcnt lgkmcnt(1)
	v_add_f64 v[8:9], v[8:9], v[58:59]
	ds_read2_b64 v[54:57], v42 offset1:32
	v_add_f64 v[8:9], v[8:9], v[60:61]
	s_waitcnt lgkmcnt(1)
	v_add_f64 v[8:9], v[8:9], v[50:51]
	v_add_f64 v[8:9], v[8:9], v[52:53]
	ds_read2_b64 v[50:53], v42 offset0:64 offset1:96
	ds_read2_b64 v[58:61], v42 offset0:128 offset1:160
	s_waitcnt lgkmcnt(2)
	v_add_f64 v[8:9], v[8:9], v[54:55]
	v_add_f64 v[8:9], v[8:9], v[56:57]
	ds_read2_b64 v[54:57], v42 offset0:192 offset1:224
	s_waitcnt lgkmcnt(2)
	v_add_f64 v[8:9], v[8:9], v[50:51]
	v_add_f64 v[8:9], v[8:9], v[52:53]
	s_waitcnt lgkmcnt(1)
	v_add_f64 v[8:9], v[8:9], v[58:59]
	v_add_f64 v[8:9], v[8:9], v[60:61]
	;; [unrolled: 3-line block ×3, first 2 shown]
	v_mul_f64 v[42:43], v[12:13], v[8:9]
.LBB159_55:                             ;   Parent Loop BB159_31 Depth=1
                                        ; =>  This Inner Loop Header: Depth=2
	s_waitcnt vmcnt(0)
	v_add_f64 v[8:9], v[10:11], v[42:43]
	global_atomic_cmpswap_x2 v[8:9], v[40:41], v[8:11], off glc
	s_waitcnt vmcnt(0)
	v_cmp_eq_u64_e32 vcc, v[8:9], v[10:11]
	s_or_b64 s[20:21], vcc, s[20:21]
	v_pk_mov_b32 v[10:11], v[8:9], v[8:9] op_sel:[0,1]
	s_andn2_b64 exec, exec, s[20:21]
	s_cbranch_execnz .LBB159_55
; %bb.56:                               ;   in Loop: Header=BB159_31 Depth=1
	s_or_b64 exec, exec, s[20:21]
	v_mov_b32_e32 v8, s15
	v_add_co_u32_e32 v26, vcc, s14, v26
	v_addc_co_u32_e32 v27, vcc, v27, v8, vcc
.LBB159_57:                             ;   in Loop: Header=BB159_31 Depth=1
	s_or_b64 exec, exec, s[18:19]
	s_add_u32 s7, s7, 0x100
	v_fmac_f64_e32 v[20:21], v[22:23], v[0:1]
	v_fmac_f64_e32 v[24:25], v[22:23], v[2:3]
	s_addc_u32 s27, s27, 0
	s_add_i32 s34, s34, 1
	v_fmac_f64_e32 v[20:21], v[32:33], v[34:35]
	v_fmac_f64_e32 v[24:25], v[32:33], v[36:37]
	s_cmp_eq_u32 s34, s24
	s_cbranch_scc1 .LBB159_59
; %bb.58:                               ;   in Loop: Header=BB159_31 Depth=1
	v_pk_mov_b32 v[0:1], v[4:5], v[4:5] op_sel:[0,1]
	v_pk_mov_b32 v[22:23], v[38:39], v[38:39] op_sel:[0,1]
	;; [unrolled: 1-line block ×5, first 2 shown]
	s_branch .LBB159_31
.LBB159_59:
	v_mov_b32_e32 v6, v15
.LBB159_60:
	s_waitcnt vmcnt(0)
	v_lshlrev_b32_e32 v0, 3, v6
	ds_write_b64 v0, v[20:21] offset:4096
	v_lshlrev_b32_e32 v0, 3, v45
	ds_write_b64 v0, v[24:25] offset:4096
	s_waitcnt lgkmcnt(0)
	s_barrier
	s_and_b64 exec, exec, s[0:1]
	s_cbranch_execz .LBB159_64
; %bb.61:
	s_cmp_lt_u32 s6, s25
	v_cmp_gt_i32_e32 vcc, s26, v44
	s_cselect_b64 s[0:1], -1, 0
	s_or_b64 s[0:1], vcc, s[0:1]
	s_and_b64 exec, exec, s[0:1]
	s_cbranch_execz .LBB159_64
; %bb.62:
	s_mul_i32 s0, s22, s11
	s_mul_hi_u32 s1, s22, s10
	s_add_i32 s0, s1, s0
	s_mul_i32 s1, s23, s10
	s_add_i32 s1, s0, s1
	s_mul_i32 s0, s22, s10
	s_lshl_b64 s[0:1], s[0:1], 3
	s_add_u32 s2, s28, s0
	s_addc_u32 s3, s29, s1
	v_mad_u64_u32 v[0:1], s[0:1], v44, s10, 0
	v_mov_b32_e32 v2, v1
	v_mad_u64_u32 v[2:3], s[0:1], v44, s11, v[2:3]
	v_mov_b32_e32 v1, v2
	v_lshlrev_b64 v[0:1], 3, v[0:1]
	v_mov_b32_e32 v2, s3
	v_add_co_u32_e32 v4, vcc, s2, v0
	v_addc_co_u32_e32 v5, vcc, v2, v1, vcc
	global_load_dwordx2 v[2:3], v[4:5], off
	v_lshlrev_b32_e32 v18, 4, v44
	v_add_u32_e32 v1, 1, v44
	v_and_or_b32 v1, v1, 15, v18
	v_lshlrev_b32_e32 v6, 3, v1
	v_add_u32_e32 v1, 2, v44
	v_or_b32_e32 v19, v14, v18
	v_and_or_b32 v1, v1, 15, v18
	v_lshlrev_b32_e32 v0, 3, v19
	v_lshlrev_b32_e32 v8, 3, v1
	v_add_u32_e32 v1, 3, v44
	v_and_or_b32 v10, v1, 15, v18
	ds_read_b64 v[0:1], v0 offset:4096
	ds_read_b64 v[6:7], v6 offset:4096
	;; [unrolled: 1-line block ×3, first 2 shown]
	v_lshlrev_b32_e32 v10, 3, v10
	ds_read_b64 v[10:11], v10 offset:4096
	s_waitcnt lgkmcnt(3)
	v_add_f64 v[0:1], v[0:1], 0
	s_waitcnt lgkmcnt(2)
	v_add_f64 v[0:1], v[0:1], v[6:7]
	v_add_u32_e32 v7, 5, v44
	v_and_or_b32 v7, v7, 15, v18
	s_waitcnt lgkmcnt(1)
	v_add_f64 v[0:1], v[0:1], v[8:9]
	v_lshlrev_b32_e32 v8, 3, v7
	v_add_u32_e32 v7, 6, v44
	v_and_or_b32 v7, v7, 15, v18
	v_add_u32_e32 v6, 4, v44
	v_lshlrev_b32_e32 v14, 3, v7
	v_add_u32_e32 v7, 7, v44
	v_and_or_b32 v6, v6, 15, v18
	v_and_or_b32 v7, v7, 15, v18
	v_lshlrev_b32_e32 v6, 3, v6
	v_lshlrev_b32_e32 v16, 3, v7
	ds_read_b64 v[6:7], v6 offset:4096
	ds_read_b64 v[8:9], v8 offset:4096
	;; [unrolled: 1-line block ×4, first 2 shown]
	s_waitcnt lgkmcnt(4)
	v_add_f64 v[0:1], v[0:1], v[10:11]
	s_waitcnt lgkmcnt(3)
	v_add_f64 v[0:1], v[0:1], v[6:7]
	v_add_u32_e32 v7, 9, v44
	v_and_or_b32 v7, v7, 15, v18
	s_waitcnt lgkmcnt(2)
	v_add_f64 v[0:1], v[0:1], v[8:9]
	v_lshlrev_b32_e32 v8, 3, v7
	v_add_u32_e32 v7, 10, v44
	v_xor_b32_e32 v6, 8, v19
	v_and_or_b32 v7, v7, 15, v18
	v_lshlrev_b32_e32 v6, 3, v6
	v_lshlrev_b32_e32 v10, 3, v7
	v_add_u32_e32 v7, 11, v44
	s_waitcnt lgkmcnt(1)
	v_add_f64 v[0:1], v[0:1], v[14:15]
	v_and_or_b32 v14, v7, 15, v18
	ds_read_b64 v[6:7], v6 offset:4096
	ds_read_b64 v[8:9], v8 offset:4096
	;; [unrolled: 1-line block ×3, first 2 shown]
	s_waitcnt lgkmcnt(3)
	v_add_f64 v[0:1], v[0:1], v[16:17]
	v_lshlrev_b32_e32 v14, 3, v14
	s_waitcnt lgkmcnt(2)
	v_add_f64 v[0:1], v[0:1], v[6:7]
	v_add_u32_e32 v7, 13, v44
	v_and_or_b32 v7, v7, 15, v18
	s_waitcnt lgkmcnt(1)
	v_add_f64 v[0:1], v[0:1], v[8:9]
	v_lshlrev_b32_e32 v8, 3, v7
	v_add_u32_e32 v7, 14, v44
	ds_read_b64 v[14:15], v14 offset:4096
	v_and_or_b32 v7, v7, 15, v18
	s_waitcnt lgkmcnt(1)
	v_add_f64 v[0:1], v[0:1], v[10:11]
	v_add_u32_e32 v6, 12, v44
	v_lshlrev_b32_e32 v10, 3, v7
	v_add_u32_e32 v7, -1, v44
	v_and_or_b32 v6, v6, 15, v18
	v_and_or_b32 v7, v7, 15, v18
	v_lshlrev_b32_e32 v6, 3, v6
	v_lshlrev_b32_e32 v16, 3, v7
	ds_read_b64 v[6:7], v6 offset:4096
	ds_read_b64 v[8:9], v8 offset:4096
	;; [unrolled: 1-line block ×4, first 2 shown]
	s_waitcnt lgkmcnt(4)
	v_add_f64 v[0:1], v[0:1], v[14:15]
	s_waitcnt lgkmcnt(3)
	v_add_f64 v[0:1], v[0:1], v[6:7]
	;; [unrolled: 2-line block ×5, first 2 shown]
	s_mov_b64 s[0:1], 0
	v_mul_f64 v[6:7], v[12:13], v[0:1]
.LBB159_63:                             ; =>This Inner Loop Header: Depth=1
	s_waitcnt vmcnt(0)
	v_add_f64 v[0:1], v[2:3], v[6:7]
	global_atomic_cmpswap_x2 v[0:1], v[4:5], v[0:3], off glc
	s_waitcnt vmcnt(0)
	v_cmp_eq_u64_e32 vcc, v[0:1], v[2:3]
	s_or_b64 s[0:1], vcc, s[0:1]
	v_pk_mov_b32 v[2:3], v[0:1], v[0:1] op_sel:[0,1]
	s_andn2_b64 exec, exec, s[0:1]
	s_cbranch_execnz .LBB159_63
.LBB159_64:
	s_endpgm
	.section	.rodata,"a",@progbits
	.p2align	6, 0x0
	.amdhsa_kernel _ZL62rocblas_symv_kernel_upper_double_buffered_non_diagonal_genericILi32ELi8ELi2ELi1E24rocblas_internal_val_ptrIdEPKPKdPKPdEvbiT3_lT4_lllSA_lllT5_lllii
		.amdhsa_group_segment_fixed_size 8448
		.amdhsa_private_segment_fixed_size 0
		.amdhsa_kernarg_size 384
		.amdhsa_user_sgpr_count 6
		.amdhsa_user_sgpr_private_segment_buffer 1
		.amdhsa_user_sgpr_dispatch_ptr 0
		.amdhsa_user_sgpr_queue_ptr 0
		.amdhsa_user_sgpr_kernarg_segment_ptr 1
		.amdhsa_user_sgpr_dispatch_id 0
		.amdhsa_user_sgpr_flat_scratch_init 0
		.amdhsa_user_sgpr_kernarg_preload_length 0
		.amdhsa_user_sgpr_kernarg_preload_offset 0
		.amdhsa_user_sgpr_private_segment_size 0
		.amdhsa_uses_dynamic_stack 0
		.amdhsa_system_sgpr_private_segment_wavefront_offset 0
		.amdhsa_system_sgpr_workgroup_id_x 1
		.amdhsa_system_sgpr_workgroup_id_y 1
		.amdhsa_system_sgpr_workgroup_id_z 1
		.amdhsa_system_sgpr_workgroup_info 0
		.amdhsa_system_vgpr_workitem_id 1
		.amdhsa_next_free_vgpr 62
		.amdhsa_next_free_sgpr 40
		.amdhsa_accum_offset 64
		.amdhsa_reserve_vcc 1
		.amdhsa_reserve_flat_scratch 0
		.amdhsa_float_round_mode_32 0
		.amdhsa_float_round_mode_16_64 0
		.amdhsa_float_denorm_mode_32 3
		.amdhsa_float_denorm_mode_16_64 3
		.amdhsa_dx10_clamp 1
		.amdhsa_ieee_mode 1
		.amdhsa_fp16_overflow 0
		.amdhsa_tg_split 0
		.amdhsa_exception_fp_ieee_invalid_op 0
		.amdhsa_exception_fp_denorm_src 0
		.amdhsa_exception_fp_ieee_div_zero 0
		.amdhsa_exception_fp_ieee_overflow 0
		.amdhsa_exception_fp_ieee_underflow 0
		.amdhsa_exception_fp_ieee_inexact 0
		.amdhsa_exception_int_div_zero 0
	.end_amdhsa_kernel
	.section	.text._ZL62rocblas_symv_kernel_upper_double_buffered_non_diagonal_genericILi32ELi8ELi2ELi1E24rocblas_internal_val_ptrIdEPKPKdPKPdEvbiT3_lT4_lllSA_lllT5_lllii,"axG",@progbits,_ZL62rocblas_symv_kernel_upper_double_buffered_non_diagonal_genericILi32ELi8ELi2ELi1E24rocblas_internal_val_ptrIdEPKPKdPKPdEvbiT3_lT4_lllSA_lllT5_lllii,comdat
.Lfunc_end159:
	.size	_ZL62rocblas_symv_kernel_upper_double_buffered_non_diagonal_genericILi32ELi8ELi2ELi1E24rocblas_internal_val_ptrIdEPKPKdPKPdEvbiT3_lT4_lllSA_lllT5_lllii, .Lfunc_end159-_ZL62rocblas_symv_kernel_upper_double_buffered_non_diagonal_genericILi32ELi8ELi2ELi1E24rocblas_internal_val_ptrIdEPKPKdPKPdEvbiT3_lT4_lllSA_lllT5_lllii
                                        ; -- End function
	.section	.AMDGPU.csdata,"",@progbits
; Kernel info:
; codeLenInByte = 3244
; NumSgprs: 44
; NumVgprs: 62
; NumAgprs: 0
; TotalNumVgprs: 62
; ScratchSize: 0
; MemoryBound: 1
; FloatMode: 240
; IeeeMode: 1
; LDSByteSize: 8448 bytes/workgroup (compile time only)
; SGPRBlocks: 5
; VGPRBlocks: 7
; NumSGPRsForWavesPerEU: 44
; NumVGPRsForWavesPerEU: 62
; AccumOffset: 64
; Occupancy: 7
; WaveLimiterHint : 1
; COMPUTE_PGM_RSRC2:SCRATCH_EN: 0
; COMPUTE_PGM_RSRC2:USER_SGPR: 6
; COMPUTE_PGM_RSRC2:TRAP_HANDLER: 0
; COMPUTE_PGM_RSRC2:TGID_X_EN: 1
; COMPUTE_PGM_RSRC2:TGID_Y_EN: 1
; COMPUTE_PGM_RSRC2:TGID_Z_EN: 1
; COMPUTE_PGM_RSRC2:TIDIG_COMP_CNT: 1
; COMPUTE_PGM_RSRC3_GFX90A:ACCUM_OFFSET: 15
; COMPUTE_PGM_RSRC3_GFX90A:TG_SPLIT: 0
	.section	.text._ZL26rocblas_hemvn_kernel_upperILb0ELi64ELi4ELi33ELi32ELi16ElPKdPKS1_PdEviT6_lT7_lT5_lS6_lS7_lS5_lT8_i,"axG",@progbits,_ZL26rocblas_hemvn_kernel_upperILb0ELi64ELi4ELi33ELi32ELi16ElPKdPKS1_PdEviT6_lT7_lT5_lS6_lS7_lS5_lT8_i,comdat
	.globl	_ZL26rocblas_hemvn_kernel_upperILb0ELi64ELi4ELi33ELi32ELi16ElPKdPKS1_PdEviT6_lT7_lT5_lS6_lS7_lS5_lT8_i ; -- Begin function _ZL26rocblas_hemvn_kernel_upperILb0ELi64ELi4ELi33ELi32ELi16ElPKdPKS1_PdEviT6_lT7_lT5_lS6_lS7_lS5_lT8_i
	.p2align	8
	.type	_ZL26rocblas_hemvn_kernel_upperILb0ELi64ELi4ELi33ELi32ELi16ElPKdPKS1_PdEviT6_lT7_lT5_lS6_lS7_lS5_lT8_i,@function
_ZL26rocblas_hemvn_kernel_upperILb0ELi64ELi4ELi33ELi32ELi16ElPKdPKS1_PdEviT6_lT7_lT5_lS6_lS7_lS5_lT8_i: ; @_ZL26rocblas_hemvn_kernel_upperILb0ELi64ELi4ELi33ELi32ELi16ElPKdPKS1_PdEviT6_lT7_lT5_lS6_lS7_lS5_lT8_i
; %bb.0:
	s_load_dwordx2 s[0:1], s[4:5], 0x84
	s_add_u32 s18, s4, 0x78
	s_addc_u32 s19, s5, 0
	s_waitcnt lgkmcnt(0)
	s_lshr_b32 s2, s0, 16
	s_and_b32 s0, s0, 0xffff
	s_and_b32 s1, s1, 0xffff
	s_mul_i32 s0, s2, s0
	s_mul_i32 s0, s0, s1
	s_cmpk_lg_i32 s0, 0x100
	s_cbranch_scc1 .LBB160_130
; %bb.1:
	s_load_dwordx8 s[8:15], s[4:5], 0x8
	s_load_dwordx4 s[20:23], s[4:5], 0x58
	s_mov_b32 s26, s7
	s_waitcnt lgkmcnt(0)
	s_mul_i32 s1, s7, s11
	s_mul_hi_u32 s2, s7, s10
	s_mul_i32 s0, s7, s10
	s_add_i32 s1, s2, s1
	s_lshl_b64 s[0:1], s[0:1], 3
	s_mul_i32 s3, s7, s23
	s_add_u32 s0, s8, s0
	s_mul_hi_u32 s2, s7, s22
	s_addc_u32 s1, s9, s1
	s_add_i32 s3, s2, s3
	s_mul_i32 s2, s7, s22
	s_lshl_b64 s[2:3], s[2:3], 3
	s_add_u32 s2, s20, s2
	s_addc_u32 s3, s21, s3
	s_load_dwordx2 s[0:1], s[0:1], 0x0
	s_nop 0
	s_load_dwordx2 s[8:9], s[2:3], 0x0
	s_waitcnt lgkmcnt(0)
	v_cmp_eq_f64_e64 s[2:3], s[0:1], 0
	v_cmp_eq_f64_e64 s[8:9], s[8:9], 1.0
	s_and_b64 s[8:9], s[2:3], s[8:9]
	s_and_b64 vcc, exec, s[8:9]
	s_cbranch_vccnz .LBB160_130
; %bb.2:
	s_load_dwordx2 s[22:23], s[4:5], 0x28
	s_mov_b32 s27, 0
	s_mov_b64 s[20:21], 0
	v_cmp_neq_f64_e64 s[24:25], s[0:1], 0
	s_and_b64 vcc, exec, s[2:3]
	s_mov_b64 s[2:3], 0
	s_cbranch_vccnz .LBB160_4
; %bb.3:
	s_lshl_b64 s[0:1], s[26:27], 3
	s_add_u32 s0, s12, s0
	s_addc_u32 s1, s13, s1
	s_load_dwordx2 s[0:1], s[0:1], 0x0
	s_lshl_b64 s[2:3], s[14:15], 3
	s_waitcnt lgkmcnt(0)
	s_add_u32 s2, s0, s2
	s_addc_u32 s3, s1, s3
.LBB160_4:
	s_load_dwordx4 s[8:11], s[4:5], 0x38
	s_load_dwordx2 s[16:17], s[4:5], 0x48
	v_cndmask_b32_e64 v1, 0, 1, s[24:25]
	v_cmp_ne_u32_e64 s[0:1], 1, v1
	s_andn2_b64 vcc, exec, s[24:25]
	s_cbranch_vccnz .LBB160_6
; %bb.5:
	s_lshl_b64 s[12:13], s[26:27], 3
	s_waitcnt lgkmcnt(0)
	s_add_u32 s8, s8, s12
	s_addc_u32 s9, s9, s13
	s_load_dwordx2 s[8:9], s[8:9], 0x0
	s_lshl_b64 s[10:11], s[10:11], 3
	s_waitcnt lgkmcnt(0)
	s_add_u32 s20, s8, s10
	s_addc_u32 s21, s9, s11
.LBB160_6:
	s_and_b64 vcc, exec, s[0:1]
	s_cbranch_vccnz .LBB160_130
; %bb.7:
	s_load_dword s7, s[18:19], 0x0
	s_load_dwordx2 s[28:29], s[4:5], 0x68
	s_load_dword s33, s[4:5], 0x0
	v_and_b32_e32 v61, 0x3ff, v0
	s_lshl_b32 s24, s6, 6
	v_add_u32_e32 v24, s24, v61
	s_waitcnt lgkmcnt(0)
	s_add_i32 s0, s7, -1
	s_ashr_i32 s38, s33, 31
	s_lshr_b32 s1, s38, 26
	s_add_i32 s1, s33, s1
	s_andn2_b32 s1, s1, 63
	s_sub_i32 s27, s33, s1
	v_ashrrev_i32_e32 v25, 31, v24
	v_bfe_u32 v120, v0, 10, 10
	s_cmp_eq_u32 s6, s0
	v_mul_lo_u32 v2, v25, s16
	v_mul_lo_u32 v3, v24, s17
	v_mad_u64_u32 v[0:1], s[0:1], v24, s16, 0
	v_add3_u32 v1, v1, v3, v2
	v_lshlrev_b64 v[0:1], 3, v[0:1]
	v_mov_b32_e32 v2, s21
	v_add_co_u32_e32 v14, vcc, s20, v0
	s_cselect_b32 s18, s27, 0
	v_addc_co_u32_e32 v15, vcc, v2, v1, vcc
	v_cmp_eq_u32_e64 s[0:1], 0, v120
	s_and_saveexec_b64 s[4:5], s[0:1]
	s_cbranch_execz .LBB160_11
; %bb.8:
	s_cmp_eq_u32 s18, 0
	s_cselect_b64 s[8:9], -1, 0
	v_cmp_gt_i32_e32 vcc, s18, v61
	s_or_b64 s[10:11], s[8:9], vcc
	v_pk_mov_b32 v[0:1], 0, 0
	s_and_saveexec_b64 s[8:9], s[10:11]
	s_cbranch_execz .LBB160_10
; %bb.9:
	flat_load_dwordx2 v[0:1], v[14:15]
.LBB160_10:
	s_or_b64 exec, exec, s[8:9]
	v_lshlrev_b32_e32 v2, 3, v61
	s_waitcnt vmcnt(0) lgkmcnt(0)
	ds_write_b64 v2, v[0:1] offset:9088
.LBB160_11:
	s_or_b64 exec, exec, s[4:5]
	s_ashr_i32 s25, s24, 31
	v_lshl_add_u32 v22, v120, 6, v61
	s_lshl_b64 s[4:5], s[24:25], 3
	v_and_b32_e32 v0, 31, v61
	v_lshrrev_b32_e32 v18, 5, v22
	s_add_u32 s4, s2, s4
	v_mov_b32_e32 v1, 0
	s_addc_u32 s5, s3, s5
	v_mad_u64_u32 v[2:3], s[2:3], v18, s22, v[0:1]
	v_mov_b32_e32 v4, v3
	v_mad_u64_u32 v[4:5], s[2:3], v18, s23, v[4:5]
	s_mul_i32 s2, s24, s23
	s_mul_hi_u32 s3, s24, s22
	s_add_i32 s2, s3, s2
	s_mul_i32 s3, s25, s22
	s_add_i32 s3, s2, s3
	s_mul_i32 s2, s24, s22
	s_lshl_b64 s[2:3], s[2:3], 3
	s_add_u32 s2, s2, s4
	v_mov_b32_e32 v3, v4
	s_addc_u32 s3, s3, s5
	v_lshlrev_b64 v[12:13], 3, v[2:3]
	s_cmp_eq_u32 s18, 0
	v_mov_b32_e32 v1, s3
	v_add_co_u32_e32 v4, vcc, s2, v12
	s_cselect_b64 s[20:21], -1, 0
	s_cmp_lg_u32 s18, 0
	v_addc_co_u32_e32 v5, vcc, v1, v13, vcc
	s_cselect_b64 s[30:31], -1, 0
	s_and_b64 vcc, exec, s[30:31]
	v_cmp_gt_i32_e64 s[2:3], s18, v0
	v_lshlrev_b32_e32 v1, 3, v0
	s_mul_i32 s39, s23, 0xc0
	s_cbranch_vccz .LBB160_21
; %bb.12:
	v_sub_co_u32_e32 v2, vcc, v4, v1
	s_ashr_i32 s19, s18, 31
	v_subbrev_co_u32_e32 v3, vcc, 0, v5, vcc
	s_lshl_b64 s[4:5], s[18:19], 3
	v_mov_b32_e32 v6, s5
	v_add_co_u32_e32 v2, vcc, s4, v2
	v_addc_co_u32_e32 v3, vcc, v3, v6, vcc
	v_add_co_u32_e32 v2, vcc, -8, v2
	v_addc_co_u32_e32 v3, vcc, -1, v3, vcc
	v_pk_mov_b32 v[6:7], 0, 0
	v_cndmask_b32_e64 v3, v3, v5, s[2:3]
	v_cndmask_b32_e64 v2, v2, v4, s[2:3]
	v_cmp_gt_i32_e32 vcc, s18, v18
	v_pk_mov_b32 v[8:9], v[6:7], v[6:7] op_sel:[0,1]
	s_and_saveexec_b64 s[8:9], vcc
	s_cbranch_execz .LBB160_14
; %bb.13:
	flat_load_dwordx2 v[8:9], v[2:3]
.LBB160_14:
	s_or_b64 exec, exec, s[8:9]
	v_mul_u32_u24_e32 v10, 33, v18
	v_add_lshl_u32 v10, v10, v0, 3
	s_waitcnt vmcnt(0) lgkmcnt(0)
	ds_write_b64 v10, v[8:9]
	v_add_u32_e32 v8, 8, v18
	v_cmp_gt_i32_e32 vcc, s18, v8
	s_and_saveexec_b64 s[8:9], vcc
	s_cbranch_execz .LBB160_16
; %bb.15:
	s_lshl_b64 s[10:11], s[22:23], 6
	v_mov_b32_e32 v7, s11
	v_add_co_u32_e32 v6, vcc, s10, v2
	v_addc_co_u32_e32 v7, vcc, v3, v7, vcc
	flat_load_dwordx2 v[6:7], v[6:7]
.LBB160_16:
	s_or_b64 exec, exec, s[8:9]
	s_waitcnt vmcnt(0) lgkmcnt(0)
	ds_write_b64 v10, v[6:7] offset:2112
	v_add_u32_e32 v6, 16, v18
	v_cmp_gt_i32_e32 vcc, s18, v6
	v_pk_mov_b32 v[6:7], 0, 0
	v_pk_mov_b32 v[8:9], v[6:7], v[6:7] op_sel:[0,1]
	s_and_saveexec_b64 s[8:9], vcc
	s_cbranch_execz .LBB160_18
; %bb.17:
	s_lshl_b64 s[10:11], s[22:23], 7
	v_mov_b32_e32 v9, s11
	v_add_co_u32_e32 v8, vcc, s10, v2
	v_addc_co_u32_e32 v9, vcc, v3, v9, vcc
	flat_load_dwordx2 v[8:9], v[8:9]
.LBB160_18:
	s_or_b64 exec, exec, s[8:9]
	s_waitcnt vmcnt(0) lgkmcnt(0)
	ds_write_b64 v10, v[8:9] offset:4224
	v_add_u32_e32 v8, 24, v18
	v_cmp_gt_i32_e32 vcc, s18, v8
	s_and_saveexec_b64 s[8:9], vcc
	s_cbranch_execz .LBB160_20
; %bb.19:
	v_mov_b32_e32 v6, 0xc0
	v_mad_u64_u32 v[6:7], s[10:11], s22, v6, v[2:3]
	v_add_u32_e32 v7, s39, v7
	flat_load_dwordx2 v[6:7], v[6:7]
.LBB160_20:
	s_or_b64 exec, exec, s[8:9]
	v_add_co_u32_e32 v2, vcc, v2, v1
	v_addc_co_u32_e32 v3, vcc, 0, v3, vcc
	s_waitcnt vmcnt(0) lgkmcnt(0)
	ds_write_b64 v10, v[6:7] offset:6336
	v_mov_b32_e32 v6, s5
	v_subrev_co_u32_e32 v2, vcc, s4, v2
	v_subb_co_u32_e32 v3, vcc, v3, v6, vcc
	v_add_co_u32_e32 v2, vcc, 8, v2
	v_addc_co_u32_e32 v3, vcc, 0, v3, vcc
	v_cndmask_b32_e64 v3, v3, v5, s[2:3]
	v_cndmask_b32_e64 v2, v2, v4, s[2:3]
	v_mul_u32_u24_e32 v20, 33, v18
	s_branch .LBB160_23
.LBB160_21:
                                        ; implicit-def: $vgpr2_vgpr3
	v_mul_u32_u24_e32 v20, 33, v18
	s_cbranch_execz .LBB160_23
; %bb.22:
	flat_load_dwordx2 v[2:3], v[4:5]
	s_lshl_b64 s[2:3], s[22:23], 6
	v_add_lshl_u32 v8, v20, v0, 3
	v_mov_b32_e32 v9, s3
	v_add_co_u32_e32 v6, vcc, s2, v4
	v_addc_co_u32_e32 v7, vcc, v5, v9, vcc
	s_waitcnt vmcnt(0) lgkmcnt(0)
	ds_write_b64 v8, v[2:3]
	flat_load_dwordx2 v[2:3], v[6:7]
	v_add_co_u32_e32 v6, vcc, s2, v6
	v_addc_co_u32_e32 v7, vcc, v7, v9, vcc
	s_waitcnt vmcnt(0) lgkmcnt(0)
	ds_write_b64 v8, v[2:3] offset:2112
	flat_load_dwordx2 v[2:3], v[6:7]
	v_mov_b32_e32 v6, 0xc0
	v_mad_u64_u32 v[6:7], s[2:3], s22, v6, v[4:5]
	v_add_u32_e32 v7, s39, v7
	s_waitcnt vmcnt(0) lgkmcnt(0)
	ds_write_b64 v8, v[2:3] offset:4224
	flat_load_dwordx2 v[2:3], v[6:7]
	s_waitcnt vmcnt(0) lgkmcnt(0)
	ds_write_b64 v8, v[2:3] offset:6336
	v_pk_mov_b32 v[2:3], v[4:5], v[4:5] op_sel:[0,1]
.LBB160_23:
	v_lshlrev_b32_e32 v4, 2, v18
	v_mul_u32_u24_e32 v19, 33, v0
	v_cmp_gt_u32_e64 s[4:5], v4, v0
	v_add_lshl_u32 v16, v4, v19, 3
	s_waitcnt lgkmcnt(0)
	s_barrier
	s_and_saveexec_b64 s[2:3], s[4:5]
	s_cbranch_execz .LBB160_25
; %bb.24:
	v_mul_u32_u24_e32 v5, 0x84, v18
	v_add_lshl_u32 v5, v5, v0, 3
	ds_read_b64 v[6:7], v5
	s_waitcnt lgkmcnt(0)
	ds_write_b64 v16, v[6:7]
.LBB160_25:
	s_or_b64 exec, exec, s[2:3]
	v_cmp_ge_u32_e64 s[14:15], v4, v0
	s_and_saveexec_b64 s[2:3], s[14:15]
	s_cbranch_execz .LBB160_27
; %bb.26:
	v_or_b32_e32 v5, 1, v4
	v_mul_u32_u24_e32 v5, 33, v5
	v_add_lshl_u32 v5, v5, v0, 3
	ds_read_b64 v[6:7], v5
	s_waitcnt lgkmcnt(0)
	ds_write_b64 v16, v[6:7] offset:8
.LBB160_27:
	s_or_b64 exec, exec, s[2:3]
	v_or_b32_e32 v5, 2, v4
	v_cmp_gt_u32_e64 s[8:9], v5, v0
	s_and_saveexec_b64 s[2:3], s[8:9]
	s_cbranch_execz .LBB160_29
; %bb.28:
	v_mul_u32_u24_e32 v5, 33, v5
	v_add_lshl_u32 v5, v5, v0, 3
	ds_read_b64 v[6:7], v5
	s_waitcnt lgkmcnt(0)
	ds_write_b64 v16, v[6:7] offset:16
.LBB160_29:
	s_or_b64 exec, exec, s[2:3]
	v_or_b32_e32 v5, 3, v4
	v_cmp_gt_u32_e64 s[10:11], v5, v0
	v_mad_u32_u24 v5, v5, 33, v0
	v_lshlrev_b32_e32 v29, 3, v5
	s_and_saveexec_b64 s[2:3], s[10:11]
	s_cbranch_execz .LBB160_31
; %bb.30:
	ds_read_b64 v[6:7], v29
	s_waitcnt lgkmcnt(0)
	ds_write_b64 v16, v[6:7] offset:24
.LBB160_31:
	s_or_b64 exec, exec, s[2:3]
	v_mul_u32_u24_e32 v5, 0x84, v18
	v_add_lshl_u32 v21, v5, v0, 3
	s_waitcnt lgkmcnt(0)
	s_barrier
	v_lshlrev_b32_e32 v17, 3, v4
	ds_read_b64 v[36:37], v21
	ds_read_b128 v[4:7], v17 offset:9088
	v_add_u32_e32 v30, 0xfffffdf0, v29
	ds_read2_b64 v[8:11], v30 offset1:33
	ds_read_b128 v[32:35], v17 offset:9104
	ds_read_b64 v[38:39], v29
	v_pk_mov_b32 v[26:27], 0, 0
	v_add_lshl_u32 v28, v18, v19, 3
	s_waitcnt lgkmcnt(3)
	v_fma_f64 v[4:5], v[36:37], v[4:5], 0
	s_waitcnt lgkmcnt(2)
	v_fmac_f64_e32 v[4:5], v[8:9], v[6:7]
	s_waitcnt lgkmcnt(1)
	v_fmac_f64_e32 v[4:5], v[10:11], v[32:33]
	;; [unrolled: 2-line block ×3, first 2 shown]
	v_cmp_gt_u32_e64 s[2:3], 32, v22
	v_lshlrev_b32_e32 v23, 3, v19
	s_barrier
	ds_write_b64 v28, v[4:5]
	s_waitcnt lgkmcnt(0)
	s_barrier
	s_and_saveexec_b64 s[12:13], s[2:3]
	s_cbranch_execz .LBB160_33
; %bb.32:
	ds_read2_b64 v[4:7], v23 offset1:1
	ds_read2_b64 v[8:11], v23 offset0:2 offset1:3
	ds_read2_b64 v[32:35], v23 offset0:4 offset1:5
	s_waitcnt lgkmcnt(2)
	v_add_f64 v[26:27], v[4:5], v[6:7]
	ds_read2_b64 v[4:7], v23 offset0:6 offset1:7
	s_waitcnt lgkmcnt(2)
	v_add_f64 v[8:9], v[26:27], v[8:9]
	v_add_f64 v[8:9], v[8:9], v[10:11]
	s_waitcnt lgkmcnt(1)
	v_add_f64 v[8:9], v[8:9], v[32:33]
	v_add_f64 v[8:9], v[8:9], v[34:35]
	;; [unrolled: 3-line block ×3, first 2 shown]
.LBB160_33:
	s_or_b64 exec, exec, s[12:13]
	s_lshl_b64 s[12:13], s[22:23], 8
	v_mov_b32_e32 v4, s13
	v_add_co_u32_e32 v6, vcc, s12, v2
	v_addc_co_u32_e32 v7, vcc, v3, v4, vcc
	v_add_co_u32_e32 v4, vcc, 0x100, v6
	v_addc_co_u32_e32 v5, vcc, 0, v7, vcc
	s_and_b64 vcc, exec, s[30:31]
	s_barrier
	s_cbranch_vccz .LBB160_43
; %bb.34:
	v_or_b32_e32 v2, 32, v0
	v_lshlrev_b32_e32 v3, 3, v2
	v_sub_co_u32_e32 v3, vcc, v4, v3
	s_ashr_i32 s19, s18, 31
	v_subbrev_co_u32_e32 v8, vcc, 0, v5, vcc
	s_lshl_b64 s[34:35], s[18:19], 3
	v_mov_b32_e32 v9, s35
	v_add_co_u32_e32 v3, vcc, s34, v3
	v_addc_co_u32_e32 v8, vcc, v8, v9, vcc
	v_add_co_u32_e32 v9, vcc, -8, v3
	v_cmp_gt_i32_e64 s[12:13], s18, v2
	v_addc_co_u32_e32 v3, vcc, -1, v8, vcc
	v_cndmask_b32_e64 v2, v9, v4, s[12:13]
	s_sub_i32 s19, s18, 32
	v_pk_mov_b32 v[8:9], 0, 0
	v_cndmask_b32_e64 v3, v3, v5, s[12:13]
	v_cmp_gt_i32_e32 vcc, s19, v18
	v_pk_mov_b32 v[10:11], v[8:9], v[8:9] op_sel:[0,1]
	s_and_saveexec_b64 s[36:37], vcc
	s_cbranch_execz .LBB160_36
; %bb.35:
	flat_load_dwordx2 v[10:11], v[2:3]
.LBB160_36:
	s_or_b64 exec, exec, s[36:37]
	v_add_lshl_u32 v31, v20, v0, 3
	s_waitcnt vmcnt(0) lgkmcnt(0)
	ds_write_b64 v31, v[10:11]
	v_add_u32_e32 v10, 8, v18
	v_cmp_gt_i32_e32 vcc, s19, v10
	s_and_saveexec_b64 s[36:37], vcc
	s_cbranch_execz .LBB160_38
; %bb.37:
	s_lshl_b64 s[40:41], s[22:23], 6
	v_mov_b32_e32 v9, s41
	v_add_co_u32_e32 v8, vcc, s40, v2
	v_addc_co_u32_e32 v9, vcc, v3, v9, vcc
	flat_load_dwordx2 v[8:9], v[8:9]
.LBB160_38:
	s_or_b64 exec, exec, s[36:37]
	s_waitcnt vmcnt(0) lgkmcnt(0)
	ds_write_b64 v31, v[8:9] offset:2112
	v_add_u32_e32 v8, 16, v18
	v_cmp_gt_i32_e32 vcc, s19, v8
	v_pk_mov_b32 v[8:9], 0, 0
	v_pk_mov_b32 v[10:11], v[8:9], v[8:9] op_sel:[0,1]
	s_and_saveexec_b64 s[36:37], vcc
	s_cbranch_execz .LBB160_40
; %bb.39:
	s_lshl_b64 s[40:41], s[22:23], 7
	v_mov_b32_e32 v11, s41
	v_add_co_u32_e32 v10, vcc, s40, v2
	v_addc_co_u32_e32 v11, vcc, v3, v11, vcc
	flat_load_dwordx2 v[10:11], v[10:11]
.LBB160_40:
	s_or_b64 exec, exec, s[36:37]
	s_waitcnt vmcnt(0) lgkmcnt(0)
	ds_write_b64 v31, v[10:11] offset:4224
	v_add_u32_e32 v10, 24, v18
	v_cmp_gt_i32_e32 vcc, s19, v10
	s_and_saveexec_b64 s[36:37], vcc
	s_cbranch_execz .LBB160_42
; %bb.41:
	v_mov_b32_e32 v8, 0xc0
	v_mad_u64_u32 v[8:9], s[40:41], s22, v8, v[2:3]
	v_add_u32_e32 v9, s39, v9
	flat_load_dwordx2 v[8:9], v[8:9]
.LBB160_42:
	s_or_b64 exec, exec, s[36:37]
	v_add_co_u32_e32 v2, vcc, v2, v1
	v_addc_co_u32_e32 v3, vcc, 0, v3, vcc
	s_waitcnt vmcnt(0) lgkmcnt(0)
	ds_write_b64 v31, v[8:9] offset:6336
	v_mov_b32_e32 v8, s35
	v_subrev_co_u32_e32 v2, vcc, s34, v2
	v_subb_co_u32_e32 v3, vcc, v3, v8, vcc
	v_add_co_u32_e32 v2, vcc, 0x108, v2
	v_addc_co_u32_e32 v3, vcc, 0, v3, vcc
	v_cndmask_b32_e64 v3, v3, v5, s[12:13]
	v_cndmask_b32_e64 v2, v2, v4, s[12:13]
	s_branch .LBB160_45
.LBB160_43:
                                        ; implicit-def: $vgpr2_vgpr3
	s_cbranch_execz .LBB160_45
; %bb.44:
	flat_load_dwordx2 v[2:3], v[6:7] offset:256
	s_lshl_b64 s[12:13], s[22:23], 6
	v_add_lshl_u32 v10, v20, v0, 3
	v_mov_b32_e32 v11, s13
	v_add_co_u32_e32 v8, vcc, s12, v6
	v_addc_co_u32_e32 v9, vcc, v7, v11, vcc
	s_waitcnt vmcnt(0) lgkmcnt(0)
	ds_write_b64 v10, v[2:3]
	flat_load_dwordx2 v[2:3], v[8:9] offset:256
	v_add_co_u32_e32 v8, vcc, s12, v8
	v_addc_co_u32_e32 v9, vcc, v9, v11, vcc
	s_waitcnt vmcnt(0) lgkmcnt(0)
	ds_write_b64 v10, v[2:3] offset:2112
	flat_load_dwordx2 v[2:3], v[8:9] offset:256
	v_mov_b32_e32 v8, 0xc0
	v_mad_u64_u32 v[6:7], s[12:13], s22, v8, v[6:7]
	v_add_u32_e32 v7, s39, v7
	s_waitcnt vmcnt(0) lgkmcnt(0)
	ds_write_b64 v10, v[2:3] offset:4224
	flat_load_dwordx2 v[2:3], v[6:7] offset:256
	s_waitcnt vmcnt(0) lgkmcnt(0)
	ds_write_b64 v10, v[2:3] offset:6336
	v_pk_mov_b32 v[2:3], v[4:5], v[4:5] op_sel:[0,1]
.LBB160_45:
	s_waitcnt lgkmcnt(0)
	s_barrier
	s_and_saveexec_b64 s[12:13], s[4:5]
	s_cbranch_execnz .LBB160_62
; %bb.46:
	s_or_b64 exec, exec, s[12:13]
	s_and_saveexec_b64 s[4:5], s[14:15]
	s_cbranch_execnz .LBB160_63
.LBB160_47:
	s_or_b64 exec, exec, s[4:5]
	s_and_saveexec_b64 s[4:5], s[8:9]
	s_cbranch_execnz .LBB160_64
.LBB160_48:
	s_or_b64 exec, exec, s[4:5]
	v_add_u32_e32 v31, 0x2380, v17
	s_and_saveexec_b64 s[4:5], s[10:11]
	s_cbranch_execz .LBB160_50
.LBB160_49:
	ds_read_b64 v[4:5], v29
	s_waitcnt lgkmcnt(0)
	ds_write_b64 v16, v[4:5] offset:24
.LBB160_50:
	s_or_b64 exec, exec, s[4:5]
	s_waitcnt lgkmcnt(0)
	s_barrier
	ds_read_b64 v[16:17], v21
	ds_read_b128 v[4:7], v31 offset:256
	ds_read2_b64 v[8:11], v30 offset1:33
	ds_read_b128 v[32:35], v31 offset:272
	ds_read_b64 v[36:37], v29
	v_cmp_eq_u32_e64 s[4:5], 1, v18
	s_waitcnt lgkmcnt(3)
	v_fma_f64 v[4:5], v[16:17], v[4:5], 0
	s_waitcnt lgkmcnt(2)
	v_fmac_f64_e32 v[4:5], v[8:9], v[6:7]
	s_waitcnt lgkmcnt(1)
	v_fmac_f64_e32 v[4:5], v[10:11], v[32:33]
	;; [unrolled: 2-line block ×3, first 2 shown]
	s_barrier
	ds_write_b64 v28, v[4:5]
	s_waitcnt lgkmcnt(0)
	s_barrier
	s_and_saveexec_b64 s[8:9], s[4:5]
	s_cbranch_execz .LBB160_52
; %bb.51:
	ds_read2_b64 v[4:7], v23 offset1:1
	ds_read2_b64 v[8:11], v23 offset0:2 offset1:3
	ds_read2_b64 v[32:35], v23 offset0:4 offset1:5
	s_waitcnt lgkmcnt(2)
	v_add_f64 v[16:17], v[4:5], v[6:7]
	ds_read2_b64 v[4:7], v23 offset0:6 offset1:7
	s_waitcnt lgkmcnt(2)
	v_add_f64 v[8:9], v[16:17], v[8:9]
	v_add_f64 v[8:9], v[8:9], v[10:11]
	s_waitcnt lgkmcnt(1)
	v_add_f64 v[8:9], v[8:9], v[32:33]
	v_add_f64 v[8:9], v[8:9], v[34:35]
	;; [unrolled: 3-line block ×3, first 2 shown]
.LBB160_52:
	s_or_b64 exec, exec, s[8:9]
	v_add_co_u32_e32 v2, vcc, 0xffffff00, v2
	v_addc_co_u32_e32 v3, vcc, -1, v3, vcc
	s_and_b64 vcc, exec, s[30:31]
	s_barrier
	s_cbranch_vccz .LBB160_65
; %bb.53:
	v_sub_co_u32_e32 v4, vcc, v2, v1
	s_ashr_i32 s19, s18, 31
	v_subbrev_co_u32_e32 v5, vcc, 0, v3, vcc
	s_lshl_b64 s[10:11], s[18:19], 3
	v_mov_b32_e32 v6, s11
	v_add_co_u32_e32 v4, vcc, s10, v4
	v_addc_co_u32_e32 v5, vcc, v5, v6, vcc
	v_add_co_u32_e32 v4, vcc, -8, v4
	v_addc_co_u32_e32 v5, vcc, -1, v5, vcc
	v_cmp_gt_i32_e32 vcc, s18, v0
	s_sub_i32 s14, s18, 32
	v_pk_mov_b32 v[6:7], 0, 0
	v_cndmask_b32_e32 v5, v5, v3, vcc
	v_cndmask_b32_e32 v4, v4, v2, vcc
	v_cmp_gt_i32_e64 s[8:9], s14, v18
	v_pk_mov_b32 v[8:9], v[6:7], v[6:7] op_sel:[0,1]
	s_and_saveexec_b64 s[12:13], s[8:9]
	s_cbranch_execz .LBB160_55
; %bb.54:
	flat_load_dwordx2 v[8:9], v[4:5]
.LBB160_55:
	s_or_b64 exec, exec, s[12:13]
	v_add_u32_e32 v10, 8, v18
	v_add_lshl_u32 v16, v20, v0, 3
	v_cmp_gt_i32_e64 s[8:9], s14, v10
	s_waitcnt vmcnt(0) lgkmcnt(0)
	ds_write_b64 v16, v[8:9]
	s_and_saveexec_b64 s[12:13], s[8:9]
	s_cbranch_execz .LBB160_57
; %bb.56:
	s_lshl_b64 s[8:9], s[22:23], 6
	v_mov_b32_e32 v7, s9
	v_add_co_u32_e64 v6, s[8:9], s8, v4
	v_addc_co_u32_e64 v7, s[8:9], v5, v7, s[8:9]
	flat_load_dwordx2 v[6:7], v[6:7]
.LBB160_57:
	s_or_b64 exec, exec, s[12:13]
	s_waitcnt vmcnt(0) lgkmcnt(0)
	ds_write_b64 v16, v[6:7] offset:2112
	v_add_u32_e32 v11, 16, v18
	v_pk_mov_b32 v[6:7], 0, 0
	v_cmp_gt_i32_e64 s[8:9], s14, v11
	v_pk_mov_b32 v[8:9], v[6:7], v[6:7] op_sel:[0,1]
	s_and_saveexec_b64 s[12:13], s[8:9]
	s_cbranch_execz .LBB160_59
; %bb.58:
	s_lshl_b64 s[8:9], s[22:23], 7
	v_mov_b32_e32 v9, s9
	v_add_co_u32_e64 v8, s[8:9], s8, v4
	v_addc_co_u32_e64 v9, s[8:9], v5, v9, s[8:9]
	flat_load_dwordx2 v[8:9], v[8:9]
.LBB160_59:
	s_or_b64 exec, exec, s[12:13]
	s_waitcnt vmcnt(0) lgkmcnt(0)
	ds_write_b64 v16, v[8:9] offset:4224
	v_add_u32_e32 v8, 24, v18
	v_cmp_gt_i32_e64 s[8:9], s14, v8
	s_and_saveexec_b64 s[12:13], s[8:9]
	s_cbranch_execz .LBB160_61
; %bb.60:
	v_mov_b32_e32 v6, 0xc0
	v_mad_u64_u32 v[6:7], s[8:9], s22, v6, v[4:5]
	v_add_u32_e32 v7, s39, v7
	flat_load_dwordx2 v[6:7], v[6:7]
.LBB160_61:
	s_or_b64 exec, exec, s[12:13]
	v_add_co_u32_e64 v1, s[8:9], v4, v1
	v_addc_co_u32_e64 v4, s[8:9], 0, v5, s[8:9]
	v_mov_b32_e32 v5, s11
	v_subrev_co_u32_e64 v1, s[8:9], s10, v1
	v_subb_co_u32_e64 v4, s[8:9], v4, v5, s[8:9]
	v_add_co_u32_e64 v1, s[8:9], 8, v1
	v_addc_co_u32_e64 v4, s[8:9], 0, v4, s[8:9]
	s_waitcnt vmcnt(0) lgkmcnt(0)
	ds_write_b64 v16, v[6:7] offset:6336
	v_cndmask_b32_e32 v17, v4, v3, vcc
	v_cndmask_b32_e32 v16, v1, v2, vcc
	s_branch .LBB160_67
.LBB160_62:
	ds_read_b64 v[4:5], v21
	s_waitcnt lgkmcnt(0)
	ds_write_b64 v16, v[4:5]
	s_or_b64 exec, exec, s[12:13]
	s_and_saveexec_b64 s[4:5], s[14:15]
	s_cbranch_execz .LBB160_47
.LBB160_63:
	ds_read_b64 v[4:5], v30
	s_waitcnt lgkmcnt(0)
	ds_write_b64 v16, v[4:5] offset:8
	s_or_b64 exec, exec, s[4:5]
	s_and_saveexec_b64 s[4:5], s[8:9]
	s_cbranch_execz .LBB160_48
.LBB160_64:
	ds_read_b64 v[4:5], v30 offset:264
	s_waitcnt lgkmcnt(0)
	ds_write_b64 v16, v[4:5] offset:16
	s_or_b64 exec, exec, s[4:5]
	v_add_u32_e32 v31, 0x2380, v17
	s_and_saveexec_b64 s[4:5], s[10:11]
	s_cbranch_execnz .LBB160_49
	s_branch .LBB160_50
.LBB160_65:
                                        ; implicit-def: $vgpr16_vgpr17
                                        ; implicit-def: $vgpr10
                                        ; implicit-def: $vgpr11
                                        ; implicit-def: $vgpr8
	s_cbranch_execz .LBB160_67
; %bb.66:
	flat_load_dwordx2 v[4:5], v[2:3]
	s_lshl_b64 s[8:9], s[22:23], 6
	v_add_lshl_u32 v6, v20, v0, 3
	v_mov_b32_e32 v7, s9
	v_add_co_u32_e32 v0, vcc, s8, v2
	v_addc_co_u32_e32 v1, vcc, v3, v7, vcc
	v_add_u32_e32 v10, 8, v18
	v_add_u32_e32 v11, 16, v18
	;; [unrolled: 1-line block ×3, first 2 shown]
	v_pk_mov_b32 v[16:17], v[2:3], v[2:3] op_sel:[0,1]
	s_waitcnt vmcnt(0) lgkmcnt(0)
	ds_write_b64 v6, v[4:5]
	flat_load_dwordx2 v[4:5], v[0:1]
	v_add_co_u32_e32 v0, vcc, s8, v0
	v_addc_co_u32_e32 v1, vcc, v1, v7, vcc
	s_waitcnt vmcnt(0) lgkmcnt(0)
	ds_write_b64 v6, v[4:5] offset:2112
	flat_load_dwordx2 v[0:1], v[0:1]
	v_mov_b32_e32 v4, 0xc0
	v_mad_u64_u32 v[4:5], s[8:9], s22, v4, v[2:3]
	v_add_u32_e32 v5, s39, v5
	s_waitcnt vmcnt(0) lgkmcnt(0)
	ds_write_b64 v6, v[0:1] offset:4224
	flat_load_dwordx2 v[0:1], v[4:5]
	s_waitcnt vmcnt(0) lgkmcnt(0)
	ds_write_b64 v6, v[0:1] offset:6336
.LBB160_67:
	v_lshlrev_b32_e32 v0, 3, v18
	s_waitcnt lgkmcnt(0)
	s_barrier
	v_add_lshl_u32 v1, v10, v19, 3
	v_lshlrev_b32_e32 v2, 3, v10
	v_add_lshl_u32 v3, v11, v19, 3
	ds_read_b64 v[32:33], v0 offset:9088
	ds_read_b64 v[34:35], v1
	ds_read_b64 v[36:37], v2 offset:9088
	ds_read_b64 v[38:39], v3
	v_lshlrev_b32_e32 v18, 3, v11
	v_add_lshl_u32 v19, v8, v19, 3
	v_lshlrev_b32_e32 v44, 3, v8
	ds_read_b64 v[20:21], v21
	ds_read_b128 v[8:11], v31 offset:256
	ds_read_b64 v[40:41], v28
	ds_read_b128 v[0:3], v31 offset:272
	ds_read2_b64 v[4:7], v30 offset1:33
	ds_read_b64 v[30:31], v18 offset:9088
	ds_read_b64 v[42:43], v19
	ds_read_b64 v[44:45], v44 offset:9088
	ds_read_b64 v[18:19], v29
	s_waitcnt lgkmcnt(6)
	v_fma_f64 v[32:33], v[40:41], v[32:33], 0
	v_fmac_f64_e32 v[32:33], v[34:35], v[36:37]
	s_waitcnt lgkmcnt(3)
	v_fmac_f64_e32 v[32:33], v[38:39], v[30:31]
	s_waitcnt lgkmcnt(1)
	;; [unrolled: 2-line block ×3, first 2 shown]
	s_barrier
	ds_write_b64 v28, v[32:33]
	s_waitcnt lgkmcnt(0)
	s_barrier
	s_and_saveexec_b64 s[8:9], s[4:5]
	s_cbranch_execz .LBB160_69
; %bb.68:
	ds_read2_b64 v[30:33], v23 offset1:1
	ds_read2_b64 v[34:37], v23 offset0:2 offset1:3
	ds_read2_b64 v[38:41], v23 offset0:4 offset1:5
	s_waitcnt lgkmcnt(2)
	v_add_f64 v[26:27], v[26:27], v[30:31]
	v_add_f64 v[26:27], v[26:27], v[32:33]
	ds_read2_b64 v[30:33], v23 offset0:6 offset1:7
	s_waitcnt lgkmcnt(2)
	v_add_f64 v[26:27], v[26:27], v[34:35]
	v_add_f64 v[26:27], v[26:27], v[36:37]
	s_waitcnt lgkmcnt(1)
	v_add_f64 v[26:27], v[26:27], v[38:39]
	v_add_f64 v[26:27], v[26:27], v[40:41]
	;; [unrolled: 3-line block ×3, first 2 shown]
.LBB160_69:
	s_or_b64 exec, exec, s[8:9]
	v_fma_f64 v[8:9], v[20:21], v[8:9], 0
	v_fmac_f64_e32 v[8:9], v[4:5], v[10:11]
	v_fmac_f64_e32 v[8:9], v[6:7], v[0:1]
	;; [unrolled: 1-line block ×3, first 2 shown]
	s_barrier
	ds_write_b64 v28, v[8:9]
	s_waitcnt lgkmcnt(0)
	s_barrier
	s_and_saveexec_b64 s[4:5], s[2:3]
	s_cbranch_execz .LBB160_71
; %bb.70:
	ds_read2_b64 v[0:3], v23 offset1:1
	ds_read2_b64 v[4:7], v23 offset0:2 offset1:3
	ds_read2_b64 v[8:11], v23 offset0:4 offset1:5
	s_waitcnt lgkmcnt(2)
	v_add_f64 v[0:1], v[26:27], v[0:1]
	v_add_f64 v[18:19], v[0:1], v[2:3]
	ds_read2_b64 v[0:3], v23 offset0:6 offset1:7
	s_waitcnt lgkmcnt(2)
	v_add_f64 v[4:5], v[18:19], v[4:5]
	v_add_f64 v[4:5], v[4:5], v[6:7]
	s_waitcnt lgkmcnt(1)
	v_add_f64 v[4:5], v[4:5], v[8:9]
	v_add_f64 v[4:5], v[4:5], v[10:11]
	;; [unrolled: 3-line block ×3, first 2 shown]
.LBB160_71:
	s_or_b64 exec, exec, s[4:5]
	s_mul_hi_u32 s2, s33, s26
	s_mul_i32 s38, s38, s26
	s_add_i32 s2, s2, s38
	s_mul_i32 s4, s33, s26
	s_mul_i32 s2, s2, s7
	s_mul_hi_u32 s3, s4, s7
	s_add_i32 s3, s3, s2
	s_mul_i32 s2, s4, s7
	s_lshl_b64 s[2:3], s[2:3], 3
	s_add_u32 s4, s28, s2
	s_addc_u32 s5, s29, s3
	s_mul_hi_i32 s3, s33, s6
	s_mul_i32 s2, s33, s6
	s_lshl_b64 s[2:3], s[2:3], 3
	s_add_u32 s14, s4, s2
	s_addc_u32 s15, s5, s3
	s_add_i32 s2, s6, 1
	s_cmp_ge_u32 s2, s7
	v_lshlrev_b32_e32 v28, 3, v61
	s_barrier
	s_cbranch_scc1 .LBB160_128
; %bb.72:
	s_mul_i32 s2, s24, s17
	s_mul_hi_u32 s3, s24, s16
	s_add_i32 s2, s3, s2
	s_mul_i32 s3, s25, s16
	s_add_i32 s3, s2, s3
	s_mul_i32 s2, s24, s16
	s_lshl_b64 s[2:3], s[2:3], 3
	v_mov_b32_e32 v0, s3
	v_subrev_co_u32_e32 v121, vcc, s2, v14
	v_and_b32_e32 v1, 48, v61
	v_subb_co_u32_e32 v122, vcc, v15, v0, vcc
	v_and_b32_e32 v0, 15, v61
	v_lshlrev_b32_e32 v2, 3, v1
	s_movk_i32 s4, 0x218
	v_lshrrev_b32_e32 v4, 4, v22
	v_mad_u32_u24 v123, v0, s4, v2
	v_or_b32_e32 v2, 0x78, v28
	v_lshlrev_b32_e32 v5, 5, v120
	v_mad_u32_u24 v124, v0, s4, v2
	v_lshlrev_b32_e32 v2, 5, v4
	v_add_u32_e32 v3, 0x118, v5
	v_mad_u32_u24 v125, v0, s4, v2
	v_or_b32_e32 v126, v1, v0
	v_mad_u64_u32 v[0:1], s[4:5], s22, v3, 0
	v_mov_b32_e32 v2, v1
	v_mad_u64_u32 v[2:3], s[4:5], s23, v3, v[2:3]
	v_mov_b32_e32 v1, v2
	v_sub_co_u32_e32 v0, vcc, v0, v12
	v_subb_co_u32_e32 v1, vcc, v1, v13, vcc
	v_add_co_u32_e32 v30, vcc, v16, v0
	v_add_u32_e32 v3, 0x110, v5
	v_addc_co_u32_e32 v29, vcc, v17, v1, vcc
	v_mad_u64_u32 v[0:1], s[4:5], s22, v3, 0
	v_mov_b32_e32 v2, v1
	v_mad_u64_u32 v[2:3], s[4:5], s23, v3, v[2:3]
	v_mov_b32_e32 v1, v2
	v_sub_co_u32_e32 v0, vcc, v0, v12
	v_subb_co_u32_e32 v1, vcc, v1, v13, vcc
	v_add_co_u32_e32 v32, vcc, v16, v0
	v_add_u32_e32 v3, 0x108, v5
	v_addc_co_u32_e32 v31, vcc, v17, v1, vcc
	;; [unrolled: 9-line block ×12, first 2 shown]
	v_mad_u64_u32 v[0:1], s[4:5], s22, v3, 0
	v_mov_b32_e32 v2, v1
	v_mad_u64_u32 v[2:3], s[4:5], s23, v3, v[2:3]
	v_mov_b32_e32 v1, v2
	v_sub_co_u32_e32 v6, vcc, v0, v12
	v_add_u32_e32 v3, 0x290, v5
	v_subb_co_u32_e32 v7, vcc, v1, v13, vcc
	v_mad_u64_u32 v[0:1], s[4:5], s22, v3, 0
	v_mov_b32_e32 v2, v1
	v_mad_u64_u32 v[2:3], s[4:5], s23, v3, v[2:3]
	v_mov_b32_e32 v1, v2
	v_sub_co_u32_e32 v8, vcc, v0, v12
	v_add_u32_e32 v3, 0x288, v5
	v_subb_co_u32_e32 v9, vcc, v1, v13, vcc
	v_mad_u64_u32 v[0:1], s[4:5], s22, v3, 0
	v_mov_b32_e32 v2, v1
	v_mad_u64_u32 v[2:3], s[4:5], s23, v3, v[2:3]
	v_mov_b32_e32 v1, v2
	v_sub_co_u32_e32 v10, vcc, v0, v12
	v_add_u32_e32 v3, 0x280, v5
	v_subb_co_u32_e32 v11, vcc, v1, v13, vcc
	v_mad_u64_u32 v[0:1], s[4:5], s22, v3, 0
	v_mov_b32_e32 v2, v1
	v_add_co_u32_e32 v54, vcc, v16, v6
	v_mad_u64_u32 v[2:3], s[4:5], s23, v3, v[2:3]
	v_addc_co_u32_e32 v53, vcc, v17, v7, vcc
	v_mov_b32_e32 v1, v2
	v_sub_co_u32_e32 v0, vcc, v0, v12
	v_subb_co_u32_e32 v1, vcc, v1, v13, vcc
	v_add_co_u32_e32 v56, vcc, v16, v8
	v_addc_co_u32_e32 v55, vcc, v17, v9, vcc
	v_add_co_u32_e32 v58, vcc, v16, v10
	v_addc_co_u32_e32 v57, vcc, v17, v11, vcc
	v_add_co_u32_e32 v60, vcc, v16, v0
	s_movk_i32 s4, 0x860
	v_mul_i32_i24_e32 v0, 0xffffffe8, v4
	v_lshlrev_b32_e32 v129, 2, v120
	v_cmp_gt_u32_e64 s[2:3], 64, v22
	v_addc_co_u32_e32 v59, vcc, v17, v1, vcc
	s_add_i32 s19, s7, -2
	v_add_u32_e32 v127, 0x2180, v5
	s_add_i32 s24, s24, 64
	s_lshl_b64 s[10:11], s[22:23], 9
	v_add_u32_e32 v128, v125, v0
	v_add_u32_e32 v130, 0x2180, v28
	v_add_u32_e32 v131, 0x2380, v28
	v_or_b32_e32 v132, 1, v129
	v_or_b32_e32 v133, 2, v129
	;; [unrolled: 1-line block ×3, first 2 shown]
	v_mad_u32_u24 v135, v120, s4, v28
	v_add_u32_e32 v136, 16, v129
	v_add_u32_e32 v137, 17, v129
	;; [unrolled: 1-line block ×12, first 2 shown]
	s_cmp_eq_u32 s19, s6
	s_cselect_b32 s22, s27, 0
	s_and_saveexec_b64 s[4:5], s[0:1]
	s_cbranch_execz .LBB160_76
.LBB160_73:
	s_cmp_eq_u32 s22, 0
	s_cselect_b64 s[8:9], -1, 0
	v_cmp_gt_i32_e32 vcc, s22, v61
	s_or_b64 s[12:13], s[8:9], vcc
	v_pk_mov_b32 v[0:1], 0, 0
	s_and_saveexec_b64 s[8:9], s[12:13]
	s_cbranch_execz .LBB160_75
; %bb.74:
	s_ashr_i32 s12, s24, 31
	s_mul_i32 s13, s24, s17
	s_mul_hi_u32 s23, s24, s16
	s_add_i32 s13, s23, s13
	s_mul_i32 s12, s12, s16
	s_add_i32 s13, s13, s12
	s_mul_i32 s12, s24, s16
	s_lshl_b64 s[12:13], s[12:13], 3
	v_mov_b32_e32 v1, s13
	v_add_co_u32_e32 v0, vcc, s12, v121
	v_addc_co_u32_e32 v1, vcc, v122, v1, vcc
	flat_load_dwordx2 v[0:1], v[0:1]
.LBB160_75:
	s_or_b64 exec, exec, s[8:9]
	s_waitcnt vmcnt(0) lgkmcnt(0)
	ds_write_b64 v130, v[0:1]
.LBB160_76:                             ; =>This Inner Loop Header: Depth=1
	s_or_b64 exec, exec, s[4:5]
	s_cmp_eq_u32 s22, 0
	v_add_co_u32_e32 v0, vcc, v36, v28
	s_cselect_b64 s[12:13], -1, 0
	s_cmp_lg_u32 s22, 0
	v_addc_co_u32_e32 v1, vcc, 0, v35, vcc
	s_cselect_b64 s[8:9], -1, 0
	s_and_b64 vcc, exec, s[8:9]
	s_waitcnt lgkmcnt(0)
	s_barrier
	s_cbranch_vccz .LBB160_124
; %bb.77:                               ;   in Loop: Header=BB160_76 Depth=1
	v_pk_mov_b32 v[64:65], 0, 0
	v_cmp_gt_i32_e32 vcc, s22, v129
	v_pk_mov_b32 v[62:63], v[64:65], v[64:65] op_sel:[0,1]
	s_and_saveexec_b64 s[4:5], vcc
	s_cbranch_execz .LBB160_79
; %bb.78:                               ;   in Loop: Header=BB160_76 Depth=1
	flat_load_dwordx2 v[62:63], v[0:1]
.LBB160_79:                             ;   in Loop: Header=BB160_76 Depth=1
	s_or_b64 exec, exec, s[4:5]
	v_cmp_gt_i32_e32 vcc, s22, v132
	s_and_saveexec_b64 s[4:5], vcc
	s_cbranch_execz .LBB160_81
; %bb.80:                               ;   in Loop: Header=BB160_76 Depth=1
	v_add_co_u32_e32 v2, vcc, v34, v28
	v_addc_co_u32_e32 v3, vcc, 0, v33, vcc
	flat_load_dwordx2 v[64:65], v[2:3]
.LBB160_81:                             ;   in Loop: Header=BB160_76 Depth=1
	s_or_b64 exec, exec, s[4:5]
	v_pk_mov_b32 v[68:69], 0, 0
	v_cmp_gt_i32_e32 vcc, s22, v133
	v_pk_mov_b32 v[66:67], v[68:69], v[68:69] op_sel:[0,1]
	s_and_saveexec_b64 s[4:5], vcc
	s_cbranch_execz .LBB160_83
; %bb.82:                               ;   in Loop: Header=BB160_76 Depth=1
	v_add_co_u32_e32 v2, vcc, v32, v28
	v_addc_co_u32_e32 v3, vcc, 0, v31, vcc
	flat_load_dwordx2 v[66:67], v[2:3]
.LBB160_83:                             ;   in Loop: Header=BB160_76 Depth=1
	s_or_b64 exec, exec, s[4:5]
	v_cmp_gt_i32_e32 vcc, s22, v134
	s_and_saveexec_b64 s[4:5], vcc
	s_cbranch_execz .LBB160_85
; %bb.84:                               ;   in Loop: Header=BB160_76 Depth=1
	v_add_co_u32_e32 v2, vcc, v30, v28
	v_addc_co_u32_e32 v3, vcc, 0, v29, vcc
	flat_load_dwordx2 v[68:69], v[2:3]
.LBB160_85:                             ;   in Loop: Header=BB160_76 Depth=1
	s_or_b64 exec, exec, s[4:5]
	s_branch .LBB160_87
.LBB160_86:                             ;   in Loop: Header=BB160_76 Depth=1
	s_waitcnt vmcnt(0) lgkmcnt(0)
	flat_load_dwordx2 v[62:63], v[0:1]
	v_add_co_u32_e32 v0, vcc, v34, v28
	v_addc_co_u32_e32 v1, vcc, 0, v33, vcc
	flat_load_dwordx2 v[64:65], v[0:1]
	v_add_co_u32_e32 v0, vcc, v32, v28
	v_addc_co_u32_e32 v1, vcc, 0, v31, vcc
	;; [unrolled: 3-line block ×3, first 2 shown]
	flat_load_dwordx2 v[68:69], v[0:1]
.LBB160_87:                             ;   in Loop: Header=BB160_76 Depth=1
	ds_read_b64 v[0:1], v131
	ds_read_b64 v[70:71], v127
	v_cndmask_b32_e64 v8, 0, 1, s[8:9]
	v_cmp_ne_u32_e64 s[4:5], 1, v8
	s_andn2_b64 vcc, exec, s[8:9]
	s_waitcnt vmcnt(0) lgkmcnt(0)
	v_mul_f64 v[2:3], v[62:63], v[0:1]
	v_mul_f64 v[4:5], v[64:65], v[0:1]
	ds_write_b64 v135, v[2:3]
	v_mul_f64 v[6:7], v[66:67], v[0:1]
	ds_read_b64 v[72:73], v127 offset:8
	ds_write_b64 v135, v[4:5] offset:536
	ds_read_b64 v[74:75], v127 offset:16
	ds_write_b64 v135, v[6:7] offset:1072
	v_mul_f64 v[0:1], v[68:69], v[0:1]
	ds_read_b64 v[76:77], v127 offset:24
	ds_write_b64 v135, v[0:1] offset:1608
	s_waitcnt lgkmcnt(0)
	s_barrier
	ds_read2_b64 v[4:7], v125 offset1:1
	ds_read2_b64 v[0:3], v125 offset0:2 offset1:3
	v_add_co_u32_e64 v8, s[8:9], v44, v28
	v_addc_co_u32_e64 v9, s[8:9], 0, v43, s[8:9]
	s_waitcnt lgkmcnt(0)
	s_barrier
	s_cbranch_vccnz .LBB160_125
; %bb.88:                               ;   in Loop: Header=BB160_76 Depth=1
	v_pk_mov_b32 v[80:81], 0, 0
	v_cmp_gt_i32_e32 vcc, s22, v136
	v_pk_mov_b32 v[78:79], v[80:81], v[80:81] op_sel:[0,1]
	s_and_saveexec_b64 s[8:9], vcc
	s_cbranch_execz .LBB160_90
; %bb.89:                               ;   in Loop: Header=BB160_76 Depth=1
	flat_load_dwordx2 v[78:79], v[8:9]
.LBB160_90:                             ;   in Loop: Header=BB160_76 Depth=1
	s_or_b64 exec, exec, s[8:9]
	v_cmp_gt_i32_e32 vcc, s22, v137
	s_and_saveexec_b64 s[8:9], vcc
	s_cbranch_execz .LBB160_92
; %bb.91:                               ;   in Loop: Header=BB160_76 Depth=1
	v_add_co_u32_e32 v10, vcc, v42, v28
	v_addc_co_u32_e32 v11, vcc, 0, v41, vcc
	flat_load_dwordx2 v[80:81], v[10:11]
.LBB160_92:                             ;   in Loop: Header=BB160_76 Depth=1
	s_or_b64 exec, exec, s[8:9]
	v_pk_mov_b32 v[84:85], 0, 0
	v_cmp_gt_i32_e32 vcc, s22, v138
	v_pk_mov_b32 v[82:83], v[84:85], v[84:85] op_sel:[0,1]
	s_and_saveexec_b64 s[8:9], vcc
	s_cbranch_execz .LBB160_94
; %bb.93:                               ;   in Loop: Header=BB160_76 Depth=1
	v_add_co_u32_e32 v10, vcc, v40, v28
	v_addc_co_u32_e32 v11, vcc, 0, v39, vcc
	flat_load_dwordx2 v[82:83], v[10:11]
.LBB160_94:                             ;   in Loop: Header=BB160_76 Depth=1
	s_or_b64 exec, exec, s[8:9]
	v_cmp_gt_i32_e32 vcc, s22, v139
	s_and_saveexec_b64 s[8:9], vcc
	s_cbranch_execz .LBB160_96
; %bb.95:                               ;   in Loop: Header=BB160_76 Depth=1
	v_add_co_u32_e32 v10, vcc, v38, v28
	v_addc_co_u32_e32 v11, vcc, 0, v37, vcc
	flat_load_dwordx2 v[84:85], v[10:11]
.LBB160_96:                             ;   in Loop: Header=BB160_76 Depth=1
	s_or_b64 exec, exec, s[8:9]
	s_branch .LBB160_98
.LBB160_97:                             ;   in Loop: Header=BB160_76 Depth=1
	s_waitcnt vmcnt(0) lgkmcnt(0)
	flat_load_dwordx2 v[78:79], v[8:9]
	v_add_co_u32_e32 v8, vcc, v42, v28
	v_addc_co_u32_e32 v9, vcc, 0, v41, vcc
	flat_load_dwordx2 v[80:81], v[8:9]
	v_add_co_u32_e32 v8, vcc, v40, v28
	v_addc_co_u32_e32 v9, vcc, 0, v39, vcc
	;; [unrolled: 3-line block ×3, first 2 shown]
	flat_load_dwordx2 v[84:85], v[8:9]
.LBB160_98:                             ;   in Loop: Header=BB160_76 Depth=1
	ds_read_b64 v[8:9], v131
	ds_read_b64 v[86:87], v127 offset:128
	v_add_co_u32_e64 v16, s[8:9], v52, v28
	s_and_b64 vcc, exec, s[4:5]
	s_waitcnt vmcnt(0) lgkmcnt(0)
	v_mul_f64 v[10:11], v[78:79], v[8:9]
	v_mul_f64 v[12:13], v[80:81], v[8:9]
	ds_write_b64 v135, v[10:11]
	v_mul_f64 v[14:15], v[82:83], v[8:9]
	ds_read_b64 v[88:89], v127 offset:136
	ds_write_b64 v135, v[12:13] offset:536
	ds_read_b64 v[90:91], v127 offset:144
	ds_write_b64 v135, v[14:15] offset:1072
	v_mul_f64 v[8:9], v[84:85], v[8:9]
	ds_read_b64 v[92:93], v127 offset:152
	ds_write_b64 v135, v[8:9] offset:1608
	s_waitcnt lgkmcnt(0)
	s_barrier
	ds_read2_b64 v[12:15], v125 offset1:1
	ds_read2_b64 v[8:11], v125 offset0:2 offset1:3
	v_addc_co_u32_e64 v17, s[8:9], 0, v51, s[8:9]
	s_waitcnt lgkmcnt(0)
	s_barrier
	s_cbranch_vccnz .LBB160_126
; %bb.99:                               ;   in Loop: Header=BB160_76 Depth=1
	v_pk_mov_b32 v[96:97], 0, 0
	v_cmp_gt_i32_e32 vcc, s22, v140
	v_pk_mov_b32 v[94:95], v[96:97], v[96:97] op_sel:[0,1]
	s_and_saveexec_b64 s[8:9], vcc
	s_cbranch_execz .LBB160_101
; %bb.100:                              ;   in Loop: Header=BB160_76 Depth=1
	flat_load_dwordx2 v[94:95], v[16:17]
.LBB160_101:                            ;   in Loop: Header=BB160_76 Depth=1
	s_or_b64 exec, exec, s[8:9]
	v_cmp_gt_i32_e32 vcc, s22, v141
	s_and_saveexec_b64 s[8:9], vcc
	s_cbranch_execz .LBB160_103
; %bb.102:                              ;   in Loop: Header=BB160_76 Depth=1
	v_add_co_u32_e32 v18, vcc, v50, v28
	v_addc_co_u32_e32 v19, vcc, 0, v49, vcc
	flat_load_dwordx2 v[96:97], v[18:19]
.LBB160_103:                            ;   in Loop: Header=BB160_76 Depth=1
	s_or_b64 exec, exec, s[8:9]
	v_pk_mov_b32 v[100:101], 0, 0
	v_cmp_gt_i32_e32 vcc, s22, v142
	v_pk_mov_b32 v[98:99], v[100:101], v[100:101] op_sel:[0,1]
	s_and_saveexec_b64 s[8:9], vcc
	s_cbranch_execz .LBB160_105
; %bb.104:                              ;   in Loop: Header=BB160_76 Depth=1
	v_add_co_u32_e32 v18, vcc, v48, v28
	v_addc_co_u32_e32 v19, vcc, 0, v47, vcc
	flat_load_dwordx2 v[98:99], v[18:19]
.LBB160_105:                            ;   in Loop: Header=BB160_76 Depth=1
	s_or_b64 exec, exec, s[8:9]
	v_cmp_gt_i32_e32 vcc, s22, v143
	s_and_saveexec_b64 s[8:9], vcc
	s_cbranch_execz .LBB160_107
; %bb.106:                              ;   in Loop: Header=BB160_76 Depth=1
	v_add_co_u32_e32 v18, vcc, v46, v28
	v_addc_co_u32_e32 v19, vcc, 0, v45, vcc
	flat_load_dwordx2 v[100:101], v[18:19]
.LBB160_107:                            ;   in Loop: Header=BB160_76 Depth=1
	s_or_b64 exec, exec, s[8:9]
	s_branch .LBB160_109
.LBB160_108:                            ;   in Loop: Header=BB160_76 Depth=1
	s_waitcnt vmcnt(0) lgkmcnt(0)
	flat_load_dwordx2 v[94:95], v[16:17]
	v_add_co_u32_e32 v16, vcc, v50, v28
	v_addc_co_u32_e32 v17, vcc, 0, v49, vcc
	flat_load_dwordx2 v[96:97], v[16:17]
	v_add_co_u32_e32 v16, vcc, v48, v28
	v_addc_co_u32_e32 v17, vcc, 0, v47, vcc
	;; [unrolled: 3-line block ×3, first 2 shown]
	flat_load_dwordx2 v[100:101], v[16:17]
.LBB160_109:                            ;   in Loop: Header=BB160_76 Depth=1
	ds_read_b64 v[16:17], v131
	ds_read_b64 v[102:103], v127 offset:256
	s_and_b64 vcc, exec, s[4:5]
	v_add_co_u32_e64 v118, s[4:5], v60, v28
	s_waitcnt vmcnt(0) lgkmcnt(0)
	v_mul_f64 v[18:19], v[94:95], v[16:17]
	v_mul_f64 v[20:21], v[96:97], v[16:17]
	ds_write_b64 v135, v[18:19]
	v_mul_f64 v[22:23], v[98:99], v[16:17]
	ds_read_b64 v[104:105], v127 offset:264
	ds_write_b64 v135, v[20:21] offset:536
	ds_read_b64 v[106:107], v127 offset:272
	ds_write_b64 v135, v[22:23] offset:1072
	v_mul_f64 v[16:17], v[100:101], v[16:17]
	ds_read_b64 v[108:109], v127 offset:280
	ds_write_b64 v135, v[16:17] offset:1608
	s_waitcnt lgkmcnt(0)
	s_barrier
	ds_read2_b64 v[20:23], v125 offset1:1
	ds_read2_b64 v[16:19], v125 offset0:2 offset1:3
	v_addc_co_u32_e64 v119, s[4:5], 0, v59, s[4:5]
	s_waitcnt lgkmcnt(0)
	s_barrier
	s_cbranch_vccnz .LBB160_127
; %bb.110:                              ;   in Loop: Header=BB160_76 Depth=1
	v_pk_mov_b32 v[112:113], 0, 0
	v_cmp_gt_i32_e32 vcc, s22, v144
	v_pk_mov_b32 v[110:111], v[112:113], v[112:113] op_sel:[0,1]
	s_and_saveexec_b64 s[4:5], vcc
	s_cbranch_execz .LBB160_112
; %bb.111:                              ;   in Loop: Header=BB160_76 Depth=1
	flat_load_dwordx2 v[110:111], v[118:119]
.LBB160_112:                            ;   in Loop: Header=BB160_76 Depth=1
	s_or_b64 exec, exec, s[4:5]
	v_cmp_gt_i32_e32 vcc, s22, v145
	s_and_saveexec_b64 s[4:5], vcc
	s_cbranch_execz .LBB160_114
; %bb.113:                              ;   in Loop: Header=BB160_76 Depth=1
	v_add_co_u32_e32 v112, vcc, v58, v28
	v_addc_co_u32_e32 v113, vcc, 0, v57, vcc
	flat_load_dwordx2 v[112:113], v[112:113]
.LBB160_114:                            ;   in Loop: Header=BB160_76 Depth=1
	s_or_b64 exec, exec, s[4:5]
	v_pk_mov_b32 v[116:117], 0, 0
	v_cmp_gt_i32_e32 vcc, s22, v146
	v_pk_mov_b32 v[114:115], v[116:117], v[116:117] op_sel:[0,1]
	s_and_saveexec_b64 s[4:5], vcc
	s_cbranch_execz .LBB160_116
; %bb.115:                              ;   in Loop: Header=BB160_76 Depth=1
	v_add_co_u32_e32 v114, vcc, v56, v28
	v_addc_co_u32_e32 v115, vcc, 0, v55, vcc
	flat_load_dwordx2 v[114:115], v[114:115]
.LBB160_116:                            ;   in Loop: Header=BB160_76 Depth=1
	s_or_b64 exec, exec, s[4:5]
	v_cmp_gt_i32_e32 vcc, s22, v147
	s_and_saveexec_b64 s[4:5], vcc
	s_cbranch_execz .LBB160_118
; %bb.117:                              ;   in Loop: Header=BB160_76 Depth=1
	v_add_co_u32_e32 v116, vcc, v54, v28
	v_addc_co_u32_e32 v117, vcc, 0, v53, vcc
	flat_load_dwordx2 v[116:117], v[116:117]
.LBB160_118:                            ;   in Loop: Header=BB160_76 Depth=1
	s_or_b64 exec, exec, s[4:5]
	s_branch .LBB160_120
.LBB160_119:                            ;   in Loop: Header=BB160_76 Depth=1
	s_waitcnt vmcnt(0) lgkmcnt(0)
	v_add_co_u32_e32 v112, vcc, v58, v28
	v_addc_co_u32_e32 v113, vcc, 0, v57, vcc
	v_add_co_u32_e32 v114, vcc, v56, v28
	v_addc_co_u32_e32 v115, vcc, 0, v55, vcc
	;; [unrolled: 2-line block ×3, first 2 shown]
	flat_load_dwordx2 v[110:111], v[118:119]
	s_nop 0
	flat_load_dwordx2 v[112:113], v[112:113]
	s_nop 0
	;; [unrolled: 2-line block ×3, first 2 shown]
	flat_load_dwordx2 v[116:117], v[116:117]
.LBB160_120:                            ;   in Loop: Header=BB160_76 Depth=1
	v_add_f64 v[12:13], v[12:13], 0
	v_add_f64 v[12:13], v[12:13], v[14:15]
	ds_read_b64 v[14:15], v131
	v_add_f64 v[20:21], v[20:21], 0
	v_add_f64 v[20:21], v[20:21], v[22:23]
	;; [unrolled: 1-line block ×7, first 2 shown]
	ds_read_b64 v[4:5], v127 offset:384
	s_waitcnt vmcnt(0) lgkmcnt(0)
	v_mul_f64 v[8:9], v[110:111], v[14:15]
	ds_write_b64 v135, v[8:9]
	v_mul_f64 v[10:11], v[112:113], v[14:15]
	ds_read_b64 v[8:9], v127 offset:392
	ds_write_b64 v135, v[10:11] offset:536
	v_mul_f64 v[12:13], v[114:115], v[14:15]
	ds_read_b64 v[10:11], v127 offset:400
	ds_write_b64 v135, v[12:13] offset:1072
	;; [unrolled: 3-line block ×3, first 2 shown]
	s_waitcnt lgkmcnt(0)
	s_barrier
	ds_read2_b64 v[14:17], v125 offset1:1
	v_add_f64 v[6:7], v[18:19], v[6:7]
	ds_read2_b64 v[18:21], v125 offset0:2 offset1:3
	v_add_f64 v[0:1], v[6:7], v[0:1]
	v_add_f64 v[0:1], v[0:1], v[2:3]
	s_waitcnt lgkmcnt(1)
	v_add_f64 v[2:3], v[14:15], 0
	v_cmp_gt_i32_e32 vcc, s22, v61
	v_add_f64 v[2:3], v[2:3], v[16:17]
	s_or_b64 s[4:5], s[12:13], vcc
	s_waitcnt lgkmcnt(0)
	v_add_f64 v[2:3], v[2:3], v[18:19]
	s_and_b64 s[8:9], s[2:3], s[4:5]
	v_add_f64 v[2:3], v[2:3], v[20:21]
	s_barrier
	ds_write2_b64 v128, v[0:1], v[118:119] offset1:16
	ds_write2_b64 v128, v[22:23], v[2:3] offset0:32 offset1:48
	s_waitcnt lgkmcnt(0)
	s_barrier
	s_and_saveexec_b64 s[4:5], s[8:9]
	s_cbranch_execz .LBB160_122
; %bb.121:                              ;   in Loop: Header=BB160_76 Depth=1
	ds_read2_b64 v[0:3], v123 offset1:1
	ds_read2_b64 v[14:17], v123 offset0:2 offset1:3
	ds_read2_b64 v[18:21], v123 offset0:4 offset1:5
	;; [unrolled: 1-line block ×3, first 2 shown]
	s_waitcnt lgkmcnt(3)
	v_add_f64 v[0:1], v[0:1], v[2:3]
	s_waitcnt lgkmcnt(2)
	v_add_f64 v[0:1], v[0:1], v[14:15]
	v_add_f64 v[0:1], v[0:1], v[16:17]
	s_waitcnt lgkmcnt(1)
	v_add_f64 v[6:7], v[0:1], v[18:19]
	ds_read2_b64 v[0:3], v123 offset0:8 offset1:9
	ds_read2_b64 v[14:17], v123 offset0:10 offset1:11
	v_add_f64 v[6:7], v[6:7], v[20:21]
	s_waitcnt lgkmcnt(2)
	v_add_f64 v[6:7], v[6:7], v[148:149]
	v_add_f64 v[6:7], v[6:7], v[150:151]
	s_waitcnt lgkmcnt(1)
	v_add_f64 v[0:1], v[6:7], v[0:1]
	v_add_f64 v[6:7], v[0:1], v[2:3]
	ds_read2_b64 v[0:3], v123 offset0:12 offset1:13
	s_waitcnt lgkmcnt(1)
	v_add_f64 v[6:7], v[6:7], v[14:15]
	v_add_f64 v[6:7], v[6:7], v[16:17]
	ds_read_b64 v[14:15], v123 offset:112
	ds_read_b64 v[18:19], v124
	s_waitcnt lgkmcnt(2)
	v_add_f64 v[0:1], v[6:7], v[0:1]
	v_add_f64 v[0:1], v[0:1], v[2:3]
	v_add_u32_e32 v2, s24, v126
	v_ashrrev_i32_e32 v3, 31, v2
	v_lshlrev_b64 v[2:3], 3, v[2:3]
	s_waitcnt lgkmcnt(1)
	v_add_f64 v[0:1], v[0:1], v[14:15]
	v_mov_b32_e32 v6, s15
	v_add_co_u32_e32 v2, vcc, s14, v2
	s_waitcnt lgkmcnt(0)
	v_add_f64 v[0:1], v[0:1], v[18:19]
	v_addc_co_u32_e32 v3, vcc, v6, v3, vcc
	global_store_dwordx2 v[2:3], v[0:1], off
.LBB160_122:                            ;   in Loop: Header=BB160_76 Depth=1
	s_or_b64 exec, exec, s[4:5]
	v_mov_b32_e32 v0, s11
	v_add_co_u32_e32 v30, vcc, s10, v30
	v_addc_co_u32_e32 v29, vcc, v29, v0, vcc
	v_add_co_u32_e32 v32, vcc, s10, v32
	v_addc_co_u32_e32 v31, vcc, v31, v0, vcc
	;; [unrolled: 2-line block ×8, first 2 shown]
	v_fmac_f64_e32 v[26:27], v[62:63], v[70:71]
	v_add_co_u32_e32 v46, vcc, s10, v46
	v_fmac_f64_e32 v[26:27], v[64:65], v[72:73]
	v_addc_co_u32_e32 v45, vcc, v45, v0, vcc
	v_fmac_f64_e32 v[26:27], v[66:67], v[74:75]
	v_add_co_u32_e32 v48, vcc, s10, v48
	v_fmac_f64_e32 v[26:27], v[68:69], v[76:77]
	v_addc_co_u32_e32 v47, vcc, v47, v0, vcc
	;; [unrolled: 4-line block ×7, first 2 shown]
	v_fmac_f64_e32 v[26:27], v[114:115], v[10:11]
	s_add_i32 s4, s6, 1
	s_add_i32 s24, s24, 64
	;; [unrolled: 1-line block ×3, first 2 shown]
	v_add_co_u32_e32 v60, vcc, s10, v60
	v_fmac_f64_e32 v[26:27], v[116:117], v[12:13]
	s_cmp_ge_u32 s5, s7
	v_addc_co_u32_e32 v59, vcc, v59, v0, vcc
	s_barrier
	s_cbranch_scc1 .LBB160_128
; %bb.123:                              ;   in Loop: Header=BB160_76 Depth=1
	s_mov_b32 s6, s4
	s_cmp_eq_u32 s19, s6
	s_cselect_b32 s22, s27, 0
	s_and_saveexec_b64 s[4:5], s[0:1]
	s_cbranch_execnz .LBB160_73
	s_branch .LBB160_76
.LBB160_124:                            ;   in Loop: Header=BB160_76 Depth=1
                                        ; implicit-def: $vgpr68_vgpr69
                                        ; implicit-def: $vgpr66_vgpr67
                                        ; implicit-def: $vgpr64_vgpr65
                                        ; implicit-def: $vgpr62_vgpr63
	s_cbranch_execnz .LBB160_86
	s_branch .LBB160_87
.LBB160_125:                            ;   in Loop: Header=BB160_76 Depth=1
                                        ; implicit-def: $vgpr84_vgpr85
                                        ; implicit-def: $vgpr82_vgpr83
                                        ; implicit-def: $vgpr80_vgpr81
                                        ; implicit-def: $vgpr78_vgpr79
	s_cbranch_execnz .LBB160_97
	s_branch .LBB160_98
.LBB160_126:                            ;   in Loop: Header=BB160_76 Depth=1
                                        ; implicit-def: $vgpr100_vgpr101
                                        ; implicit-def: $vgpr98_vgpr99
                                        ; implicit-def: $vgpr96_vgpr97
                                        ; implicit-def: $vgpr94_vgpr95
	s_cbranch_execnz .LBB160_108
	s_branch .LBB160_109
.LBB160_127:                            ;   in Loop: Header=BB160_76 Depth=1
                                        ; implicit-def: $vgpr116_vgpr117
                                        ; implicit-def: $vgpr114_vgpr115
                                        ; implicit-def: $vgpr112_vgpr113
                                        ; implicit-def: $vgpr110_vgpr111
	s_cbranch_execnz .LBB160_119
	s_branch .LBB160_120
.LBB160_128:
	s_movk_i32 s2, 0x218
	v_cmp_gt_i32_e32 vcc, s18, v61
	v_mad_u32_u24 v0, v120, s2, v28
	s_or_b64 s[2:3], s[20:21], vcc
	s_and_b64 s[0:1], s[0:1], s[2:3]
	ds_write_b64 v0, v[26:27]
	s_waitcnt lgkmcnt(0)
	s_barrier
	s_and_saveexec_b64 s[2:3], s[0:1]
	s_cbranch_execz .LBB160_130
; %bb.129:
	ds_read2_b64 v[0:3], v28 offset1:67
	ds_read2_b64 v[4:7], v28 offset0:134 offset1:201
	v_lshlrev_b64 v[8:9], 3, v[24:25]
	v_mov_b32_e32 v10, s15
	s_waitcnt lgkmcnt(1)
	v_add_f64 v[0:1], v[0:1], v[2:3]
	s_waitcnt lgkmcnt(0)
	v_add_f64 v[0:1], v[0:1], v[4:5]
	v_add_co_u32_e32 v2, vcc, s14, v8
	v_add_f64 v[0:1], v[0:1], v[6:7]
	v_addc_co_u32_e32 v3, vcc, v10, v9, vcc
	global_store_dwordx2 v[2:3], v[0:1], off
.LBB160_130:
	s_endpgm
	.section	.rodata,"a",@progbits
	.p2align	6, 0x0
	.amdhsa_kernel _ZL26rocblas_hemvn_kernel_upperILb0ELi64ELi4ELi33ELi32ELi16ElPKdPKS1_PdEviT6_lT7_lT5_lS6_lS7_lS5_lT8_i
		.amdhsa_group_segment_fixed_size 9600
		.amdhsa_private_segment_fixed_size 0
		.amdhsa_kernarg_size 376
		.amdhsa_user_sgpr_count 6
		.amdhsa_user_sgpr_private_segment_buffer 1
		.amdhsa_user_sgpr_dispatch_ptr 0
		.amdhsa_user_sgpr_queue_ptr 0
		.amdhsa_user_sgpr_kernarg_segment_ptr 1
		.amdhsa_user_sgpr_dispatch_id 0
		.amdhsa_user_sgpr_flat_scratch_init 0
		.amdhsa_user_sgpr_kernarg_preload_length 0
		.amdhsa_user_sgpr_kernarg_preload_offset 0
		.amdhsa_user_sgpr_private_segment_size 0
		.amdhsa_uses_dynamic_stack 0
		.amdhsa_system_sgpr_private_segment_wavefront_offset 0
		.amdhsa_system_sgpr_workgroup_id_x 1
		.amdhsa_system_sgpr_workgroup_id_y 0
		.amdhsa_system_sgpr_workgroup_id_z 1
		.amdhsa_system_sgpr_workgroup_info 0
		.amdhsa_system_vgpr_workitem_id 1
		.amdhsa_next_free_vgpr 152
		.amdhsa_next_free_sgpr 42
		.amdhsa_accum_offset 152
		.amdhsa_reserve_vcc 1
		.amdhsa_reserve_flat_scratch 0
		.amdhsa_float_round_mode_32 0
		.amdhsa_float_round_mode_16_64 0
		.amdhsa_float_denorm_mode_32 3
		.amdhsa_float_denorm_mode_16_64 3
		.amdhsa_dx10_clamp 1
		.amdhsa_ieee_mode 1
		.amdhsa_fp16_overflow 0
		.amdhsa_tg_split 0
		.amdhsa_exception_fp_ieee_invalid_op 0
		.amdhsa_exception_fp_denorm_src 0
		.amdhsa_exception_fp_ieee_div_zero 0
		.amdhsa_exception_fp_ieee_overflow 0
		.amdhsa_exception_fp_ieee_underflow 0
		.amdhsa_exception_fp_ieee_inexact 0
		.amdhsa_exception_int_div_zero 0
	.end_amdhsa_kernel
	.section	.text._ZL26rocblas_hemvn_kernel_upperILb0ELi64ELi4ELi33ELi32ELi16ElPKdPKS1_PdEviT6_lT7_lT5_lS6_lS7_lS5_lT8_i,"axG",@progbits,_ZL26rocblas_hemvn_kernel_upperILb0ELi64ELi4ELi33ELi32ELi16ElPKdPKS1_PdEviT6_lT7_lT5_lS6_lS7_lS5_lT8_i,comdat
.Lfunc_end160:
	.size	_ZL26rocblas_hemvn_kernel_upperILb0ELi64ELi4ELi33ELi32ELi16ElPKdPKS1_PdEviT6_lT7_lT5_lS6_lS7_lS5_lT8_i, .Lfunc_end160-_ZL26rocblas_hemvn_kernel_upperILb0ELi64ELi4ELi33ELi32ELi16ElPKdPKS1_PdEviT6_lT7_lT5_lS6_lS7_lS5_lT8_i
                                        ; -- End function
	.section	.AMDGPU.csdata,"",@progbits
; Kernel info:
; codeLenInByte = 7428
; NumSgprs: 46
; NumVgprs: 152
; NumAgprs: 0
; TotalNumVgprs: 152
; ScratchSize: 0
; MemoryBound: 0
; FloatMode: 240
; IeeeMode: 1
; LDSByteSize: 9600 bytes/workgroup (compile time only)
; SGPRBlocks: 5
; VGPRBlocks: 18
; NumSGPRsForWavesPerEU: 46
; NumVGPRsForWavesPerEU: 152
; AccumOffset: 152
; Occupancy: 3
; WaveLimiterHint : 1
; COMPUTE_PGM_RSRC2:SCRATCH_EN: 0
; COMPUTE_PGM_RSRC2:USER_SGPR: 6
; COMPUTE_PGM_RSRC2:TRAP_HANDLER: 0
; COMPUTE_PGM_RSRC2:TGID_X_EN: 1
; COMPUTE_PGM_RSRC2:TGID_Y_EN: 0
; COMPUTE_PGM_RSRC2:TGID_Z_EN: 1
; COMPUTE_PGM_RSRC2:TIDIG_COMP_CNT: 1
; COMPUTE_PGM_RSRC3_GFX90A:ACCUM_OFFSET: 37
; COMPUTE_PGM_RSRC3_GFX90A:TG_SPLIT: 0
	.section	.text._ZL36rocblas_hemvn_kernel_upper_block_sumILi64ElPKdPKPddEviT1_lS5_lT2_lT0_lPT3_i,"axG",@progbits,_ZL36rocblas_hemvn_kernel_upper_block_sumILi64ElPKdPKPddEviT1_lS5_lT2_lT0_lPT3_i,comdat
	.globl	_ZL36rocblas_hemvn_kernel_upper_block_sumILi64ElPKdPKPddEviT1_lS5_lT2_lT0_lPT3_i ; -- Begin function _ZL36rocblas_hemvn_kernel_upper_block_sumILi64ElPKdPKPddEviT1_lS5_lT2_lT0_lPT3_i
	.p2align	8
	.type	_ZL36rocblas_hemvn_kernel_upper_block_sumILi64ElPKdPKPddEviT1_lS5_lT2_lT0_lPT3_i,@function
_ZL36rocblas_hemvn_kernel_upper_block_sumILi64ElPKdPKPddEviT1_lS5_lT2_lT0_lPT3_i: ; @_ZL36rocblas_hemvn_kernel_upper_block_sumILi64ElPKdPKPddEviT1_lS5_lT2_lT0_lPT3_i
; %bb.0:
	s_load_dwordx8 s[16:23], s[4:5], 0x8
	s_waitcnt lgkmcnt(0)
	s_mul_i32 s0, s7, s19
	s_mul_hi_u32 s1, s7, s18
	s_add_i32 s1, s1, s0
	s_mul_i32 s0, s7, s18
	s_lshl_b64 s[0:1], s[0:1], 3
	s_add_u32 s0, s16, s0
	s_addc_u32 s1, s17, s1
	s_load_dwordx2 s[8:9], s[0:1], 0x0
	s_mul_i32 s0, s7, s23
	s_mul_hi_u32 s1, s7, s22
	s_add_i32 s1, s1, s0
	s_mul_i32 s0, s7, s22
	s_lshl_b64 s[0:1], s[0:1], 3
	s_add_u32 s0, s20, s0
	s_addc_u32 s1, s21, s1
	s_load_dwordx2 s[10:11], s[0:1], 0x0
	s_waitcnt lgkmcnt(0)
	v_cmp_eq_f64_e64 s[0:1], s[8:9], 0
	v_cmp_eq_f64_e64 s[2:3], s[10:11], 1.0
	s_and_b64 s[0:1], s[0:1], s[2:3]
	s_and_b64 vcc, exec, s[0:1]
	s_cbranch_vccnz .LBB161_19
; %bb.1:
	s_load_dwordx2 s[12:13], s[4:5], 0x28
	s_mov_b32 s14, s7
	s_mov_b32 s15, 0
	s_lshl_b64 s[18:19], s[14:15], 3
	s_load_dword s16, s[4:5], 0x0
	s_load_dwordx4 s[0:3], s[4:5], 0x30
	s_waitcnt lgkmcnt(0)
	s_add_u32 s12, s12, s18
	s_addc_u32 s13, s13, s19
	s_load_dwordx2 s[18:19], s[12:13], 0x0
	v_lshl_or_b32 v0, s6, 6, v0
	s_lshl_b64 s[0:1], s[0:1], 3
	v_cmp_neq_f64_e64 s[20:21], s[8:9], 0
	s_mov_b64 s[12:13], 0
	s_waitcnt lgkmcnt(0)
	s_add_u32 s7, s18, s0
	s_addc_u32 s15, s19, s1
	s_and_b64 vcc, exec, s[20:21]
	v_cmp_gt_i32_e64 s[0:1], s16, v0
	s_cbranch_vccnz .LBB161_6
; %bb.2:
	s_mov_b64 s[18:19], 0
                                        ; implicit-def: $vgpr4_vgpr5
                                        ; implicit-def: $vgpr2_vgpr3
	s_and_saveexec_b64 s[20:21], s[0:1]
	s_cbranch_execz .LBB161_7
; %bb.3:
	v_ashrrev_i32_e32 v1, 31, v0
	v_cmp_eq_f64_e64 s[0:1], s[10:11], 0
	v_mul_lo_u32 v6, v0, s3
	v_mul_lo_u32 v1, v1, s2
	v_mad_u64_u32 v[2:3], s[12:13], v0, s2, 0
	v_pk_mov_b32 v[4:5], 0, 0
	v_add3_u32 v3, v3, v6, v1
	s_and_b64 vcc, exec, s[0:1]
	s_cbranch_vccnz .LBB161_5
; %bb.4:
	v_lshlrev_b64 v[4:5], 3, v[2:3]
	v_mov_b32_e32 v1, s15
	v_add_co_u32_e32 v4, vcc, s7, v4
	v_addc_co_u32_e32 v5, vcc, v1, v5, vcc
	global_load_dwordx2 v[4:5], v[4:5], off
	s_waitcnt vmcnt(0)
	v_mul_f64 v[4:5], s[10:11], v[4:5]
.LBB161_5:
	s_mov_b64 s[12:13], exec
	s_or_b64 exec, exec, s[20:21]
	s_and_b64 vcc, exec, s[18:19]
	s_cbranch_vccnz .LBB161_8
	s_branch .LBB161_17
.LBB161_6:
                                        ; implicit-def: $vgpr4_vgpr5
                                        ; implicit-def: $vgpr2_vgpr3
	s_cbranch_execnz .LBB161_8
	s_branch .LBB161_17
.LBB161_7:
	s_or_b64 exec, exec, s[20:21]
	s_and_b64 vcc, exec, s[18:19]
	s_cbranch_vccz .LBB161_17
.LBB161_8:
	v_cmp_gt_i32_e32 vcc, s16, v0
                                        ; implicit-def: $vgpr4_vgpr5
                                        ; implicit-def: $vgpr2_vgpr3
	s_and_saveexec_b64 s[0:1], vcc
	s_cbranch_execz .LBB161_16
; %bb.9:
	v_ashrrev_i32_e32 v1, 31, v0
	s_cmp_lt_i32 s6, 0
	v_pk_mov_b32 v[6:7], 0, 0
	s_cbranch_scc1 .LBB161_12
; %bb.10:
	s_load_dwordx2 s[18:19], s[4:5], 0x48
	s_load_dword s20, s[4:5], 0x58
	s_ashr_i32 s17, s16, 31
	s_mul_hi_u32 s4, s16, s14
	s_mul_i32 s5, s17, s14
	s_add_i32 s4, s4, s5
	s_mul_i32 s14, s16, s14
	s_waitcnt lgkmcnt(0)
	s_mul_i32 s4, s4, s20
	s_mul_hi_u32 s5, s14, s20
	s_add_i32 s5, s5, s4
	s_mul_i32 s4, s14, s20
	s_lshl_b64 s[4:5], s[4:5], 3
	s_add_u32 s4, s18, s4
	s_addc_u32 s5, s19, s5
	v_lshlrev_b64 v[2:3], 3, v[0:1]
	v_mov_b32_e32 v4, s5
	v_add_co_u32_e32 v2, vcc, s4, v2
	s_lshl_b64 s[4:5], s[16:17], 3
	v_addc_co_u32_e32 v3, vcc, v4, v3, vcc
	s_add_i32 s6, s6, 1
	v_pk_mov_b32 v[6:7], 0, 0
	v_mov_b32_e32 v4, s5
.LBB161_11:                             ; =>This Inner Loop Header: Depth=1
	global_load_dwordx2 v[8:9], v[2:3], off
	s_add_i32 s6, s6, -1
	v_add_co_u32_e32 v2, vcc, s4, v2
	v_addc_co_u32_e32 v3, vcc, v3, v4, vcc
	s_cmp_eq_u32 s6, 0
	s_waitcnt vmcnt(0)
	v_add_f64 v[6:7], v[6:7], v[8:9]
	s_cbranch_scc0 .LBB161_11
.LBB161_12:
	v_cmp_eq_f64_e64 s[16:17], s[10:11], 0
	s_mov_b64 s[4:5], 0
	s_and_b64 vcc, exec, s[16:17]
	v_mul_lo_u32 v1, v1, s2
	v_mul_lo_u32 v8, v0, s3
	s_cbranch_vccz .LBB161_20
; %bb.13:
	v_mad_u64_u32 v[2:3], s[16:17], v0, s2, 0
	v_mul_f64 v[4:5], s[8:9], v[6:7]
	v_add3_u32 v3, v3, v8, v1
	s_andn2_b64 vcc, exec, s[4:5]
	s_cbranch_vccnz .LBB161_15
.LBB161_14:
	v_mad_u64_u32 v[2:3], s[2:3], v0, s2, 0
	v_add3_u32 v3, v3, v8, v1
	v_lshlrev_b64 v[0:1], 3, v[2:3]
	v_mov_b32_e32 v4, s15
	v_add_co_u32_e32 v0, vcc, s7, v0
	v_addc_co_u32_e32 v1, vcc, v4, v1, vcc
	global_load_dwordx2 v[0:1], v[0:1], off
	s_waitcnt vmcnt(0)
	v_mul_f64 v[4:5], s[10:11], v[0:1]
	v_fmac_f64_e32 v[4:5], s[8:9], v[6:7]
.LBB161_15:
	s_or_b64 s[12:13], s[12:13], exec
.LBB161_16:
	s_or_b64 exec, exec, s[0:1]
.LBB161_17:
	s_and_saveexec_b64 s[0:1], s[12:13]
	s_cbranch_execz .LBB161_19
; %bb.18:
	v_lshlrev_b64 v[0:1], 3, v[2:3]
	v_mov_b32_e32 v2, s15
	v_add_co_u32_e32 v0, vcc, s7, v0
	v_addc_co_u32_e32 v1, vcc, v2, v1, vcc
	global_store_dwordx2 v[0:1], v[4:5], off
.LBB161_19:
	s_endpgm
.LBB161_20:
                                        ; implicit-def: $vgpr4_vgpr5
                                        ; implicit-def: $vgpr2_vgpr3
	s_branch .LBB161_14
	.section	.rodata,"a",@progbits
	.p2align	6, 0x0
	.amdhsa_kernel _ZL36rocblas_hemvn_kernel_upper_block_sumILi64ElPKdPKPddEviT1_lS5_lT2_lT0_lPT3_i
		.amdhsa_group_segment_fixed_size 0
		.amdhsa_private_segment_fixed_size 0
		.amdhsa_kernarg_size 344
		.amdhsa_user_sgpr_count 6
		.amdhsa_user_sgpr_private_segment_buffer 1
		.amdhsa_user_sgpr_dispatch_ptr 0
		.amdhsa_user_sgpr_queue_ptr 0
		.amdhsa_user_sgpr_kernarg_segment_ptr 1
		.amdhsa_user_sgpr_dispatch_id 0
		.amdhsa_user_sgpr_flat_scratch_init 0
		.amdhsa_user_sgpr_kernarg_preload_length 0
		.amdhsa_user_sgpr_kernarg_preload_offset 0
		.amdhsa_user_sgpr_private_segment_size 0
		.amdhsa_uses_dynamic_stack 0
		.amdhsa_system_sgpr_private_segment_wavefront_offset 0
		.amdhsa_system_sgpr_workgroup_id_x 1
		.amdhsa_system_sgpr_workgroup_id_y 0
		.amdhsa_system_sgpr_workgroup_id_z 1
		.amdhsa_system_sgpr_workgroup_info 0
		.amdhsa_system_vgpr_workitem_id 0
		.amdhsa_next_free_vgpr 10
		.amdhsa_next_free_sgpr 24
		.amdhsa_accum_offset 12
		.amdhsa_reserve_vcc 1
		.amdhsa_reserve_flat_scratch 0
		.amdhsa_float_round_mode_32 0
		.amdhsa_float_round_mode_16_64 0
		.amdhsa_float_denorm_mode_32 3
		.amdhsa_float_denorm_mode_16_64 3
		.amdhsa_dx10_clamp 1
		.amdhsa_ieee_mode 1
		.amdhsa_fp16_overflow 0
		.amdhsa_tg_split 0
		.amdhsa_exception_fp_ieee_invalid_op 0
		.amdhsa_exception_fp_denorm_src 0
		.amdhsa_exception_fp_ieee_div_zero 0
		.amdhsa_exception_fp_ieee_overflow 0
		.amdhsa_exception_fp_ieee_underflow 0
		.amdhsa_exception_fp_ieee_inexact 0
		.amdhsa_exception_int_div_zero 0
	.end_amdhsa_kernel
	.section	.text._ZL36rocblas_hemvn_kernel_upper_block_sumILi64ElPKdPKPddEviT1_lS5_lT2_lT0_lPT3_i,"axG",@progbits,_ZL36rocblas_hemvn_kernel_upper_block_sumILi64ElPKdPKPddEviT1_lS5_lT2_lT0_lPT3_i,comdat
.Lfunc_end161:
	.size	_ZL36rocblas_hemvn_kernel_upper_block_sumILi64ElPKdPKPddEviT1_lS5_lT2_lT0_lPT3_i, .Lfunc_end161-_ZL36rocblas_hemvn_kernel_upper_block_sumILi64ElPKdPKPddEviT1_lS5_lT2_lT0_lPT3_i
                                        ; -- End function
	.section	.AMDGPU.csdata,"",@progbits
; Kernel info:
; codeLenInByte = 736
; NumSgprs: 28
; NumVgprs: 10
; NumAgprs: 0
; TotalNumVgprs: 10
; ScratchSize: 0
; MemoryBound: 0
; FloatMode: 240
; IeeeMode: 1
; LDSByteSize: 0 bytes/workgroup (compile time only)
; SGPRBlocks: 3
; VGPRBlocks: 1
; NumSGPRsForWavesPerEU: 28
; NumVGPRsForWavesPerEU: 10
; AccumOffset: 12
; Occupancy: 8
; WaveLimiterHint : 1
; COMPUTE_PGM_RSRC2:SCRATCH_EN: 0
; COMPUTE_PGM_RSRC2:USER_SGPR: 6
; COMPUTE_PGM_RSRC2:TRAP_HANDLER: 0
; COMPUTE_PGM_RSRC2:TGID_X_EN: 1
; COMPUTE_PGM_RSRC2:TGID_Y_EN: 0
; COMPUTE_PGM_RSRC2:TGID_Z_EN: 1
; COMPUTE_PGM_RSRC2:TIDIG_COMP_CNT: 0
; COMPUTE_PGM_RSRC3_GFX90A:ACCUM_OFFSET: 2
; COMPUTE_PGM_RSRC3_GFX90A:TG_SPLIT: 0
	.section	.text._ZL26rocblas_hemvn_kernel_upperILb0ELi64ELi4ELi33ELi32ELi16EiPKdPKS1_PdEviT6_lT7_lT5_lS6_lS7_lS5_lT8_i,"axG",@progbits,_ZL26rocblas_hemvn_kernel_upperILb0ELi64ELi4ELi33ELi32ELi16EiPKdPKS1_PdEviT6_lT7_lT5_lS6_lS7_lS5_lT8_i,comdat
	.globl	_ZL26rocblas_hemvn_kernel_upperILb0ELi64ELi4ELi33ELi32ELi16EiPKdPKS1_PdEviT6_lT7_lT5_lS6_lS7_lS5_lT8_i ; -- Begin function _ZL26rocblas_hemvn_kernel_upperILb0ELi64ELi4ELi33ELi32ELi16EiPKdPKS1_PdEviT6_lT7_lT5_lS6_lS7_lS5_lT8_i
	.p2align	8
	.type	_ZL26rocblas_hemvn_kernel_upperILb0ELi64ELi4ELi33ELi32ELi16EiPKdPKS1_PdEviT6_lT7_lT5_lS6_lS7_lS5_lT8_i,@function
_ZL26rocblas_hemvn_kernel_upperILb0ELi64ELi4ELi33ELi32ELi16EiPKdPKS1_PdEviT6_lT7_lT5_lS6_lS7_lS5_lT8_i: ; @_ZL26rocblas_hemvn_kernel_upperILb0ELi64ELi4ELi33ELi32ELi16EiPKdPKS1_PdEviT6_lT7_lT5_lS6_lS7_lS5_lT8_i
; %bb.0:
	s_load_dwordx2 s[0:1], s[4:5], 0x84
	s_add_u32 s2, s4, 0x78
	s_mov_b32 s24, s7
	s_addc_u32 s3, s5, 0
	s_waitcnt lgkmcnt(0)
	s_lshr_b32 s7, s0, 16
	s_and_b32 s0, s0, 0xffff
	s_and_b32 s1, s1, 0xffff
	s_mul_i32 s0, s7, s0
	s_mul_i32 s0, s0, s1
	s_cmpk_lg_i32 s0, 0x100
	s_cbranch_scc1 .LBB162_130
; %bb.1:
	s_load_dwordx8 s[8:15], s[4:5], 0x8
	s_load_dwordx4 s[16:19], s[4:5], 0x58
	s_waitcnt lgkmcnt(0)
	s_mul_i32 s1, s24, s11
	s_mul_hi_u32 s7, s24, s10
	s_mul_i32 s0, s24, s10
	s_add_i32 s1, s7, s1
	s_lshl_b64 s[0:1], s[0:1], 3
	s_mul_i32 s10, s24, s19
	s_add_u32 s0, s8, s0
	s_mul_hi_u32 s7, s24, s18
	s_addc_u32 s1, s9, s1
	s_add_i32 s9, s7, s10
	s_mul_i32 s8, s24, s18
	s_lshl_b64 s[8:9], s[8:9], 3
	s_add_u32 s8, s16, s8
	s_addc_u32 s9, s17, s9
	s_load_dwordx2 s[0:1], s[0:1], 0x0
	s_nop 0
	s_load_dwordx2 s[10:11], s[8:9], 0x0
	s_waitcnt lgkmcnt(0)
	v_cmp_eq_f64_e64 s[8:9], s[0:1], 0
	v_cmp_eq_f64_e64 s[10:11], s[10:11], 1.0
	s_and_b64 s[10:11], s[8:9], s[10:11]
	s_and_b64 vcc, exec, s[10:11]
	s_cbranch_vccnz .LBB162_130
; %bb.2:
	s_mov_b32 s25, 0
	s_mov_b64 s[10:11], 0
	v_cmp_neq_f64_e64 s[16:17], s[0:1], 0
	s_and_b64 vcc, exec, s[8:9]
	s_mov_b64 s[8:9], 0
	s_cbranch_vccnz .LBB162_4
; %bb.3:
	s_lshl_b64 s[0:1], s[24:25], 3
	s_add_u32 s0, s12, s0
	s_addc_u32 s1, s13, s1
	s_load_dwordx2 s[0:1], s[0:1], 0x0
	s_lshl_b64 s[8:9], s[14:15], 3
	s_waitcnt lgkmcnt(0)
	s_add_u32 s8, s0, s8
	s_addc_u32 s9, s1, s9
.LBB162_4:
	v_cndmask_b32_e64 v1, 0, 1, s[16:17]
	v_cmp_ne_u32_e64 s[0:1], 1, v1
	s_andn2_b64 vcc, exec, s[16:17]
	s_cbranch_vccnz .LBB162_6
; %bb.5:
	s_load_dwordx4 s[12:15], s[4:5], 0x38
	s_lshl_b64 s[10:11], s[24:25], 3
	s_waitcnt lgkmcnt(0)
	s_add_u32 s10, s12, s10
	s_addc_u32 s11, s13, s11
	s_load_dwordx2 s[10:11], s[10:11], 0x0
	s_lshl_b64 s[12:13], s[14:15], 3
	s_waitcnt lgkmcnt(0)
	s_add_u32 s10, s10, s12
	s_addc_u32 s11, s11, s13
.LBB162_6:
	s_and_b64 vcc, exec, s[0:1]
	s_cbranch_vccnz .LBB162_130
; %bb.7:
	s_load_dword s7, s[2:3], 0x0
	s_load_dword s40, s[4:5], 0x0
	s_load_dwordx2 s[26:27], s[4:5], 0x68
	s_load_dword s25, s[4:5], 0x48
	v_and_b32_e32 v26, 0x3ff, v0
	s_lshl_b32 s20, s6, 6
	s_waitcnt lgkmcnt(0)
	s_ashr_i32 s41, s40, 31
	s_lshr_b32 s1, s41, 26
	v_add_u32_e32 v24, s20, v26
	v_bfe_u32 v77, v0, 10, 10
	s_add_i32 s1, s40, s1
	v_mul_lo_u32 v0, v24, s25
	s_andn2_b32 s1, s1, 63
	v_ashrrev_i32_e32 v1, 31, v0
	s_add_i32 s0, s7, -1
	s_sub_i32 s33, s40, s1
	v_lshlrev_b64 v[0:1], 3, v[0:1]
	s_cmp_eq_u32 s6, s0
	v_mov_b32_e32 v2, s11
	v_add_co_u32_e32 v16, vcc, s10, v0
	s_cselect_b32 s16, s33, 0
	v_addc_co_u32_e32 v17, vcc, v2, v1, vcc
	v_cmp_eq_u32_e64 s[0:1], 0, v77
	s_and_saveexec_b64 s[2:3], s[0:1]
	s_cbranch_execz .LBB162_11
; %bb.8:
	s_cmp_eq_u32 s16, 0
	s_cselect_b64 s[10:11], -1, 0
	v_cmp_gt_i32_e32 vcc, s16, v26
	s_or_b64 s[12:13], s[10:11], vcc
	v_pk_mov_b32 v[0:1], 0, 0
	s_and_saveexec_b64 s[10:11], s[12:13]
	s_cbranch_execz .LBB162_10
; %bb.9:
	flat_load_dwordx2 v[0:1], v[16:17]
.LBB162_10:
	s_or_b64 exec, exec, s[10:11]
	v_lshlrev_b32_e32 v2, 3, v26
	s_waitcnt vmcnt(0) lgkmcnt(0)
	ds_write_b64 v2, v[0:1] offset:9088
.LBB162_11:
	s_or_b64 exec, exec, s[2:3]
	s_load_dword s22, s[4:5], 0x28
	s_ashr_i32 s21, s20, 31
	v_lshl_add_u32 v79, v77, 6, v26
	s_lshl_b64 s[2:3], s[20:21], 3
	v_and_b32_e32 v0, 31, v26
	v_lshrrev_b32_e32 v1, 5, v79
	s_add_u32 s4, s8, s2
	s_addc_u32 s5, s9, s3
	s_waitcnt lgkmcnt(0)
	v_mad_u64_u32 v[12:13], s[2:3], v1, s22, v[0:1]
	s_mul_i32 s2, s20, s22
	s_ashr_i32 s3, s2, 31
	s_lshl_b64 s[2:3], s[2:3], 3
	s_add_u32 s2, s2, s4
	v_ashrrev_i32_e32 v13, 31, v12
	s_addc_u32 s3, s3, s5
	v_lshlrev_b64 v[14:15], 3, v[12:13]
	s_cmp_eq_u32 s16, 0
	v_mov_b32_e32 v2, s3
	v_add_co_u32_e32 v4, vcc, s2, v14
	s_cselect_b64 s[18:19], -1, 0
	s_cmp_lg_u32 s16, 0
	v_addc_co_u32_e32 v5, vcc, v2, v15, vcc
	s_cselect_b64 s[34:35], -1, 0
	s_and_b64 vcc, exec, s[34:35]
	v_cmp_gt_i32_e64 s[2:3], s16, v0
	v_lshlrev_b32_e32 v13, 3, v0
	s_cbranch_vccz .LBB162_21
; %bb.12:
	v_sub_co_u32_e32 v2, vcc, v4, v13
	s_ashr_i32 s17, s16, 31
	v_subbrev_co_u32_e32 v3, vcc, 0, v5, vcc
	s_lshl_b64 s[4:5], s[16:17], 3
	v_mov_b32_e32 v6, s5
	v_add_co_u32_e32 v2, vcc, s4, v2
	v_addc_co_u32_e32 v3, vcc, v3, v6, vcc
	v_add_co_u32_e32 v2, vcc, -8, v2
	v_addc_co_u32_e32 v3, vcc, -1, v3, vcc
	v_pk_mov_b32 v[6:7], 0, 0
	v_cndmask_b32_e64 v3, v3, v5, s[2:3]
	v_cndmask_b32_e64 v2, v2, v4, s[2:3]
	v_cmp_gt_i32_e32 vcc, s16, v1
	v_pk_mov_b32 v[8:9], v[6:7], v[6:7] op_sel:[0,1]
	s_and_saveexec_b64 s[8:9], vcc
	s_cbranch_execz .LBB162_14
; %bb.13:
	flat_load_dwordx2 v[8:9], v[2:3]
.LBB162_14:
	s_or_b64 exec, exec, s[8:9]
	v_mul_u32_u24_e32 v10, 33, v1
	v_add_lshl_u32 v10, v10, v0, 3
	s_waitcnt vmcnt(0) lgkmcnt(0)
	ds_write_b64 v10, v[8:9]
	v_add_u32_e32 v8, 8, v1
	v_cmp_gt_i32_e32 vcc, s16, v8
	s_and_saveexec_b64 s[8:9], vcc
	s_cbranch_execz .LBB162_16
; %bb.15:
	s_lshl_b32 s10, s22, 3
	s_ashr_i32 s11, s10, 31
	s_lshl_b64 s[10:11], s[10:11], 3
	v_mov_b32_e32 v7, s11
	v_add_co_u32_e32 v6, vcc, s10, v2
	v_addc_co_u32_e32 v7, vcc, v3, v7, vcc
	flat_load_dwordx2 v[6:7], v[6:7]
.LBB162_16:
	s_or_b64 exec, exec, s[8:9]
	s_waitcnt vmcnt(0) lgkmcnt(0)
	ds_write_b64 v10, v[6:7] offset:2112
	v_add_u32_e32 v6, 16, v1
	v_cmp_gt_i32_e32 vcc, s16, v6
	v_pk_mov_b32 v[6:7], 0, 0
	v_pk_mov_b32 v[8:9], v[6:7], v[6:7] op_sel:[0,1]
	s_and_saveexec_b64 s[8:9], vcc
	s_cbranch_execz .LBB162_18
; %bb.17:
	s_lshl_b32 s10, s22, 4
	s_ashr_i32 s11, s10, 31
	s_lshl_b64 s[10:11], s[10:11], 3
	v_mov_b32_e32 v9, s11
	v_add_co_u32_e32 v8, vcc, s10, v2
	v_addc_co_u32_e32 v9, vcc, v3, v9, vcc
	flat_load_dwordx2 v[8:9], v[8:9]
.LBB162_18:
	s_or_b64 exec, exec, s[8:9]
	s_waitcnt vmcnt(0) lgkmcnt(0)
	ds_write_b64 v10, v[8:9] offset:4224
	v_add_u32_e32 v8, 24, v1
	v_cmp_gt_i32_e32 vcc, s16, v8
	s_and_saveexec_b64 s[8:9], vcc
	s_cbranch_execz .LBB162_20
; %bb.19:
	s_mul_i32 s10, s22, 24
	s_ashr_i32 s11, s10, 31
	s_lshl_b64 s[10:11], s[10:11], 3
	v_mov_b32_e32 v7, s11
	v_add_co_u32_e32 v6, vcc, s10, v2
	v_addc_co_u32_e32 v7, vcc, v3, v7, vcc
	flat_load_dwordx2 v[6:7], v[6:7]
.LBB162_20:
	s_or_b64 exec, exec, s[8:9]
	v_add_co_u32_e32 v2, vcc, v2, v13
	v_addc_co_u32_e32 v3, vcc, 0, v3, vcc
	s_waitcnt vmcnt(0) lgkmcnt(0)
	ds_write_b64 v10, v[6:7] offset:6336
	v_mov_b32_e32 v6, s5
	v_subrev_co_u32_e32 v2, vcc, s4, v2
	v_subb_co_u32_e32 v3, vcc, v3, v6, vcc
	v_add_co_u32_e32 v2, vcc, 8, v2
	v_addc_co_u32_e32 v3, vcc, 0, v3, vcc
	v_cndmask_b32_e64 v3, v3, v5, s[2:3]
	v_cndmask_b32_e64 v2, v2, v4, s[2:3]
	v_mul_u32_u24_e32 v21, 33, v1
	s_branch .LBB162_23
.LBB162_21:
                                        ; implicit-def: $vgpr2_vgpr3
	v_mul_u32_u24_e32 v21, 33, v1
	s_cbranch_execz .LBB162_23
; %bb.22:
	flat_load_dwordx2 v[2:3], v[4:5]
	s_lshl_b32 s2, s22, 3
	s_ashr_i32 s3, s2, 31
	s_lshl_b64 s[2:3], s[2:3], 3
	v_add_lshl_u32 v8, v21, v0, 3
	v_mov_b32_e32 v7, s3
	v_add_co_u32_e32 v6, vcc, s2, v4
	v_addc_co_u32_e32 v7, vcc, v5, v7, vcc
	s_ashr_i32 s23, s22, 31
	s_lshl_b64 s[2:3], s[22:23], 6
	v_mov_b32_e32 v9, s3
	s_waitcnt vmcnt(0) lgkmcnt(0)
	ds_write_b64 v8, v[2:3]
	flat_load_dwordx2 v[2:3], v[6:7]
	v_add_co_u32_e32 v6, vcc, s2, v6
	v_addc_co_u32_e32 v7, vcc, v7, v9, vcc
	s_waitcnt vmcnt(0) lgkmcnt(0)
	ds_write_b64 v8, v[2:3] offset:2112
	flat_load_dwordx2 v[2:3], v[6:7]
	v_add_co_u32_e32 v6, vcc, s2, v6
	v_addc_co_u32_e32 v7, vcc, v7, v9, vcc
	s_waitcnt vmcnt(0) lgkmcnt(0)
	ds_write_b64 v8, v[2:3] offset:4224
	flat_load_dwordx2 v[2:3], v[6:7]
	s_waitcnt vmcnt(0) lgkmcnt(0)
	ds_write_b64 v8, v[2:3] offset:6336
	v_pk_mov_b32 v[2:3], v[4:5], v[4:5] op_sel:[0,1]
.LBB162_23:
	v_lshlrev_b32_e32 v4, 2, v1
	v_mul_u32_u24_e32 v20, 33, v0
	v_cmp_gt_u32_e64 s[4:5], v4, v0
	v_add_lshl_u32 v18, v4, v20, 3
	s_waitcnt lgkmcnt(0)
	s_barrier
	s_and_saveexec_b64 s[2:3], s[4:5]
	s_cbranch_execz .LBB162_25
; %bb.24:
	v_mul_u32_u24_e32 v5, 0x84, v1
	v_add_lshl_u32 v5, v5, v0, 3
	ds_read_b64 v[6:7], v5
	s_waitcnt lgkmcnt(0)
	ds_write_b64 v18, v[6:7]
.LBB162_25:
	s_or_b64 exec, exec, s[2:3]
	v_cmp_ge_u32_e64 s[14:15], v4, v0
	s_and_saveexec_b64 s[2:3], s[14:15]
	s_cbranch_execz .LBB162_27
; %bb.26:
	v_or_b32_e32 v5, 1, v4
	v_mul_u32_u24_e32 v5, 33, v5
	v_add_lshl_u32 v5, v5, v0, 3
	ds_read_b64 v[6:7], v5
	s_waitcnt lgkmcnt(0)
	ds_write_b64 v18, v[6:7] offset:8
.LBB162_27:
	s_or_b64 exec, exec, s[2:3]
	v_or_b32_e32 v5, 2, v4
	v_cmp_gt_u32_e64 s[8:9], v5, v0
	s_and_saveexec_b64 s[2:3], s[8:9]
	s_cbranch_execz .LBB162_29
; %bb.28:
	v_mul_u32_u24_e32 v5, 33, v5
	v_add_lshl_u32 v5, v5, v0, 3
	ds_read_b64 v[6:7], v5
	s_waitcnt lgkmcnt(0)
	ds_write_b64 v18, v[6:7] offset:16
.LBB162_29:
	s_or_b64 exec, exec, s[2:3]
	v_or_b32_e32 v5, 3, v4
	v_cmp_gt_u32_e64 s[10:11], v5, v0
	v_mad_u32_u24 v5, v5, 33, v0
	v_lshlrev_b32_e32 v30, 3, v5
	s_and_saveexec_b64 s[2:3], s[10:11]
	s_cbranch_execz .LBB162_31
; %bb.30:
	ds_read_b64 v[6:7], v30
	s_waitcnt lgkmcnt(0)
	ds_write_b64 v18, v[6:7] offset:24
.LBB162_31:
	s_or_b64 exec, exec, s[2:3]
	v_mul_u32_u24_e32 v5, 0x84, v1
	v_add_lshl_u32 v22, v5, v0, 3
	s_waitcnt lgkmcnt(0)
	s_barrier
	v_lshlrev_b32_e32 v19, 3, v4
	ds_read_b64 v[36:37], v22
	ds_read_b128 v[4:7], v19 offset:9088
	v_add_u32_e32 v31, 0xfffffdf0, v30
	ds_read2_b64 v[8:11], v31 offset1:33
	ds_read_b128 v[32:35], v19 offset:9104
	ds_read_b64 v[38:39], v30
	v_pk_mov_b32 v[28:29], 0, 0
	v_add_lshl_u32 v27, v1, v20, 3
	s_waitcnt lgkmcnt(3)
	v_fma_f64 v[4:5], v[36:37], v[4:5], 0
	s_waitcnt lgkmcnt(2)
	v_fmac_f64_e32 v[4:5], v[8:9], v[6:7]
	s_waitcnt lgkmcnt(1)
	v_fmac_f64_e32 v[4:5], v[10:11], v[32:33]
	;; [unrolled: 2-line block ×3, first 2 shown]
	v_cmp_gt_u32_e64 s[2:3], 32, v79
	v_lshlrev_b32_e32 v25, 3, v20
	s_barrier
	ds_write_b64 v27, v[4:5]
	s_waitcnt lgkmcnt(0)
	s_barrier
	s_and_saveexec_b64 s[12:13], s[2:3]
	s_cbranch_execz .LBB162_33
; %bb.32:
	ds_read2_b64 v[4:7], v25 offset1:1
	ds_read2_b64 v[8:11], v25 offset0:2 offset1:3
	ds_read2_b64 v[32:35], v25 offset0:4 offset1:5
	s_waitcnt lgkmcnt(2)
	v_add_f64 v[28:29], v[4:5], v[6:7]
	ds_read2_b64 v[4:7], v25 offset0:6 offset1:7
	s_waitcnt lgkmcnt(2)
	v_add_f64 v[8:9], v[28:29], v[8:9]
	v_add_f64 v[8:9], v[8:9], v[10:11]
	s_waitcnt lgkmcnt(1)
	v_add_f64 v[8:9], v[8:9], v[32:33]
	v_add_f64 v[8:9], v[8:9], v[34:35]
	;; [unrolled: 3-line block ×3, first 2 shown]
.LBB162_33:
	s_or_b64 exec, exec, s[12:13]
	s_lshl_b32 s30, s22, 5
	s_ashr_i32 s31, s30, 31
	s_lshl_b64 s[28:29], s[30:31], 3
	v_mov_b32_e32 v4, s29
	v_add_co_u32_e32 v6, vcc, s28, v2
	v_addc_co_u32_e32 v7, vcc, v3, v4, vcc
	v_add_co_u32_e32 v2, vcc, 0x100, v6
	v_addc_co_u32_e32 v3, vcc, 0, v7, vcc
	s_and_b64 vcc, exec, s[34:35]
	s_barrier
	s_cbranch_vccz .LBB162_43
; %bb.34:
	v_or_b32_e32 v4, 32, v0
	v_lshlrev_b32_e32 v5, 3, v4
	v_sub_co_u32_e32 v5, vcc, v2, v5
	s_ashr_i32 s17, s16, 31
	v_subbrev_co_u32_e32 v8, vcc, 0, v3, vcc
	s_lshl_b64 s[36:37], s[16:17], 3
	v_mov_b32_e32 v9, s37
	v_add_co_u32_e32 v5, vcc, s36, v5
	v_addc_co_u32_e32 v8, vcc, v8, v9, vcc
	v_add_co_u32_e32 v9, vcc, -8, v5
	v_cmp_gt_i32_e64 s[12:13], s16, v4
	v_addc_co_u32_e32 v5, vcc, -1, v8, vcc
	v_cndmask_b32_e64 v4, v9, v2, s[12:13]
	s_sub_i32 s17, s16, 32
	v_pk_mov_b32 v[8:9], 0, 0
	v_cndmask_b32_e64 v5, v5, v3, s[12:13]
	v_cmp_gt_i32_e32 vcc, s17, v1
	v_pk_mov_b32 v[10:11], v[8:9], v[8:9] op_sel:[0,1]
	s_and_saveexec_b64 s[38:39], vcc
	s_cbranch_execz .LBB162_36
; %bb.35:
	flat_load_dwordx2 v[10:11], v[4:5]
.LBB162_36:
	s_or_b64 exec, exec, s[38:39]
	v_add_lshl_u32 v23, v21, v0, 3
	s_waitcnt vmcnt(0) lgkmcnt(0)
	ds_write_b64 v23, v[10:11]
	v_add_u32_e32 v10, 8, v1
	v_cmp_gt_i32_e32 vcc, s17, v10
	s_and_saveexec_b64 s[38:39], vcc
	s_cbranch_execz .LBB162_38
; %bb.37:
	s_lshl_b32 s42, s22, 3
	s_ashr_i32 s43, s42, 31
	s_lshl_b64 s[42:43], s[42:43], 3
	v_mov_b32_e32 v9, s43
	v_add_co_u32_e32 v8, vcc, s42, v4
	v_addc_co_u32_e32 v9, vcc, v5, v9, vcc
	flat_load_dwordx2 v[8:9], v[8:9]
.LBB162_38:
	s_or_b64 exec, exec, s[38:39]
	s_waitcnt vmcnt(0) lgkmcnt(0)
	ds_write_b64 v23, v[8:9] offset:2112
	v_add_u32_e32 v8, 16, v1
	v_cmp_gt_i32_e32 vcc, s17, v8
	v_pk_mov_b32 v[8:9], 0, 0
	v_pk_mov_b32 v[10:11], v[8:9], v[8:9] op_sel:[0,1]
	s_and_saveexec_b64 s[38:39], vcc
	s_cbranch_execz .LBB162_40
; %bb.39:
	s_lshl_b32 s42, s22, 4
	s_ashr_i32 s43, s42, 31
	s_lshl_b64 s[42:43], s[42:43], 3
	v_mov_b32_e32 v11, s43
	v_add_co_u32_e32 v10, vcc, s42, v4
	v_addc_co_u32_e32 v11, vcc, v5, v11, vcc
	flat_load_dwordx2 v[10:11], v[10:11]
.LBB162_40:
	s_or_b64 exec, exec, s[38:39]
	s_waitcnt vmcnt(0) lgkmcnt(0)
	ds_write_b64 v23, v[10:11] offset:4224
	v_add_u32_e32 v10, 24, v1
	v_cmp_gt_i32_e32 vcc, s17, v10
	s_and_saveexec_b64 s[38:39], vcc
	s_cbranch_execz .LBB162_42
; %bb.41:
	s_mul_i32 s42, s22, 24
	s_ashr_i32 s43, s42, 31
	s_lshl_b64 s[42:43], s[42:43], 3
	v_mov_b32_e32 v9, s43
	v_add_co_u32_e32 v8, vcc, s42, v4
	v_addc_co_u32_e32 v9, vcc, v5, v9, vcc
	flat_load_dwordx2 v[8:9], v[8:9]
.LBB162_42:
	s_or_b64 exec, exec, s[38:39]
	v_add_co_u32_e32 v4, vcc, v4, v13
	v_addc_co_u32_e32 v5, vcc, 0, v5, vcc
	s_waitcnt vmcnt(0) lgkmcnt(0)
	ds_write_b64 v23, v[8:9] offset:6336
	v_mov_b32_e32 v8, s37
	v_subrev_co_u32_e32 v4, vcc, s36, v4
	v_subb_co_u32_e32 v5, vcc, v5, v8, vcc
	v_add_co_u32_e32 v4, vcc, 0x108, v4
	v_addc_co_u32_e32 v5, vcc, 0, v5, vcc
	v_cndmask_b32_e64 v5, v5, v3, s[12:13]
	v_cndmask_b32_e64 v4, v4, v2, s[12:13]
	s_branch .LBB162_45
.LBB162_43:
                                        ; implicit-def: $vgpr4_vgpr5
	s_cbranch_execz .LBB162_45
; %bb.44:
	flat_load_dwordx2 v[4:5], v[6:7] offset:256
	s_lshl_b32 s12, s22, 3
	s_ashr_i32 s13, s12, 31
	s_lshl_b64 s[12:13], s[12:13], 3
	v_add_lshl_u32 v8, v21, v0, 3
	v_mov_b32_e32 v9, s13
	v_add_co_u32_e32 v6, vcc, s12, v6
	v_addc_co_u32_e32 v7, vcc, v7, v9, vcc
	s_ashr_i32 s23, s22, 31
	s_lshl_b64 s[12:13], s[22:23], 6
	v_mov_b32_e32 v9, s13
	s_waitcnt vmcnt(0) lgkmcnt(0)
	ds_write_b64 v8, v[4:5]
	flat_load_dwordx2 v[4:5], v[6:7] offset:256
	v_add_co_u32_e32 v6, vcc, s12, v6
	v_addc_co_u32_e32 v7, vcc, v7, v9, vcc
	s_waitcnt vmcnt(0) lgkmcnt(0)
	ds_write_b64 v8, v[4:5] offset:2112
	flat_load_dwordx2 v[4:5], v[6:7] offset:256
	v_add_co_u32_e32 v6, vcc, s12, v6
	v_addc_co_u32_e32 v7, vcc, v7, v9, vcc
	s_waitcnt vmcnt(0) lgkmcnt(0)
	ds_write_b64 v8, v[4:5] offset:4224
	flat_load_dwordx2 v[4:5], v[6:7] offset:256
	s_waitcnt vmcnt(0) lgkmcnt(0)
	ds_write_b64 v8, v[4:5] offset:6336
	v_pk_mov_b32 v[4:5], v[2:3], v[2:3] op_sel:[0,1]
.LBB162_45:
	s_waitcnt lgkmcnt(0)
	s_barrier
	s_and_saveexec_b64 s[12:13], s[4:5]
	s_cbranch_execnz .LBB162_62
; %bb.46:
	s_or_b64 exec, exec, s[12:13]
	s_and_saveexec_b64 s[4:5], s[14:15]
	s_cbranch_execnz .LBB162_63
.LBB162_47:
	s_or_b64 exec, exec, s[4:5]
	s_and_saveexec_b64 s[4:5], s[8:9]
	s_cbranch_execnz .LBB162_64
.LBB162_48:
	s_or_b64 exec, exec, s[4:5]
	v_add_u32_e32 v32, 0x2380, v19
	s_and_saveexec_b64 s[4:5], s[10:11]
	s_cbranch_execz .LBB162_50
.LBB162_49:
	ds_read_b64 v[2:3], v30
	s_waitcnt lgkmcnt(0)
	ds_write_b64 v18, v[2:3] offset:24
.LBB162_50:
	s_or_b64 exec, exec, s[4:5]
	s_waitcnt lgkmcnt(0)
	s_barrier
	ds_read_b64 v[2:3], v22
	ds_read_b128 v[6:9], v32 offset:256
	ds_read2_b64 v[34:37], v31 offset1:33
	ds_read_b128 v[38:41], v32 offset:272
	ds_read_b64 v[10:11], v30
	v_cmp_eq_u32_e64 s[4:5], 1, v1
	s_waitcnt lgkmcnt(3)
	v_fma_f64 v[2:3], v[2:3], v[6:7], 0
	s_waitcnt lgkmcnt(2)
	v_fmac_f64_e32 v[2:3], v[34:35], v[8:9]
	s_waitcnt lgkmcnt(1)
	v_fmac_f64_e32 v[2:3], v[36:37], v[38:39]
	;; [unrolled: 2-line block ×3, first 2 shown]
	s_barrier
	ds_write_b64 v27, v[2:3]
	s_waitcnt lgkmcnt(0)
	s_barrier
	s_and_saveexec_b64 s[8:9], s[4:5]
	s_cbranch_execz .LBB162_52
; %bb.51:
	ds_read2_b64 v[6:9], v25 offset1:1
	ds_read2_b64 v[34:37], v25 offset0:2 offset1:3
	ds_read2_b64 v[38:41], v25 offset0:4 offset1:5
	s_waitcnt lgkmcnt(2)
	v_add_f64 v[2:3], v[6:7], v[8:9]
	ds_read2_b64 v[6:9], v25 offset0:6 offset1:7
	s_waitcnt lgkmcnt(2)
	v_add_f64 v[2:3], v[2:3], v[34:35]
	v_add_f64 v[2:3], v[2:3], v[36:37]
	s_waitcnt lgkmcnt(1)
	v_add_f64 v[2:3], v[2:3], v[38:39]
	v_add_f64 v[2:3], v[2:3], v[40:41]
	;; [unrolled: 3-line block ×3, first 2 shown]
.LBB162_52:
	s_or_b64 exec, exec, s[8:9]
	v_add_co_u32_e32 v2, vcc, 0xffffff00, v4
	v_addc_co_u32_e32 v3, vcc, -1, v5, vcc
	s_and_b64 vcc, exec, s[34:35]
	s_barrier
	s_cbranch_vccz .LBB162_65
; %bb.53:
	v_sub_co_u32_e32 v4, vcc, v2, v13
	s_ashr_i32 s17, s16, 31
	v_subbrev_co_u32_e32 v5, vcc, 0, v3, vcc
	s_lshl_b64 s[10:11], s[16:17], 3
	v_mov_b32_e32 v6, s11
	v_add_co_u32_e32 v4, vcc, s10, v4
	v_addc_co_u32_e32 v5, vcc, v5, v6, vcc
	v_add_co_u32_e32 v4, vcc, -8, v4
	v_addc_co_u32_e32 v5, vcc, -1, v5, vcc
	v_cmp_gt_i32_e32 vcc, s16, v0
	s_sub_i32 s14, s16, 32
	v_pk_mov_b32 v[6:7], 0, 0
	v_cndmask_b32_e32 v5, v5, v3, vcc
	v_cndmask_b32_e32 v4, v4, v2, vcc
	v_cmp_gt_i32_e64 s[8:9], s14, v1
	v_pk_mov_b32 v[8:9], v[6:7], v[6:7] op_sel:[0,1]
	s_and_saveexec_b64 s[12:13], s[8:9]
	s_cbranch_execz .LBB162_55
; %bb.54:
	flat_load_dwordx2 v[8:9], v[4:5]
.LBB162_55:
	s_or_b64 exec, exec, s[12:13]
	v_add_u32_e32 v10, 8, v1
	v_add_lshl_u32 v18, v21, v0, 3
	v_cmp_gt_i32_e64 s[8:9], s14, v10
	s_waitcnt vmcnt(0) lgkmcnt(0)
	ds_write_b64 v18, v[8:9]
	s_and_saveexec_b64 s[12:13], s[8:9]
	s_cbranch_execz .LBB162_57
; %bb.56:
	s_lshl_b32 s8, s22, 3
	s_ashr_i32 s9, s8, 31
	s_lshl_b64 s[8:9], s[8:9], 3
	v_mov_b32_e32 v7, s9
	v_add_co_u32_e64 v6, s[8:9], s8, v4
	v_addc_co_u32_e64 v7, s[8:9], v5, v7, s[8:9]
	flat_load_dwordx2 v[6:7], v[6:7]
.LBB162_57:
	s_or_b64 exec, exec, s[12:13]
	s_waitcnt vmcnt(0) lgkmcnt(0)
	ds_write_b64 v18, v[6:7] offset:2112
	v_add_u32_e32 v11, 16, v1
	v_pk_mov_b32 v[6:7], 0, 0
	v_cmp_gt_i32_e64 s[8:9], s14, v11
	v_pk_mov_b32 v[8:9], v[6:7], v[6:7] op_sel:[0,1]
	s_and_saveexec_b64 s[12:13], s[8:9]
	s_cbranch_execz .LBB162_59
; %bb.58:
	s_lshl_b32 s8, s22, 4
	s_ashr_i32 s9, s8, 31
	s_lshl_b64 s[8:9], s[8:9], 3
	v_mov_b32_e32 v9, s9
	v_add_co_u32_e64 v8, s[8:9], s8, v4
	v_addc_co_u32_e64 v9, s[8:9], v5, v9, s[8:9]
	flat_load_dwordx2 v[8:9], v[8:9]
.LBB162_59:
	s_or_b64 exec, exec, s[12:13]
	s_waitcnt vmcnt(0) lgkmcnt(0)
	ds_write_b64 v18, v[8:9] offset:4224
	v_add_u32_e32 v8, 24, v1
	v_cmp_gt_i32_e64 s[8:9], s14, v8
	s_and_saveexec_b64 s[12:13], s[8:9]
	s_cbranch_execz .LBB162_61
; %bb.60:
	s_mul_i32 s8, s22, 24
	s_ashr_i32 s9, s8, 31
	s_lshl_b64 s[8:9], s[8:9], 3
	v_mov_b32_e32 v7, s9
	v_add_co_u32_e64 v6, s[8:9], s8, v4
	v_addc_co_u32_e64 v7, s[8:9], v5, v7, s[8:9]
	flat_load_dwordx2 v[6:7], v[6:7]
.LBB162_61:
	s_or_b64 exec, exec, s[12:13]
	v_add_co_u32_e64 v4, s[8:9], v4, v13
	v_addc_co_u32_e64 v5, s[8:9], 0, v5, s[8:9]
	s_waitcnt vmcnt(0) lgkmcnt(0)
	ds_write_b64 v18, v[6:7] offset:6336
	v_mov_b32_e32 v6, s11
	v_subrev_co_u32_e64 v4, s[8:9], s10, v4
	v_subb_co_u32_e64 v5, s[8:9], v5, v6, s[8:9]
	v_add_co_u32_e64 v4, s[8:9], 8, v4
	v_addc_co_u32_e64 v5, s[8:9], 0, v5, s[8:9]
	v_cndmask_b32_e32 v19, v5, v3, vcc
	v_cndmask_b32_e32 v18, v4, v2, vcc
	s_branch .LBB162_67
.LBB162_62:
	ds_read_b64 v[2:3], v22
	s_waitcnt lgkmcnt(0)
	ds_write_b64 v18, v[2:3]
	s_or_b64 exec, exec, s[12:13]
	s_and_saveexec_b64 s[4:5], s[14:15]
	s_cbranch_execz .LBB162_47
.LBB162_63:
	ds_read_b64 v[2:3], v31
	s_waitcnt lgkmcnt(0)
	ds_write_b64 v18, v[2:3] offset:8
	s_or_b64 exec, exec, s[4:5]
	s_and_saveexec_b64 s[4:5], s[8:9]
	s_cbranch_execz .LBB162_48
.LBB162_64:
	ds_read_b64 v[2:3], v31 offset:264
	s_waitcnt lgkmcnt(0)
	ds_write_b64 v18, v[2:3] offset:16
	s_or_b64 exec, exec, s[4:5]
	v_add_u32_e32 v32, 0x2380, v19
	s_and_saveexec_b64 s[4:5], s[10:11]
	s_cbranch_execnz .LBB162_49
	s_branch .LBB162_50
.LBB162_65:
                                        ; implicit-def: $vgpr18_vgpr19
                                        ; implicit-def: $vgpr10
                                        ; implicit-def: $vgpr11
                                        ; implicit-def: $vgpr8
	s_cbranch_execz .LBB162_67
; %bb.66:
	flat_load_dwordx2 v[4:5], v[2:3]
	s_lshl_b32 s8, s22, 3
	s_ashr_i32 s9, s8, 31
	s_lshl_b64 s[8:9], s[8:9], 3
	v_add_lshl_u32 v0, v21, v0, 3
	v_mov_b32_e32 v7, s9
	v_add_co_u32_e32 v6, vcc, s8, v2
	v_addc_co_u32_e32 v7, vcc, v3, v7, vcc
	s_ashr_i32 s23, s22, 31
	s_lshl_b64 s[8:9], s[22:23], 6
	v_mov_b32_e32 v8, s9
	v_add_u32_e32 v10, 8, v1
	v_add_u32_e32 v11, 16, v1
	v_pk_mov_b32 v[18:19], v[2:3], v[2:3] op_sel:[0,1]
	s_waitcnt vmcnt(0) lgkmcnt(0)
	ds_write_b64 v0, v[4:5]
	flat_load_dwordx2 v[4:5], v[6:7]
	v_add_co_u32_e32 v6, vcc, s8, v6
	v_addc_co_u32_e32 v7, vcc, v7, v8, vcc
	s_waitcnt vmcnt(0) lgkmcnt(0)
	ds_write_b64 v0, v[4:5] offset:2112
	flat_load_dwordx2 v[4:5], v[6:7]
	v_add_co_u32_e32 v6, vcc, s8, v6
	v_addc_co_u32_e32 v7, vcc, v7, v8, vcc
	v_add_u32_e32 v8, 24, v1
	s_waitcnt vmcnt(0) lgkmcnt(0)
	ds_write_b64 v0, v[4:5] offset:4224
	flat_load_dwordx2 v[4:5], v[6:7]
	s_waitcnt vmcnt(0) lgkmcnt(0)
	ds_write_b64 v0, v[4:5] offset:6336
.LBB162_67:
	v_lshlrev_b32_e32 v0, 3, v1
	s_waitcnt lgkmcnt(0)
	s_barrier
	v_add_lshl_u32 v1, v10, v20, 3
	v_lshlrev_b32_e32 v2, 3, v10
	v_add_lshl_u32 v3, v11, v20, 3
	ds_read_b64 v[34:35], v0 offset:9088
	ds_read_b64 v[36:37], v1
	ds_read_b64 v[38:39], v2 offset:9088
	ds_read_b64 v[40:41], v3
	v_add_lshl_u32 v20, v8, v20, 3
	v_lshlrev_b32_e32 v21, 3, v8
	v_lshlrev_b32_e32 v13, 3, v11
	ds_read_b64 v[22:23], v22
	ds_read_b128 v[8:11], v32 offset:256
	ds_read_b64 v[42:43], v27
	ds_read_b128 v[0:3], v32 offset:272
	ds_read2_b64 v[4:7], v31 offset1:33
	ds_read_b64 v[32:33], v13 offset:9088
	ds_read_b64 v[44:45], v20
	ds_read_b64 v[46:47], v21 offset:9088
	ds_read_b64 v[20:21], v30
	s_waitcnt lgkmcnt(6)
	v_fma_f64 v[30:31], v[42:43], v[34:35], 0
	v_fmac_f64_e32 v[30:31], v[36:37], v[38:39]
	s_waitcnt lgkmcnt(3)
	v_fmac_f64_e32 v[30:31], v[40:41], v[32:33]
	s_waitcnt lgkmcnt(1)
	;; [unrolled: 2-line block ×3, first 2 shown]
	s_barrier
	ds_write_b64 v27, v[30:31]
	s_waitcnt lgkmcnt(0)
	s_barrier
	s_and_saveexec_b64 s[8:9], s[4:5]
	s_cbranch_execz .LBB162_69
; %bb.68:
	ds_read2_b64 v[30:33], v25 offset1:1
	ds_read2_b64 v[34:37], v25 offset0:2 offset1:3
	s_waitcnt lgkmcnt(1)
	v_add_f64 v[38:39], v[28:29], v[30:31]
	ds_read2_b64 v[28:31], v25 offset0:4 offset1:5
	v_add_f64 v[32:33], v[38:39], v[32:33]
	ds_read2_b64 v[38:41], v25 offset0:6 offset1:7
	s_waitcnt lgkmcnt(2)
	v_add_f64 v[32:33], v[32:33], v[34:35]
	v_add_f64 v[32:33], v[32:33], v[36:37]
	s_waitcnt lgkmcnt(1)
	v_add_f64 v[28:29], v[32:33], v[28:29]
	v_add_f64 v[28:29], v[28:29], v[30:31]
	;; [unrolled: 3-line block ×3, first 2 shown]
.LBB162_69:
	s_or_b64 exec, exec, s[8:9]
	v_fma_f64 v[8:9], v[22:23], v[8:9], 0
	v_fmac_f64_e32 v[8:9], v[4:5], v[10:11]
	v_fmac_f64_e32 v[8:9], v[6:7], v[0:1]
	;; [unrolled: 1-line block ×3, first 2 shown]
	s_barrier
	ds_write_b64 v27, v[8:9]
	s_waitcnt lgkmcnt(0)
	s_barrier
	s_and_saveexec_b64 s[4:5], s[2:3]
	s_cbranch_execz .LBB162_71
; %bb.70:
	ds_read2_b64 v[0:3], v25 offset1:1
	ds_read2_b64 v[4:7], v25 offset0:2 offset1:3
	ds_read2_b64 v[8:11], v25 offset0:4 offset1:5
	s_waitcnt lgkmcnt(2)
	v_add_f64 v[0:1], v[28:29], v[0:1]
	v_add_f64 v[20:21], v[0:1], v[2:3]
	ds_read2_b64 v[0:3], v25 offset0:6 offset1:7
	s_waitcnt lgkmcnt(2)
	v_add_f64 v[4:5], v[20:21], v[4:5]
	v_add_f64 v[4:5], v[4:5], v[6:7]
	s_waitcnt lgkmcnt(1)
	v_add_f64 v[4:5], v[4:5], v[8:9]
	v_add_f64 v[4:5], v[4:5], v[10:11]
	;; [unrolled: 3-line block ×3, first 2 shown]
.LBB162_71:
	s_or_b64 exec, exec, s[4:5]
	s_mul_hi_u32 s2, s40, s24
	s_mul_i32 s41, s41, s24
	s_add_i32 s2, s2, s41
	s_mul_i32 s4, s40, s24
	s_mul_i32 s2, s2, s7
	s_mul_hi_u32 s3, s4, s7
	s_add_i32 s3, s3, s2
	s_mul_i32 s2, s4, s7
	s_lshl_b64 s[2:3], s[2:3], 3
	s_add_u32 s4, s26, s2
	s_addc_u32 s5, s27, s3
	s_mul_hi_i32 s3, s40, s6
	s_mul_i32 s2, s40, s6
	s_lshl_b64 s[2:3], s[2:3], 3
	s_add_u32 s17, s4, s2
	s_addc_u32 s21, s5, s3
	s_add_i32 s8, s6, 1
	s_cmp_ge_u32 s8, s7
	v_lshlrev_b32_e32 v140, 3, v26
	s_barrier
	s_cbranch_scc1 .LBB162_128
; %bb.72:
	s_mul_i32 s2, s20, s25
	s_ashr_i32 s3, s2, 31
	s_lshl_b64 s[2:3], s[2:3], 3
	v_mov_b32_e32 v0, s3
	v_subrev_co_u32_e32 v142, vcc, s2, v16
	v_subb_co_u32_e32 v143, vcc, v17, v0, vcc
	v_lshlrev_b32_e32 v141, 2, v77
	v_mov_b32_e32 v0, s29
	v_add_co_u32_e32 v30, vcc, s28, v18
	v_addc_co_u32_e32 v25, vcc, v19, v0, vcc
	v_mad_u64_u32 v[0:1], s[2:3], v141, s22, v[26:27]
	s_lshl_b32 s27, s25, 6
	s_lshl_b32 s2, s22, 4
	s_ashr_i32 s23, s22, 31
	s_lshl_b32 s14, s22, 1
	s_mul_i32 s34, s22, 3
	s_mul_i32 s25, s25, s8
	s_add_i32 s26, s7, -2
	s_ashr_i32 s3, s2, 31
	s_ashr_i32 s15, s14, 31
	;; [unrolled: 1-line block ×3, first 2 shown]
	s_lshl_b64 s[4:5], s[22:23], 3
	s_lshl_b32 s10, s25, 6
	s_lshl_b64 s[24:25], s[22:23], 4
	v_sub_co_u32_e32 v144, vcc, 0, v14
	s_add_u32 s11, s24, s28
	v_subb_co_u32_e32 v145, vcc, 0, v15, vcc
	s_addc_u32 s36, s25, s29
	v_ashrrev_i32_e32 v1, 31, v0
	v_mov_b32_e32 v4, s36
	v_add_co_u32_e32 v32, vcc, s11, v18
	v_lshlrev_b64 v[2:3], 3, v[0:1]
	v_addc_co_u32_e32 v27, vcc, v19, v4, vcc
	v_mad_i64_i32 v[34:35], s[8:9], v12, -8, v[2:3]
	v_mov_b32_e32 v3, s31
	v_add_co_u32_e32 v2, vcc, s30, v0
	v_addc_co_u32_e32 v3, vcc, v3, v1, vcc
	v_lshlrev_b64 v[2:3], 3, v[2:3]
	s_lshl_b64 s[12:13], s[2:3], 5
	v_mad_i64_i32 v[4:5], s[8:9], s22, 24, v[2:3]
	v_add_co_u32_e32 v36, vcc, v18, v4
	s_add_u32 s39, s4, s28
	v_addc_co_u32_e32 v31, vcc, v19, v5, vcc
	s_addc_u32 s40, s5, s29
	s_lshl_b64 s[8:9], s[14:15], 3
	v_mov_b32_e32 v4, s40
	v_add_co_u32_e32 v38, vcc, s39, v18
	s_add_u32 s14, s28, s8
	v_addc_co_u32_e32 v33, vcc, v19, v4, vcc
	s_addc_u32 s15, s29, s9
	v_mov_b32_e32 v4, s15
	v_add_co_u32_e32 v40, vcc, s14, v18
	s_lshl_b64 s[14:15], s[34:35], 3
	s_add_u32 s34, s28, s14
	v_addc_co_u32_e32 v37, vcc, v19, v4, vcc
	s_addc_u32 s35, s29, s15
	v_mov_b32_e32 v4, s35
	v_add_co_u32_e32 v42, vcc, s34, v18
	s_lshl_b64 s[34:35], s[2:3], 3
	s_add_u32 s41, s11, s34
	v_addc_co_u32_e32 v39, vcc, v19, v4, vcc
	s_addc_u32 s42, s36, s35
	v_mov_b32_e32 v4, s42
	v_add_co_u32_e32 v44, vcc, s41, v18
	s_add_u32 s30, s30, s2
	v_addc_co_u32_e32 v41, vcc, v19, v4, vcc
	s_addc_u32 s31, s31, s3
	v_mov_b32_e32 v4, s31
	v_add_co_u32_e32 v0, vcc, s30, v0
	v_addc_co_u32_e32 v1, vcc, v4, v1, vcc
	v_lshlrev_b64 v[0:1], 3, v[0:1]
	v_mad_i64_i32 v[0:1], s[30:31], s22, 24, v[0:1]
	v_add_co_u32_e32 v46, vcc, v18, v0
	s_add_u32 s30, s39, s34
	v_addc_co_u32_e32 v43, vcc, v19, v1, vcc
	s_addc_u32 s31, s40, s35
	v_mov_b32_e32 v0, s31
	v_add_co_u32_e32 v48, vcc, s30, v18
	s_add_u32 s30, s28, s34
	v_addc_co_u32_e32 v45, vcc, v19, v0, vcc
	s_addc_u32 s31, s29, s35
	v_mov_b32_e32 v0, s31
	v_add_co_u32_e32 v50, vcc, s30, v18
	s_add_u32 s34, s30, s8
	v_addc_co_u32_e32 v47, vcc, v19, v0, vcc
	s_addc_u32 s35, s31, s9
	v_add_co_u32_e32 v52, vcc, s34, v18
	s_add_u32 s34, s30, s14
	v_mov_b32_e32 v0, s35
	s_addc_u32 s35, s31, s15
	s_lshl_b64 s[30:31], s[2:3], 4
	s_add_u32 s11, s11, s30
	s_mul_i32 s38, s22, 24
	s_addc_u32 s36, s36, s31
	s_mul_hi_i32 s37, s22, 24
	s_add_u32 s38, s38, s30
	s_addc_u32 s37, s37, s31
	s_add_u32 s28, s30, s28
	s_addc_u32 s29, s31, s29
	;; [unrolled: 2-line block ×3, first 2 shown]
	v_addc_co_u32_e32 v49, vcc, v19, v0, vcc
	v_mov_b32_e32 v0, s37
	s_add_u32 s37, s28, s8
	v_add_co_u32_e32 v6, vcc, s38, v2
	s_addc_u32 s38, s29, s9
	s_add_u32 s39, s28, s14
	s_addc_u32 s40, s29, s15
	s_mul_i32 s41, s22, 0x180
	s_mul_hi_i32 s42, s2, 24
	s_add_u32 s24, s41, s24
	v_addc_co_u32_e32 v7, vcc, v0, v3, vcc
	s_addc_u32 s25, s42, s25
	v_mov_b32_e32 v0, s25
	v_add_co_u32_e32 v8, vcc, s24, v2
	s_add_u32 s22, s22, s2
	v_addc_co_u32_e32 v9, vcc, v0, v3, vcc
	s_addc_u32 s3, s23, s3
	v_mad_u64_u32 v[0:1], s[22:23], s22, 24, v[2:3]
	v_mov_b32_e32 v4, v1
	v_mad_u64_u32 v[4:5], s[22:23], s3, 24, v[4:5]
	v_mov_b32_e32 v1, v4
	v_add_co_u32_e32 v54, vcc, v18, v0
	v_addc_co_u32_e32 v51, vcc, v19, v1, vcc
	v_mad_i64_i32 v[0:1], s[2:3], s2, 24, v[2:3]
	v_mov_b32_e32 v2, s5
	v_add_co_u32_e32 v3, vcc, s4, v0
	v_addc_co_u32_e32 v2, vcc, v1, v2, vcc
	v_mov_b32_e32 v4, s9
	v_add_co_u32_e32 v5, vcc, s8, v0
	v_addc_co_u32_e32 v4, vcc, v1, v4, vcc
	v_mov_b32_e32 v10, s15
	v_add_co_u32_e32 v11, vcc, s14, v0
	v_addc_co_u32_e32 v10, vcc, v1, v10, vcc
	v_add_co_u32_e32 v56, vcc, v18, v0
	v_addc_co_u32_e32 v53, vcc, v19, v1, vcc
	v_mov_b32_e32 v0, s35
	v_add_co_u32_e32 v58, vcc, s34, v18
	v_addc_co_u32_e32 v55, vcc, v19, v0, vcc
	v_mov_b32_e32 v0, s36
	v_add_co_u32_e32 v60, vcc, s11, v18
	v_addc_co_u32_e32 v57, vcc, v19, v0, vcc
	v_add_co_u32_e32 v62, vcc, v18, v6
	v_addc_co_u32_e32 v59, vcc, v19, v7, vcc
	v_mov_b32_e32 v0, s31
	v_add_co_u32_e32 v64, vcc, s30, v18
	v_addc_co_u32_e32 v61, vcc, v19, v0, vcc
	v_mov_b32_e32 v0, s29
	;; [unrolled: 3-line block ×4, first 2 shown]
	v_add_co_u32_e32 v70, vcc, s39, v18
	v_addc_co_u32_e32 v67, vcc, v19, v0, vcc
	v_add_co_u32_e32 v72, vcc, v18, v8
	v_addc_co_u32_e32 v69, vcc, v19, v9, vcc
	v_add_co_u32_e32 v74, vcc, v18, v3
	v_addc_co_u32_e32 v71, vcc, v19, v2, vcc
	v_and_b32_e32 v2, 48, v26
	s_movk_i32 s4, 0x218
	v_and_b32_e32 v1, 15, v26
	v_lshlrev_b32_e32 v3, 3, v2
	v_add_co_u32_e32 v76, vcc, v18, v5
	v_cmp_gt_u32_e64 s[2:3], 64, v79
	v_lshrrev_b32_e32 v0, 4, v79
	v_mad_u32_u24 v79, v1, s4, v3
	v_or_b32_e32 v3, 0x78, v140
	v_addc_co_u32_e32 v73, vcc, v19, v4, vcc
	v_mad_u32_u24 v146, v1, s4, v3
	v_lshlrev_b32_e32 v3, 5, v0
	v_add_co_u32_e32 v78, vcc, v18, v11
	v_mad_u32_u24 v147, v1, s4, v3
	v_mov_b32_e32 v3, 0x2180
	s_movk_i32 s4, 0x860
	v_mul_i32_i24_e32 v0, 0xffffffe8, v0
	v_add_u32_e32 v2, s20, v2
	v_addc_co_u32_e32 v75, vcc, v19, v10, vcc
	v_lshl_add_u32 v148, v77, 5, v3
	v_add3_u32 v80, v2, v1, 64
	v_add_u32_e32 v149, v147, v0
	v_add_u32_e32 v150, 0x2180, v140
	;; [unrolled: 1-line block ×3, first 2 shown]
	v_or_b32_e32 v152, 1, v141
	v_or_b32_e32 v153, 2, v141
	;; [unrolled: 1-line block ×3, first 2 shown]
	v_mad_u32_u24 v155, v77, s4, v140
	v_add_u32_e32 v156, 16, v141
	v_add_u32_e32 v157, 17, v141
	;; [unrolled: 1-line block ×12, first 2 shown]
	s_cmp_eq_u32 s26, s6
	s_cselect_b32 s20, s33, 0
	s_and_saveexec_b64 s[4:5], s[0:1]
	s_cbranch_execz .LBB162_76
.LBB162_73:
	s_cmp_eq_u32 s20, 0
	s_cselect_b64 s[8:9], -1, 0
	v_cmp_gt_i32_e32 vcc, s20, v26
	s_or_b64 s[14:15], s[8:9], vcc
	v_pk_mov_b32 v[0:1], 0, 0
	s_and_saveexec_b64 s[8:9], s[14:15]
	s_cbranch_execz .LBB162_75
; %bb.74:
	s_ashr_i32 s11, s10, 31
	s_lshl_b64 s[14:15], s[10:11], 3
	v_mov_b32_e32 v1, s15
	v_add_co_u32_e32 v0, vcc, s14, v142
	v_addc_co_u32_e32 v1, vcc, v143, v1, vcc
	flat_load_dwordx2 v[0:1], v[0:1]
.LBB162_75:
	s_or_b64 exec, exec, s[8:9]
	s_waitcnt vmcnt(0) lgkmcnt(0)
	ds_write_b64 v150, v[0:1]
.LBB162_76:                             ; =>This Inner Loop Header: Depth=1
	s_or_b64 exec, exec, s[4:5]
	s_cmp_eq_u32 s20, 0
	v_add_co_u32_e32 v0, vcc, v30, v34
	s_cselect_b64 s[14:15], -1, 0
	s_cmp_lg_u32 s20, 0
	v_addc_co_u32_e32 v1, vcc, v25, v35, vcc
	s_cselect_b64 s[8:9], -1, 0
	s_and_b64 vcc, exec, s[8:9]
	s_waitcnt lgkmcnt(0)
	s_barrier
	s_cbranch_vccz .LBB162_124
; %bb.77:                               ;   in Loop: Header=BB162_76 Depth=1
	v_pk_mov_b32 v[84:85], 0, 0
	v_cmp_gt_i32_e32 vcc, s20, v141
	v_pk_mov_b32 v[82:83], v[84:85], v[84:85] op_sel:[0,1]
	s_and_saveexec_b64 s[4:5], vcc
	s_cbranch_execz .LBB162_79
; %bb.78:                               ;   in Loop: Header=BB162_76 Depth=1
	flat_load_dwordx2 v[82:83], v[0:1]
.LBB162_79:                             ;   in Loop: Header=BB162_76 Depth=1
	s_or_b64 exec, exec, s[4:5]
	v_cmp_gt_i32_e32 vcc, s20, v152
	s_and_saveexec_b64 s[4:5], vcc
	s_cbranch_execz .LBB162_81
; %bb.80:                               ;   in Loop: Header=BB162_76 Depth=1
	v_add_co_u32_e32 v2, vcc, v38, v34
	v_addc_co_u32_e32 v3, vcc, v33, v35, vcc
	flat_load_dwordx2 v[84:85], v[2:3]
.LBB162_81:                             ;   in Loop: Header=BB162_76 Depth=1
	s_or_b64 exec, exec, s[4:5]
	v_pk_mov_b32 v[88:89], 0, 0
	v_cmp_gt_i32_e32 vcc, s20, v153
	v_pk_mov_b32 v[86:87], v[88:89], v[88:89] op_sel:[0,1]
	s_and_saveexec_b64 s[4:5], vcc
	s_cbranch_execz .LBB162_83
; %bb.82:                               ;   in Loop: Header=BB162_76 Depth=1
	v_add_co_u32_e32 v2, vcc, v40, v34
	v_addc_co_u32_e32 v3, vcc, v37, v35, vcc
	flat_load_dwordx2 v[86:87], v[2:3]
.LBB162_83:                             ;   in Loop: Header=BB162_76 Depth=1
	s_or_b64 exec, exec, s[4:5]
	v_cmp_gt_i32_e32 vcc, s20, v154
	s_and_saveexec_b64 s[4:5], vcc
	s_cbranch_execz .LBB162_85
; %bb.84:                               ;   in Loop: Header=BB162_76 Depth=1
	v_add_co_u32_e32 v2, vcc, v42, v34
	v_addc_co_u32_e32 v3, vcc, v39, v35, vcc
	flat_load_dwordx2 v[88:89], v[2:3]
.LBB162_85:                             ;   in Loop: Header=BB162_76 Depth=1
	s_or_b64 exec, exec, s[4:5]
	s_branch .LBB162_87
.LBB162_86:                             ;   in Loop: Header=BB162_76 Depth=1
	s_waitcnt vmcnt(0) lgkmcnt(0)
	flat_load_dwordx2 v[82:83], v[0:1]
	v_add_co_u32_e32 v0, vcc, v38, v34
	v_addc_co_u32_e32 v1, vcc, v33, v35, vcc
	flat_load_dwordx2 v[84:85], v[0:1]
	v_add_co_u32_e32 v0, vcc, v32, v34
	v_addc_co_u32_e32 v1, vcc, v27, v35, vcc
	;; [unrolled: 3-line block ×3, first 2 shown]
	flat_load_dwordx2 v[88:89], v[0:1]
.LBB162_87:                             ;   in Loop: Header=BB162_76 Depth=1
	ds_read_b64 v[0:1], v151
	ds_read_b64 v[90:91], v148
	v_cndmask_b32_e64 v8, 0, 1, s[8:9]
	v_cmp_ne_u32_e64 s[4:5], 1, v8
	s_andn2_b64 vcc, exec, s[8:9]
	s_waitcnt vmcnt(0) lgkmcnt(0)
	v_mul_f64 v[2:3], v[82:83], v[0:1]
	v_mul_f64 v[4:5], v[84:85], v[0:1]
	ds_write_b64 v155, v[2:3]
	v_mul_f64 v[6:7], v[86:87], v[0:1]
	ds_read_b64 v[92:93], v148 offset:8
	ds_write_b64 v155, v[4:5] offset:536
	ds_read_b64 v[94:95], v148 offset:16
	ds_write_b64 v155, v[6:7] offset:1072
	v_mul_f64 v[0:1], v[88:89], v[0:1]
	ds_read_b64 v[96:97], v148 offset:24
	ds_write_b64 v155, v[0:1] offset:1608
	s_waitcnt lgkmcnt(0)
	s_barrier
	ds_read2_b64 v[4:7], v147 offset1:1
	ds_read2_b64 v[0:3], v147 offset0:2 offset1:3
	v_add_co_u32_e64 v8, s[8:9], v50, v34
	v_addc_co_u32_e64 v9, s[8:9], v47, v35, s[8:9]
	s_waitcnt lgkmcnt(0)
	s_barrier
	s_cbranch_vccnz .LBB162_125
; %bb.88:                               ;   in Loop: Header=BB162_76 Depth=1
	v_pk_mov_b32 v[100:101], 0, 0
	v_cmp_gt_i32_e32 vcc, s20, v156
	v_pk_mov_b32 v[98:99], v[100:101], v[100:101] op_sel:[0,1]
	s_and_saveexec_b64 s[8:9], vcc
	s_cbranch_execz .LBB162_90
; %bb.89:                               ;   in Loop: Header=BB162_76 Depth=1
	flat_load_dwordx2 v[98:99], v[8:9]
.LBB162_90:                             ;   in Loop: Header=BB162_76 Depth=1
	s_or_b64 exec, exec, s[8:9]
	v_cmp_gt_i32_e32 vcc, s20, v157
	s_and_saveexec_b64 s[8:9], vcc
	s_cbranch_execz .LBB162_92
; %bb.91:                               ;   in Loop: Header=BB162_76 Depth=1
	v_add_co_u32_e32 v10, vcc, v48, v34
	v_addc_co_u32_e32 v11, vcc, v45, v35, vcc
	flat_load_dwordx2 v[100:101], v[10:11]
.LBB162_92:                             ;   in Loop: Header=BB162_76 Depth=1
	s_or_b64 exec, exec, s[8:9]
	v_pk_mov_b32 v[104:105], 0, 0
	v_cmp_gt_i32_e32 vcc, s20, v158
	v_pk_mov_b32 v[102:103], v[104:105], v[104:105] op_sel:[0,1]
	s_and_saveexec_b64 s[8:9], vcc
	s_cbranch_execz .LBB162_94
; %bb.93:                               ;   in Loop: Header=BB162_76 Depth=1
	v_add_co_u32_e32 v10, vcc, v52, v34
	v_addc_co_u32_e32 v11, vcc, v49, v35, vcc
	flat_load_dwordx2 v[102:103], v[10:11]
.LBB162_94:                             ;   in Loop: Header=BB162_76 Depth=1
	s_or_b64 exec, exec, s[8:9]
	v_cmp_gt_i32_e32 vcc, s20, v159
	s_and_saveexec_b64 s[8:9], vcc
	s_cbranch_execz .LBB162_96
; %bb.95:                               ;   in Loop: Header=BB162_76 Depth=1
	v_add_co_u32_e32 v10, vcc, v58, v34
	v_addc_co_u32_e32 v11, vcc, v55, v35, vcc
	flat_load_dwordx2 v[104:105], v[10:11]
.LBB162_96:                             ;   in Loop: Header=BB162_76 Depth=1
	s_or_b64 exec, exec, s[8:9]
	s_branch .LBB162_98
.LBB162_97:                             ;   in Loop: Header=BB162_76 Depth=1
	s_waitcnt vmcnt(0) lgkmcnt(0)
	flat_load_dwordx2 v[98:99], v[8:9]
	v_add_co_u32_e32 v8, vcc, v48, v34
	v_addc_co_u32_e32 v9, vcc, v45, v35, vcc
	flat_load_dwordx2 v[100:101], v[8:9]
	v_add_co_u32_e32 v8, vcc, v44, v34
	v_addc_co_u32_e32 v9, vcc, v41, v35, vcc
	;; [unrolled: 3-line block ×3, first 2 shown]
	flat_load_dwordx2 v[104:105], v[8:9]
.LBB162_98:                             ;   in Loop: Header=BB162_76 Depth=1
	ds_read_b64 v[8:9], v151
	ds_read_b64 v[106:107], v148 offset:128
	v_add_co_u32_e64 v16, s[8:9], v66, v34
	s_and_b64 vcc, exec, s[4:5]
	s_waitcnt vmcnt(0) lgkmcnt(0)
	v_mul_f64 v[10:11], v[98:99], v[8:9]
	v_mul_f64 v[12:13], v[100:101], v[8:9]
	ds_write_b64 v155, v[10:11]
	v_mul_f64 v[14:15], v[102:103], v[8:9]
	ds_read_b64 v[108:109], v148 offset:136
	ds_write_b64 v155, v[12:13] offset:536
	ds_read_b64 v[110:111], v148 offset:144
	ds_write_b64 v155, v[14:15] offset:1072
	v_mul_f64 v[8:9], v[104:105], v[8:9]
	ds_read_b64 v[112:113], v148 offset:152
	ds_write_b64 v155, v[8:9] offset:1608
	s_waitcnt lgkmcnt(0)
	s_barrier
	ds_read2_b64 v[12:15], v147 offset1:1
	ds_read2_b64 v[8:11], v147 offset0:2 offset1:3
	v_addc_co_u32_e64 v17, s[8:9], v63, v35, s[8:9]
	s_waitcnt lgkmcnt(0)
	s_barrier
	s_cbranch_vccnz .LBB162_126
; %bb.99:                               ;   in Loop: Header=BB162_76 Depth=1
	v_pk_mov_b32 v[116:117], 0, 0
	v_cmp_gt_i32_e32 vcc, s20, v160
	v_pk_mov_b32 v[114:115], v[116:117], v[116:117] op_sel:[0,1]
	s_and_saveexec_b64 s[8:9], vcc
	s_cbranch_execz .LBB162_101
; %bb.100:                              ;   in Loop: Header=BB162_76 Depth=1
	flat_load_dwordx2 v[114:115], v[16:17]
.LBB162_101:                            ;   in Loop: Header=BB162_76 Depth=1
	s_or_b64 exec, exec, s[8:9]
	v_cmp_gt_i32_e32 vcc, s20, v161
	s_and_saveexec_b64 s[8:9], vcc
	s_cbranch_execz .LBB162_103
; %bb.102:                              ;   in Loop: Header=BB162_76 Depth=1
	v_add_co_u32_e32 v18, vcc, v64, v34
	v_addc_co_u32_e32 v19, vcc, v61, v35, vcc
	flat_load_dwordx2 v[116:117], v[18:19]
.LBB162_103:                            ;   in Loop: Header=BB162_76 Depth=1
	s_or_b64 exec, exec, s[8:9]
	v_pk_mov_b32 v[120:121], 0, 0
	v_cmp_gt_i32_e32 vcc, s20, v162
	v_pk_mov_b32 v[118:119], v[120:121], v[120:121] op_sel:[0,1]
	s_and_saveexec_b64 s[8:9], vcc
	s_cbranch_execz .LBB162_105
; %bb.104:                              ;   in Loop: Header=BB162_76 Depth=1
	v_add_co_u32_e32 v18, vcc, v68, v34
	v_addc_co_u32_e32 v19, vcc, v65, v35, vcc
	flat_load_dwordx2 v[118:119], v[18:19]
.LBB162_105:                            ;   in Loop: Header=BB162_76 Depth=1
	s_or_b64 exec, exec, s[8:9]
	v_cmp_gt_i32_e32 vcc, s20, v163
	s_and_saveexec_b64 s[8:9], vcc
	s_cbranch_execz .LBB162_107
; %bb.106:                              ;   in Loop: Header=BB162_76 Depth=1
	v_add_co_u32_e32 v18, vcc, v70, v34
	v_addc_co_u32_e32 v19, vcc, v67, v35, vcc
	flat_load_dwordx2 v[120:121], v[18:19]
.LBB162_107:                            ;   in Loop: Header=BB162_76 Depth=1
	s_or_b64 exec, exec, s[8:9]
	s_branch .LBB162_109
.LBB162_108:                            ;   in Loop: Header=BB162_76 Depth=1
	s_waitcnt vmcnt(0) lgkmcnt(0)
	flat_load_dwordx2 v[114:115], v[16:17]
	v_add_co_u32_e32 v16, vcc, v64, v34
	v_addc_co_u32_e32 v17, vcc, v61, v35, vcc
	flat_load_dwordx2 v[116:117], v[16:17]
	v_add_co_u32_e32 v16, vcc, v60, v34
	v_addc_co_u32_e32 v17, vcc, v57, v35, vcc
	flat_load_dwordx2 v[118:119], v[16:17]
	v_add_co_u32_e32 v16, vcc, v62, v144
	v_addc_co_u32_e32 v17, vcc, v59, v145, vcc
	flat_load_dwordx2 v[120:121], v[16:17]
.LBB162_109:                            ;   in Loop: Header=BB162_76 Depth=1
	ds_read_b64 v[16:17], v151
	ds_read_b64 v[122:123], v148 offset:256
	s_and_b64 vcc, exec, s[4:5]
	v_add_co_u32_e64 v138, s[4:5], v56, v144
	s_waitcnt vmcnt(0) lgkmcnt(0)
	v_mul_f64 v[18:19], v[114:115], v[16:17]
	v_mul_f64 v[20:21], v[116:117], v[16:17]
	ds_write_b64 v155, v[18:19]
	v_mul_f64 v[22:23], v[118:119], v[16:17]
	ds_read_b64 v[124:125], v148 offset:264
	ds_write_b64 v155, v[20:21] offset:536
	ds_read_b64 v[126:127], v148 offset:272
	ds_write_b64 v155, v[22:23] offset:1072
	v_mul_f64 v[16:17], v[120:121], v[16:17]
	ds_read_b64 v[128:129], v148 offset:280
	ds_write_b64 v155, v[16:17] offset:1608
	s_waitcnt lgkmcnt(0)
	s_barrier
	ds_read2_b64 v[20:23], v147 offset1:1
	ds_read2_b64 v[16:19], v147 offset0:2 offset1:3
	v_addc_co_u32_e64 v139, s[4:5], v53, v145, s[4:5]
	s_waitcnt lgkmcnt(0)
	s_barrier
	s_cbranch_vccnz .LBB162_127
; %bb.110:                              ;   in Loop: Header=BB162_76 Depth=1
	v_pk_mov_b32 v[132:133], 0, 0
	v_cmp_gt_i32_e32 vcc, s20, v164
	v_pk_mov_b32 v[130:131], v[132:133], v[132:133] op_sel:[0,1]
	s_and_saveexec_b64 s[4:5], vcc
	s_cbranch_execz .LBB162_112
; %bb.111:                              ;   in Loop: Header=BB162_76 Depth=1
	flat_load_dwordx2 v[130:131], v[138:139]
.LBB162_112:                            ;   in Loop: Header=BB162_76 Depth=1
	s_or_b64 exec, exec, s[4:5]
	v_cmp_gt_i32_e32 vcc, s20, v165
	s_and_saveexec_b64 s[4:5], vcc
	s_cbranch_execz .LBB162_114
; %bb.113:                              ;   in Loop: Header=BB162_76 Depth=1
	v_add_co_u32_e32 v132, vcc, v74, v144
	v_addc_co_u32_e32 v133, vcc, v71, v145, vcc
	flat_load_dwordx2 v[132:133], v[132:133]
.LBB162_114:                            ;   in Loop: Header=BB162_76 Depth=1
	s_or_b64 exec, exec, s[4:5]
	v_pk_mov_b32 v[136:137], 0, 0
	v_cmp_gt_i32_e32 vcc, s20, v166
	v_pk_mov_b32 v[134:135], v[136:137], v[136:137] op_sel:[0,1]
	s_and_saveexec_b64 s[4:5], vcc
	s_cbranch_execz .LBB162_116
; %bb.115:                              ;   in Loop: Header=BB162_76 Depth=1
	v_add_co_u32_e32 v134, vcc, v76, v144
	v_addc_co_u32_e32 v135, vcc, v73, v145, vcc
	flat_load_dwordx2 v[134:135], v[134:135]
.LBB162_116:                            ;   in Loop: Header=BB162_76 Depth=1
	s_or_b64 exec, exec, s[4:5]
	v_cmp_gt_i32_e32 vcc, s20, v167
	s_and_saveexec_b64 s[4:5], vcc
	s_cbranch_execz .LBB162_118
; %bb.117:                              ;   in Loop: Header=BB162_76 Depth=1
	v_add_co_u32_e32 v136, vcc, v78, v144
	v_addc_co_u32_e32 v137, vcc, v75, v145, vcc
	flat_load_dwordx2 v[136:137], v[136:137]
.LBB162_118:                            ;   in Loop: Header=BB162_76 Depth=1
	s_or_b64 exec, exec, s[4:5]
	s_branch .LBB162_120
.LBB162_119:                            ;   in Loop: Header=BB162_76 Depth=1
	s_waitcnt vmcnt(0) lgkmcnt(0)
	v_add_co_u32_e32 v132, vcc, v74, v144
	v_addc_co_u32_e32 v133, vcc, v71, v145, vcc
	v_add_co_u32_e32 v134, vcc, v72, v144
	v_addc_co_u32_e32 v135, vcc, v69, v145, vcc
	;; [unrolled: 2-line block ×3, first 2 shown]
	flat_load_dwordx2 v[130:131], v[138:139]
	s_nop 0
	flat_load_dwordx2 v[132:133], v[132:133]
	s_nop 0
	;; [unrolled: 2-line block ×3, first 2 shown]
	flat_load_dwordx2 v[136:137], v[136:137]
.LBB162_120:                            ;   in Loop: Header=BB162_76 Depth=1
	v_add_f64 v[12:13], v[12:13], 0
	v_add_f64 v[12:13], v[12:13], v[14:15]
	ds_read_b64 v[14:15], v151
	v_add_f64 v[20:21], v[20:21], 0
	v_add_f64 v[20:21], v[20:21], v[22:23]
	;; [unrolled: 1-line block ×7, first 2 shown]
	ds_read_b64 v[4:5], v148 offset:384
	s_waitcnt vmcnt(0) lgkmcnt(0)
	v_mul_f64 v[8:9], v[130:131], v[14:15]
	ds_write_b64 v155, v[8:9]
	v_mul_f64 v[10:11], v[132:133], v[14:15]
	ds_read_b64 v[8:9], v148 offset:392
	ds_write_b64 v155, v[10:11] offset:536
	v_mul_f64 v[12:13], v[134:135], v[14:15]
	ds_read_b64 v[10:11], v148 offset:400
	ds_write_b64 v155, v[12:13] offset:1072
	;; [unrolled: 3-line block ×3, first 2 shown]
	s_waitcnt lgkmcnt(0)
	s_barrier
	ds_read2_b64 v[14:17], v147 offset1:1
	v_add_f64 v[6:7], v[18:19], v[6:7]
	ds_read2_b64 v[18:21], v147 offset0:2 offset1:3
	v_add_f64 v[0:1], v[6:7], v[0:1]
	v_add_f64 v[0:1], v[0:1], v[2:3]
	s_waitcnt lgkmcnt(1)
	v_add_f64 v[2:3], v[14:15], 0
	v_cmp_gt_i32_e32 vcc, s20, v26
	v_add_f64 v[2:3], v[2:3], v[16:17]
	s_or_b64 s[4:5], s[14:15], vcc
	s_waitcnt lgkmcnt(0)
	v_add_f64 v[2:3], v[2:3], v[18:19]
	s_and_b64 s[8:9], s[2:3], s[4:5]
	v_add_f64 v[2:3], v[2:3], v[20:21]
	s_barrier
	ds_write2_b64 v149, v[0:1], v[138:139] offset1:16
	ds_write2_b64 v149, v[22:23], v[2:3] offset0:32 offset1:48
	s_waitcnt lgkmcnt(0)
	s_barrier
	s_and_saveexec_b64 s[4:5], s[8:9]
	s_cbranch_execz .LBB162_122
; %bb.121:                              ;   in Loop: Header=BB162_76 Depth=1
	ds_read2_b64 v[0:3], v79 offset1:1
	ds_read2_b64 v[14:17], v79 offset0:2 offset1:3
	ds_read2_b64 v[18:21], v79 offset0:4 offset1:5
	;; [unrolled: 1-line block ×3, first 2 shown]
	v_ashrrev_i32_e32 v81, 31, v80
	s_waitcnt lgkmcnt(3)
	v_add_f64 v[0:1], v[0:1], v[2:3]
	s_waitcnt lgkmcnt(2)
	v_add_f64 v[0:1], v[0:1], v[14:15]
	v_add_f64 v[0:1], v[0:1], v[16:17]
	s_waitcnt lgkmcnt(1)
	v_add_f64 v[6:7], v[0:1], v[18:19]
	ds_read2_b64 v[0:3], v79 offset0:8 offset1:9
	ds_read2_b64 v[14:17], v79 offset0:10 offset1:11
	v_add_f64 v[6:7], v[6:7], v[20:21]
	s_waitcnt lgkmcnt(2)
	v_add_f64 v[6:7], v[6:7], v[168:169]
	v_add_f64 v[6:7], v[6:7], v[170:171]
	s_waitcnt lgkmcnt(1)
	v_add_f64 v[0:1], v[6:7], v[0:1]
	v_add_f64 v[6:7], v[0:1], v[2:3]
	ds_read2_b64 v[0:3], v79 offset0:12 offset1:13
	s_waitcnt lgkmcnt(1)
	v_add_f64 v[6:7], v[6:7], v[14:15]
	ds_read_b64 v[14:15], v79 offset:112
	ds_read_b64 v[18:19], v146
	v_add_f64 v[6:7], v[6:7], v[16:17]
	s_waitcnt lgkmcnt(2)
	v_add_f64 v[0:1], v[6:7], v[0:1]
	v_add_f64 v[0:1], v[0:1], v[2:3]
	v_lshlrev_b64 v[2:3], 3, v[80:81]
	s_waitcnt lgkmcnt(1)
	v_add_f64 v[0:1], v[0:1], v[14:15]
	v_mov_b32_e32 v6, s21
	v_add_co_u32_e32 v2, vcc, s17, v2
	s_waitcnt lgkmcnt(0)
	v_add_f64 v[0:1], v[0:1], v[18:19]
	v_addc_co_u32_e32 v3, vcc, v6, v3, vcc
	global_store_dwordx2 v[2:3], v[0:1], off
.LBB162_122:                            ;   in Loop: Header=BB162_76 Depth=1
	s_or_b64 exec, exec, s[4:5]
	v_mov_b32_e32 v0, s13
	v_add_co_u32_e32 v32, vcc, s12, v32
	v_addc_co_u32_e32 v27, vcc, v27, v0, vcc
	v_add_co_u32_e32 v36, vcc, s12, v36
	v_addc_co_u32_e32 v31, vcc, v31, v0, vcc
	;; [unrolled: 2-line block ×16, first 2 shown]
	v_fmac_f64_e32 v[28:29], v[82:83], v[90:91]
	v_add_co_u32_e32 v68, vcc, s12, v68
	v_fmac_f64_e32 v[28:29], v[84:85], v[92:93]
	v_addc_co_u32_e32 v65, vcc, v65, v0, vcc
	v_fmac_f64_e32 v[28:29], v[86:87], v[94:95]
	v_add_co_u32_e32 v70, vcc, s12, v70
	v_fmac_f64_e32 v[28:29], v[88:89], v[96:97]
	v_addc_co_u32_e32 v67, vcc, v67, v0, vcc
	;; [unrolled: 4-line block ×7, first 2 shown]
	v_fmac_f64_e32 v[28:29], v[134:135], v[10:11]
	s_add_i32 s4, s6, 1
	s_add_i32 s10, s10, s27
	s_add_i32 s5, s6, 2
	v_add_co_u32_e32 v78, vcc, s12, v78
	v_fmac_f64_e32 v[28:29], v[136:137], v[12:13]
	v_add_u32_e32 v80, 64, v80
	s_cmp_ge_u32 s5, s7
	v_addc_co_u32_e32 v75, vcc, v75, v0, vcc
	s_barrier
	s_cbranch_scc1 .LBB162_128
; %bb.123:                              ;   in Loop: Header=BB162_76 Depth=1
	s_mov_b32 s6, s4
	s_cmp_eq_u32 s26, s6
	s_cselect_b32 s20, s33, 0
	s_and_saveexec_b64 s[4:5], s[0:1]
	s_cbranch_execnz .LBB162_73
	s_branch .LBB162_76
.LBB162_124:                            ;   in Loop: Header=BB162_76 Depth=1
                                        ; implicit-def: $vgpr88_vgpr89
                                        ; implicit-def: $vgpr86_vgpr87
                                        ; implicit-def: $vgpr84_vgpr85
                                        ; implicit-def: $vgpr82_vgpr83
	s_cbranch_execnz .LBB162_86
	s_branch .LBB162_87
.LBB162_125:                            ;   in Loop: Header=BB162_76 Depth=1
                                        ; implicit-def: $vgpr104_vgpr105
                                        ; implicit-def: $vgpr102_vgpr103
                                        ; implicit-def: $vgpr100_vgpr101
                                        ; implicit-def: $vgpr98_vgpr99
	s_cbranch_execnz .LBB162_97
	s_branch .LBB162_98
.LBB162_126:                            ;   in Loop: Header=BB162_76 Depth=1
                                        ; implicit-def: $vgpr120_vgpr121
                                        ; implicit-def: $vgpr118_vgpr119
                                        ; implicit-def: $vgpr116_vgpr117
                                        ; implicit-def: $vgpr114_vgpr115
	s_cbranch_execnz .LBB162_108
	s_branch .LBB162_109
.LBB162_127:                            ;   in Loop: Header=BB162_76 Depth=1
                                        ; implicit-def: $vgpr136_vgpr137
                                        ; implicit-def: $vgpr134_vgpr135
                                        ; implicit-def: $vgpr132_vgpr133
                                        ; implicit-def: $vgpr130_vgpr131
	s_cbranch_execnz .LBB162_119
	s_branch .LBB162_120
.LBB162_128:
	s_movk_i32 s2, 0x218
	v_cmp_gt_i32_e32 vcc, s16, v26
	v_mad_u32_u24 v0, v77, s2, v140
	s_or_b64 s[2:3], s[18:19], vcc
	s_and_b64 s[0:1], s[0:1], s[2:3]
	ds_write_b64 v0, v[28:29]
	s_waitcnt lgkmcnt(0)
	s_barrier
	s_and_saveexec_b64 s[2:3], s[0:1]
	s_cbranch_execz .LBB162_130
; %bb.129:
	ds_read2_b64 v[0:3], v140 offset1:67
	ds_read2_b64 v[4:7], v140 offset0:134 offset1:201
	v_ashrrev_i32_e32 v25, 31, v24
	v_lshlrev_b64 v[8:9], 3, v[24:25]
	v_mov_b32_e32 v10, s21
	s_waitcnt lgkmcnt(1)
	v_add_f64 v[0:1], v[0:1], v[2:3]
	s_waitcnt lgkmcnt(0)
	v_add_f64 v[0:1], v[0:1], v[4:5]
	v_add_co_u32_e32 v2, vcc, s17, v8
	v_add_f64 v[0:1], v[0:1], v[6:7]
	v_addc_co_u32_e32 v3, vcc, v10, v9, vcc
	global_store_dwordx2 v[2:3], v[0:1], off
.LBB162_130:
	s_endpgm
	.section	.rodata,"a",@progbits
	.p2align	6, 0x0
	.amdhsa_kernel _ZL26rocblas_hemvn_kernel_upperILb0ELi64ELi4ELi33ELi32ELi16EiPKdPKS1_PdEviT6_lT7_lT5_lS6_lS7_lS5_lT8_i
		.amdhsa_group_segment_fixed_size 9600
		.amdhsa_private_segment_fixed_size 0
		.amdhsa_kernarg_size 376
		.amdhsa_user_sgpr_count 6
		.amdhsa_user_sgpr_private_segment_buffer 1
		.amdhsa_user_sgpr_dispatch_ptr 0
		.amdhsa_user_sgpr_queue_ptr 0
		.amdhsa_user_sgpr_kernarg_segment_ptr 1
		.amdhsa_user_sgpr_dispatch_id 0
		.amdhsa_user_sgpr_flat_scratch_init 0
		.amdhsa_user_sgpr_kernarg_preload_length 0
		.amdhsa_user_sgpr_kernarg_preload_offset 0
		.amdhsa_user_sgpr_private_segment_size 0
		.amdhsa_uses_dynamic_stack 0
		.amdhsa_system_sgpr_private_segment_wavefront_offset 0
		.amdhsa_system_sgpr_workgroup_id_x 1
		.amdhsa_system_sgpr_workgroup_id_y 0
		.amdhsa_system_sgpr_workgroup_id_z 1
		.amdhsa_system_sgpr_workgroup_info 0
		.amdhsa_system_vgpr_workitem_id 1
		.amdhsa_next_free_vgpr 172
		.amdhsa_next_free_sgpr 44
		.amdhsa_accum_offset 172
		.amdhsa_reserve_vcc 1
		.amdhsa_reserve_flat_scratch 0
		.amdhsa_float_round_mode_32 0
		.amdhsa_float_round_mode_16_64 0
		.amdhsa_float_denorm_mode_32 3
		.amdhsa_float_denorm_mode_16_64 3
		.amdhsa_dx10_clamp 1
		.amdhsa_ieee_mode 1
		.amdhsa_fp16_overflow 0
		.amdhsa_tg_split 0
		.amdhsa_exception_fp_ieee_invalid_op 0
		.amdhsa_exception_fp_denorm_src 0
		.amdhsa_exception_fp_ieee_div_zero 0
		.amdhsa_exception_fp_ieee_overflow 0
		.amdhsa_exception_fp_ieee_underflow 0
		.amdhsa_exception_fp_ieee_inexact 0
		.amdhsa_exception_int_div_zero 0
	.end_amdhsa_kernel
	.section	.text._ZL26rocblas_hemvn_kernel_upperILb0ELi64ELi4ELi33ELi32ELi16EiPKdPKS1_PdEviT6_lT7_lT5_lS6_lS7_lS5_lT8_i,"axG",@progbits,_ZL26rocblas_hemvn_kernel_upperILb0ELi64ELi4ELi33ELi32ELi16EiPKdPKS1_PdEviT6_lT7_lT5_lS6_lS7_lS5_lT8_i,comdat
.Lfunc_end162:
	.size	_ZL26rocblas_hemvn_kernel_upperILb0ELi64ELi4ELi33ELi32ELi16EiPKdPKS1_PdEviT6_lT7_lT5_lS6_lS7_lS5_lT8_i, .Lfunc_end162-_ZL26rocblas_hemvn_kernel_upperILb0ELi64ELi4ELi33ELi32ELi16EiPKdPKS1_PdEviT6_lT7_lT5_lS6_lS7_lS5_lT8_i
                                        ; -- End function
	.section	.AMDGPU.csdata,"",@progbits
; Kernel info:
; codeLenInByte = 7400
; NumSgprs: 48
; NumVgprs: 172
; NumAgprs: 0
; TotalNumVgprs: 172
; ScratchSize: 0
; MemoryBound: 0
; FloatMode: 240
; IeeeMode: 1
; LDSByteSize: 9600 bytes/workgroup (compile time only)
; SGPRBlocks: 5
; VGPRBlocks: 21
; NumSGPRsForWavesPerEU: 48
; NumVGPRsForWavesPerEU: 172
; AccumOffset: 172
; Occupancy: 2
; WaveLimiterHint : 1
; COMPUTE_PGM_RSRC2:SCRATCH_EN: 0
; COMPUTE_PGM_RSRC2:USER_SGPR: 6
; COMPUTE_PGM_RSRC2:TRAP_HANDLER: 0
; COMPUTE_PGM_RSRC2:TGID_X_EN: 1
; COMPUTE_PGM_RSRC2:TGID_Y_EN: 0
; COMPUTE_PGM_RSRC2:TGID_Z_EN: 1
; COMPUTE_PGM_RSRC2:TIDIG_COMP_CNT: 1
; COMPUTE_PGM_RSRC3_GFX90A:ACCUM_OFFSET: 42
; COMPUTE_PGM_RSRC3_GFX90A:TG_SPLIT: 0
	.section	.text._ZL36rocblas_hemvn_kernel_upper_block_sumILi64EiPKdPKPddEviT1_lS5_lT2_lT0_lPT3_i,"axG",@progbits,_ZL36rocblas_hemvn_kernel_upper_block_sumILi64EiPKdPKPddEviT1_lS5_lT2_lT0_lPT3_i,comdat
	.globl	_ZL36rocblas_hemvn_kernel_upper_block_sumILi64EiPKdPKPddEviT1_lS5_lT2_lT0_lPT3_i ; -- Begin function _ZL36rocblas_hemvn_kernel_upper_block_sumILi64EiPKdPKPddEviT1_lS5_lT2_lT0_lPT3_i
	.p2align	8
	.type	_ZL36rocblas_hemvn_kernel_upper_block_sumILi64EiPKdPKPddEviT1_lS5_lT2_lT0_lPT3_i,@function
_ZL36rocblas_hemvn_kernel_upper_block_sumILi64EiPKdPKPddEviT1_lS5_lT2_lT0_lPT3_i: ; @_ZL36rocblas_hemvn_kernel_upper_block_sumILi64EiPKdPKPddEviT1_lS5_lT2_lT0_lPT3_i
; %bb.0:
	s_load_dwordx8 s[16:23], s[4:5], 0x8
	s_waitcnt lgkmcnt(0)
	s_mul_i32 s0, s7, s19
	s_mul_hi_u32 s1, s7, s18
	s_add_i32 s1, s1, s0
	s_mul_i32 s0, s7, s18
	s_lshl_b64 s[0:1], s[0:1], 3
	s_add_u32 s0, s16, s0
	s_addc_u32 s1, s17, s1
	s_load_dwordx2 s[2:3], s[0:1], 0x0
	s_mul_i32 s0, s7, s23
	s_mul_hi_u32 s1, s7, s22
	s_add_i32 s1, s1, s0
	s_mul_i32 s0, s7, s22
	s_lshl_b64 s[0:1], s[0:1], 3
	s_add_u32 s0, s20, s0
	s_addc_u32 s1, s21, s1
	s_load_dwordx2 s[8:9], s[0:1], 0x0
	s_waitcnt lgkmcnt(0)
	v_cmp_eq_f64_e64 s[0:1], s[2:3], 0
	v_cmp_eq_f64_e64 s[10:11], s[8:9], 1.0
	s_and_b64 s[0:1], s[0:1], s[10:11]
	s_and_b64 vcc, exec, s[0:1]
	s_cbranch_vccnz .LBB163_19
; %bb.1:
	s_load_dwordx4 s[16:19], s[4:5], 0x28
	s_mov_b32 s12, s7
	s_mov_b32 s13, 0
	s_lshl_b64 s[0:1], s[12:13], 3
	s_load_dword s20, s[4:5], 0x38
	s_load_dword s14, s[4:5], 0x0
	s_waitcnt lgkmcnt(0)
	s_add_u32 s0, s16, s0
	s_addc_u32 s1, s17, s1
	s_load_dwordx2 s[0:1], s[0:1], 0x0
	s_lshl_b64 s[18:19], s[18:19], 3
	v_lshl_or_b32 v0, s6, 6, v0
	v_cmp_neq_f64_e64 s[16:17], s[2:3], 0
	s_mov_b64 s[10:11], 0
	s_waitcnt lgkmcnt(0)
	s_add_u32 s7, s0, s18
	s_addc_u32 s13, s1, s19
	s_and_b64 vcc, exec, s[16:17]
	v_cmp_gt_i32_e64 s[0:1], s14, v0
	s_cbranch_vccnz .LBB163_6
; %bb.2:
	s_mov_b64 s[16:17], 0
                                        ; implicit-def: $vgpr4_vgpr5
                                        ; implicit-def: $vgpr2_vgpr3
	s_and_saveexec_b64 s[18:19], s[0:1]
	s_cbranch_execz .LBB163_7
; %bb.3:
	v_cmp_eq_f64_e64 s[0:1], s[8:9], 0
	v_mul_lo_u32 v2, v0, s20
	v_pk_mov_b32 v[4:5], 0, 0
	v_ashrrev_i32_e32 v3, 31, v2
	s_and_b64 vcc, exec, s[0:1]
	s_cbranch_vccnz .LBB163_5
; %bb.4:
	v_lshlrev_b64 v[4:5], 3, v[2:3]
	v_mov_b32_e32 v1, s13
	v_add_co_u32_e32 v4, vcc, s7, v4
	v_addc_co_u32_e32 v5, vcc, v1, v5, vcc
	global_load_dwordx2 v[4:5], v[4:5], off
	s_waitcnt vmcnt(0)
	v_mul_f64 v[4:5], s[8:9], v[4:5]
.LBB163_5:
	s_mov_b64 s[10:11], exec
	s_or_b64 exec, exec, s[18:19]
	s_and_b64 vcc, exec, s[16:17]
	s_cbranch_vccnz .LBB163_8
	s_branch .LBB163_17
.LBB163_6:
                                        ; implicit-def: $vgpr4_vgpr5
                                        ; implicit-def: $vgpr2_vgpr3
	s_cbranch_execnz .LBB163_8
	s_branch .LBB163_17
.LBB163_7:
	s_or_b64 exec, exec, s[18:19]
	s_and_b64 vcc, exec, s[16:17]
	s_cbranch_vccz .LBB163_17
.LBB163_8:
	v_cmp_gt_i32_e32 vcc, s14, v0
                                        ; implicit-def: $vgpr4_vgpr5
                                        ; implicit-def: $vgpr2_vgpr3
	s_and_saveexec_b64 s[0:1], vcc
	s_cbranch_execz .LBB163_16
; %bb.9:
	s_cmp_lt_i32 s6, 0
	v_pk_mov_b32 v[6:7], 0, 0
	s_cbranch_scc1 .LBB163_12
; %bb.10:
	s_load_dwordx2 s[16:17], s[4:5], 0x48
	s_load_dword s18, s[4:5], 0x58
	s_ashr_i32 s15, s14, 31
	s_mul_hi_u32 s4, s14, s12
	s_mul_i32 s5, s15, s12
	s_add_i32 s4, s4, s5
	s_mul_i32 s12, s14, s12
	s_waitcnt lgkmcnt(0)
	s_mul_i32 s4, s4, s18
	s_mul_hi_u32 s5, s12, s18
	s_add_i32 s5, s5, s4
	s_mul_i32 s4, s12, s18
	s_lshl_b64 s[4:5], s[4:5], 3
	s_add_u32 s4, s16, s4
	v_mov_b32_e32 v1, 0
	s_addc_u32 s5, s17, s5
	v_lshlrev_b64 v[2:3], 3, v[0:1]
	v_mov_b32_e32 v1, s5
	v_add_co_u32_e32 v2, vcc, s4, v2
	s_lshl_b64 s[4:5], s[14:15], 3
	v_addc_co_u32_e32 v3, vcc, v1, v3, vcc
	s_add_i32 s6, s6, 1
	v_pk_mov_b32 v[6:7], 0, 0
	v_mov_b32_e32 v1, s5
.LBB163_11:                             ; =>This Inner Loop Header: Depth=1
	global_load_dwordx2 v[4:5], v[2:3], off
	s_add_i32 s6, s6, -1
	v_add_co_u32_e32 v2, vcc, s4, v2
	v_addc_co_u32_e32 v3, vcc, v3, v1, vcc
	s_cmp_eq_u32 s6, 0
	s_waitcnt vmcnt(0)
	v_add_f64 v[6:7], v[6:7], v[4:5]
	s_cbranch_scc0 .LBB163_11
.LBB163_12:
	v_cmp_eq_f64_e64 s[14:15], s[8:9], 0
	v_mul_lo_u32 v2, v0, s20
	s_mov_b64 s[4:5], 0
	s_and_b64 vcc, exec, s[14:15]
	v_ashrrev_i32_e32 v3, 31, v2
	s_cbranch_vccz .LBB163_20
; %bb.13:
	v_mul_f64 v[4:5], s[2:3], v[6:7]
	s_andn2_b64 vcc, exec, s[4:5]
	s_cbranch_vccnz .LBB163_15
.LBB163_14:
	v_lshlrev_b64 v[0:1], 3, v[2:3]
	v_mov_b32_e32 v4, s13
	v_add_co_u32_e32 v0, vcc, s7, v0
	v_addc_co_u32_e32 v1, vcc, v4, v1, vcc
	global_load_dwordx2 v[0:1], v[0:1], off
	s_waitcnt vmcnt(0)
	v_mul_f64 v[4:5], s[8:9], v[0:1]
	v_fmac_f64_e32 v[4:5], s[2:3], v[6:7]
.LBB163_15:
	s_or_b64 s[10:11], s[10:11], exec
.LBB163_16:
	s_or_b64 exec, exec, s[0:1]
.LBB163_17:
	s_and_saveexec_b64 s[0:1], s[10:11]
	s_cbranch_execz .LBB163_19
; %bb.18:
	v_lshlrev_b64 v[0:1], 3, v[2:3]
	v_mov_b32_e32 v2, s13
	v_add_co_u32_e32 v0, vcc, s7, v0
	v_addc_co_u32_e32 v1, vcc, v2, v1, vcc
	global_store_dwordx2 v[0:1], v[4:5], off
.LBB163_19:
	s_endpgm
.LBB163_20:
                                        ; implicit-def: $vgpr4_vgpr5
	s_branch .LBB163_14
	.section	.rodata,"a",@progbits
	.p2align	6, 0x0
	.amdhsa_kernel _ZL36rocblas_hemvn_kernel_upper_block_sumILi64EiPKdPKPddEviT1_lS5_lT2_lT0_lPT3_i
		.amdhsa_group_segment_fixed_size 0
		.amdhsa_private_segment_fixed_size 0
		.amdhsa_kernarg_size 344
		.amdhsa_user_sgpr_count 6
		.amdhsa_user_sgpr_private_segment_buffer 1
		.amdhsa_user_sgpr_dispatch_ptr 0
		.amdhsa_user_sgpr_queue_ptr 0
		.amdhsa_user_sgpr_kernarg_segment_ptr 1
		.amdhsa_user_sgpr_dispatch_id 0
		.amdhsa_user_sgpr_flat_scratch_init 0
		.amdhsa_user_sgpr_kernarg_preload_length 0
		.amdhsa_user_sgpr_kernarg_preload_offset 0
		.amdhsa_user_sgpr_private_segment_size 0
		.amdhsa_uses_dynamic_stack 0
		.amdhsa_system_sgpr_private_segment_wavefront_offset 0
		.amdhsa_system_sgpr_workgroup_id_x 1
		.amdhsa_system_sgpr_workgroup_id_y 0
		.amdhsa_system_sgpr_workgroup_id_z 1
		.amdhsa_system_sgpr_workgroup_info 0
		.amdhsa_system_vgpr_workitem_id 0
		.amdhsa_next_free_vgpr 8
		.amdhsa_next_free_sgpr 24
		.amdhsa_accum_offset 8
		.amdhsa_reserve_vcc 1
		.amdhsa_reserve_flat_scratch 0
		.amdhsa_float_round_mode_32 0
		.amdhsa_float_round_mode_16_64 0
		.amdhsa_float_denorm_mode_32 3
		.amdhsa_float_denorm_mode_16_64 3
		.amdhsa_dx10_clamp 1
		.amdhsa_ieee_mode 1
		.amdhsa_fp16_overflow 0
		.amdhsa_tg_split 0
		.amdhsa_exception_fp_ieee_invalid_op 0
		.amdhsa_exception_fp_denorm_src 0
		.amdhsa_exception_fp_ieee_div_zero 0
		.amdhsa_exception_fp_ieee_overflow 0
		.amdhsa_exception_fp_ieee_underflow 0
		.amdhsa_exception_fp_ieee_inexact 0
		.amdhsa_exception_int_div_zero 0
	.end_amdhsa_kernel
	.section	.text._ZL36rocblas_hemvn_kernel_upper_block_sumILi64EiPKdPKPddEviT1_lS5_lT2_lT0_lPT3_i,"axG",@progbits,_ZL36rocblas_hemvn_kernel_upper_block_sumILi64EiPKdPKPddEviT1_lS5_lT2_lT0_lPT3_i,comdat
.Lfunc_end163:
	.size	_ZL36rocblas_hemvn_kernel_upper_block_sumILi64EiPKdPKPddEviT1_lS5_lT2_lT0_lPT3_i, .Lfunc_end163-_ZL36rocblas_hemvn_kernel_upper_block_sumILi64EiPKdPKPddEviT1_lS5_lT2_lT0_lPT3_i
                                        ; -- End function
	.section	.AMDGPU.csdata,"",@progbits
; Kernel info:
; codeLenInByte = 676
; NumSgprs: 28
; NumVgprs: 8
; NumAgprs: 0
; TotalNumVgprs: 8
; ScratchSize: 0
; MemoryBound: 0
; FloatMode: 240
; IeeeMode: 1
; LDSByteSize: 0 bytes/workgroup (compile time only)
; SGPRBlocks: 3
; VGPRBlocks: 0
; NumSGPRsForWavesPerEU: 28
; NumVGPRsForWavesPerEU: 8
; AccumOffset: 8
; Occupancy: 8
; WaveLimiterHint : 1
; COMPUTE_PGM_RSRC2:SCRATCH_EN: 0
; COMPUTE_PGM_RSRC2:USER_SGPR: 6
; COMPUTE_PGM_RSRC2:TRAP_HANDLER: 0
; COMPUTE_PGM_RSRC2:TGID_X_EN: 1
; COMPUTE_PGM_RSRC2:TGID_Y_EN: 0
; COMPUTE_PGM_RSRC2:TGID_Z_EN: 1
; COMPUTE_PGM_RSRC2:TIDIG_COMP_CNT: 0
; COMPUTE_PGM_RSRC3_GFX90A:ACCUM_OFFSET: 1
; COMPUTE_PGM_RSRC3_GFX90A:TG_SPLIT: 0
	.section	.text._ZL26rocblas_hemvn_kernel_upperILb0ELi64ELi4ELi33ELi32ELi16EldPKPKdPdEviT6_lT7_lT5_lS6_lS7_lS5_lT8_i,"axG",@progbits,_ZL26rocblas_hemvn_kernel_upperILb0ELi64ELi4ELi33ELi32ELi16EldPKPKdPdEviT6_lT7_lT5_lS6_lS7_lS5_lT8_i,comdat
	.globl	_ZL26rocblas_hemvn_kernel_upperILb0ELi64ELi4ELi33ELi32ELi16EldPKPKdPdEviT6_lT7_lT5_lS6_lS7_lS5_lT8_i ; -- Begin function _ZL26rocblas_hemvn_kernel_upperILb0ELi64ELi4ELi33ELi32ELi16EldPKPKdPdEviT6_lT7_lT5_lS6_lS7_lS5_lT8_i
	.p2align	8
	.type	_ZL26rocblas_hemvn_kernel_upperILb0ELi64ELi4ELi33ELi32ELi16EldPKPKdPdEviT6_lT7_lT5_lS6_lS7_lS5_lT8_i,@function
_ZL26rocblas_hemvn_kernel_upperILb0ELi64ELi4ELi33ELi32ELi16EldPKPKdPdEviT6_lT7_lT5_lS6_lS7_lS5_lT8_i: ; @_ZL26rocblas_hemvn_kernel_upperILb0ELi64ELi4ELi33ELi32ELi16EldPKPKdPdEviT6_lT7_lT5_lS6_lS7_lS5_lT8_i
; %bb.0:
	s_load_dwordx2 s[0:1], s[4:5], 0x84
	s_add_u32 s14, s4, 0x78
	s_addc_u32 s15, s5, 0
	s_waitcnt lgkmcnt(0)
	s_lshr_b32 s2, s0, 16
	s_and_b32 s0, s0, 0xffff
	s_and_b32 s1, s1, 0xffff
	s_mul_i32 s0, s2, s0
	s_mul_i32 s0, s0, s1
	s_cmpk_lg_i32 s0, 0x100
	s_cbranch_scc1 .LBB164_130
; %bb.1:
	s_load_dwordx2 s[8:9], s[4:5], 0x8
	s_load_dwordx2 s[0:1], s[4:5], 0x58
	s_waitcnt lgkmcnt(0)
	v_cmp_eq_f64_e64 s[10:11], s[8:9], 0
	v_cmp_eq_f64_e64 s[0:1], s[0:1], 1.0
	s_and_b64 s[0:1], s[10:11], s[0:1]
	s_and_b64 vcc, exec, s[0:1]
	s_cbranch_vccnz .LBB164_130
; %bb.2:
	s_load_dwordx4 s[0:3], s[4:5], 0x18
	s_load_dwordx2 s[24:25], s[4:5], 0x28
	s_mov_b32 s28, s7
	s_mov_b64 s[16:17], 0
	v_cmp_neq_f64_e64 s[20:21], s[8:9], 0
	s_and_b64 vcc, exec, s[10:11]
	s_mov_b64 s[12:13], 0
	s_cbranch_vccnz .LBB164_4
; %bb.3:
	s_mov_b32 s29, 0
	s_lshl_b64 s[8:9], s[28:29], 3
	s_waitcnt lgkmcnt(0)
	s_add_u32 s0, s0, s8
	s_addc_u32 s1, s1, s9
	s_load_dwordx2 s[0:1], s[0:1], 0x0
	s_lshl_b64 s[2:3], s[2:3], 3
	s_waitcnt lgkmcnt(0)
	s_add_u32 s12, s0, s2
	s_addc_u32 s13, s1, s3
.LBB164_4:
	s_load_dwordx4 s[8:11], s[4:5], 0x38
	s_load_dwordx2 s[18:19], s[4:5], 0x48
	v_cndmask_b32_e64 v1, 0, 1, s[20:21]
	s_waitcnt lgkmcnt(0)
	v_cmp_ne_u32_e64 s[0:1], 1, v1
	s_andn2_b64 vcc, exec, s[20:21]
	s_cbranch_vccnz .LBB164_6
; %bb.5:
	s_mov_b32 s29, 0
	s_lshl_b64 s[2:3], s[28:29], 3
	s_add_u32 s2, s8, s2
	s_addc_u32 s3, s9, s3
	s_load_dwordx2 s[2:3], s[2:3], 0x0
	s_lshl_b64 s[8:9], s[10:11], 3
	s_waitcnt lgkmcnt(0)
	s_add_u32 s16, s2, s8
	s_addc_u32 s17, s3, s9
.LBB164_6:
	s_and_b64 vcc, exec, s[0:1]
	s_cbranch_vccnz .LBB164_130
; %bb.7:
	s_load_dword s7, s[14:15], 0x0
	s_load_dword s33, s[4:5], 0x0
	v_and_b32_e32 v61, 0x3ff, v0
	s_lshl_b32 s26, s6, 6
	v_add_u32_e32 v24, s26, v61
	s_waitcnt lgkmcnt(0)
	s_add_i32 s0, s7, -1
	s_ashr_i32 s38, s33, 31
	s_lshr_b32 s1, s38, 26
	s_add_i32 s1, s33, s1
	s_andn2_b32 s1, s1, 63
	s_sub_i32 s29, s33, s1
	v_ashrrev_i32_e32 v25, 31, v24
	v_bfe_u32 v120, v0, 10, 10
	s_cmp_eq_u32 s6, s0
	v_mul_lo_u32 v2, v25, s18
	v_mul_lo_u32 v3, v24, s19
	v_mad_u64_u32 v[0:1], s[0:1], v24, s18, 0
	v_add3_u32 v1, v1, v3, v2
	v_lshlrev_b64 v[0:1], 3, v[0:1]
	v_mov_b32_e32 v2, s17
	v_add_co_u32_e32 v14, vcc, s16, v0
	s_cselect_b32 s20, s29, 0
	v_addc_co_u32_e32 v15, vcc, v2, v1, vcc
	v_cmp_eq_u32_e64 s[0:1], 0, v120
	s_and_saveexec_b64 s[2:3], s[0:1]
	s_cbranch_execz .LBB164_11
; %bb.8:
	s_cmp_eq_u32 s20, 0
	s_cselect_b64 s[8:9], -1, 0
	v_cmp_gt_i32_e32 vcc, s20, v61
	s_or_b64 s[10:11], s[8:9], vcc
	v_pk_mov_b32 v[0:1], 0, 0
	s_and_saveexec_b64 s[8:9], s[10:11]
	s_cbranch_execz .LBB164_10
; %bb.9:
	flat_load_dwordx2 v[0:1], v[14:15]
.LBB164_10:
	s_or_b64 exec, exec, s[8:9]
	v_lshlrev_b32_e32 v2, 3, v61
	s_waitcnt vmcnt(0) lgkmcnt(0)
	ds_write_b64 v2, v[0:1] offset:9088
.LBB164_11:
	s_or_b64 exec, exec, s[2:3]
	s_ashr_i32 s27, s26, 31
	v_lshl_add_u32 v22, v120, 6, v61
	s_lshl_b64 s[2:3], s[26:27], 3
	v_and_b32_e32 v0, 31, v61
	v_lshrrev_b32_e32 v18, 5, v22
	s_add_u32 s8, s12, s2
	v_mov_b32_e32 v1, 0
	s_addc_u32 s9, s13, s3
	v_mad_u64_u32 v[2:3], s[2:3], v18, s24, v[0:1]
	v_mov_b32_e32 v4, v3
	v_mad_u64_u32 v[4:5], s[2:3], v18, s25, v[4:5]
	s_mul_i32 s2, s26, s25
	s_mul_hi_u32 s3, s26, s24
	s_add_i32 s2, s3, s2
	s_mul_i32 s3, s27, s24
	s_add_i32 s3, s2, s3
	s_mul_i32 s2, s26, s24
	s_lshl_b64 s[2:3], s[2:3], 3
	s_add_u32 s2, s2, s8
	v_mov_b32_e32 v3, v4
	s_addc_u32 s3, s3, s9
	v_lshlrev_b64 v[12:13], 3, v[2:3]
	s_cmp_eq_u32 s20, 0
	v_mov_b32_e32 v1, s3
	v_add_co_u32_e32 v4, vcc, s2, v12
	s_cselect_b64 s[22:23], -1, 0
	s_cmp_lg_u32 s20, 0
	v_addc_co_u32_e32 v5, vcc, v1, v13, vcc
	s_cselect_b64 s[30:31], -1, 0
	s_and_b64 vcc, exec, s[30:31]
	v_cmp_gt_i32_e64 s[2:3], s20, v0
	v_lshlrev_b32_e32 v1, 3, v0
	s_mul_i32 s39, s25, 0xc0
	s_cbranch_vccz .LBB164_21
; %bb.12:
	v_sub_co_u32_e32 v2, vcc, v4, v1
	s_ashr_i32 s21, s20, 31
	v_subbrev_co_u32_e32 v3, vcc, 0, v5, vcc
	s_lshl_b64 s[8:9], s[20:21], 3
	v_mov_b32_e32 v6, s9
	v_add_co_u32_e32 v2, vcc, s8, v2
	v_addc_co_u32_e32 v3, vcc, v3, v6, vcc
	v_add_co_u32_e32 v2, vcc, -8, v2
	v_addc_co_u32_e32 v3, vcc, -1, v3, vcc
	v_pk_mov_b32 v[6:7], 0, 0
	v_cndmask_b32_e64 v3, v3, v5, s[2:3]
	v_cndmask_b32_e64 v2, v2, v4, s[2:3]
	v_cmp_gt_i32_e32 vcc, s20, v18
	v_pk_mov_b32 v[8:9], v[6:7], v[6:7] op_sel:[0,1]
	s_and_saveexec_b64 s[10:11], vcc
	s_cbranch_execz .LBB164_14
; %bb.13:
	flat_load_dwordx2 v[8:9], v[2:3]
.LBB164_14:
	s_or_b64 exec, exec, s[10:11]
	v_mul_u32_u24_e32 v10, 33, v18
	v_add_lshl_u32 v10, v10, v0, 3
	s_waitcnt vmcnt(0) lgkmcnt(0)
	ds_write_b64 v10, v[8:9]
	v_add_u32_e32 v8, 8, v18
	v_cmp_gt_i32_e32 vcc, s20, v8
	s_and_saveexec_b64 s[10:11], vcc
	s_cbranch_execz .LBB164_16
; %bb.15:
	s_lshl_b64 s[12:13], s[24:25], 6
	v_mov_b32_e32 v7, s13
	v_add_co_u32_e32 v6, vcc, s12, v2
	v_addc_co_u32_e32 v7, vcc, v3, v7, vcc
	flat_load_dwordx2 v[6:7], v[6:7]
.LBB164_16:
	s_or_b64 exec, exec, s[10:11]
	s_waitcnt vmcnt(0) lgkmcnt(0)
	ds_write_b64 v10, v[6:7] offset:2112
	v_add_u32_e32 v6, 16, v18
	v_cmp_gt_i32_e32 vcc, s20, v6
	v_pk_mov_b32 v[6:7], 0, 0
	v_pk_mov_b32 v[8:9], v[6:7], v[6:7] op_sel:[0,1]
	s_and_saveexec_b64 s[10:11], vcc
	s_cbranch_execz .LBB164_18
; %bb.17:
	s_lshl_b64 s[12:13], s[24:25], 7
	v_mov_b32_e32 v9, s13
	v_add_co_u32_e32 v8, vcc, s12, v2
	v_addc_co_u32_e32 v9, vcc, v3, v9, vcc
	flat_load_dwordx2 v[8:9], v[8:9]
.LBB164_18:
	s_or_b64 exec, exec, s[10:11]
	s_waitcnt vmcnt(0) lgkmcnt(0)
	ds_write_b64 v10, v[8:9] offset:4224
	v_add_u32_e32 v8, 24, v18
	v_cmp_gt_i32_e32 vcc, s20, v8
	s_and_saveexec_b64 s[10:11], vcc
	s_cbranch_execz .LBB164_20
; %bb.19:
	v_mov_b32_e32 v6, 0xc0
	v_mad_u64_u32 v[6:7], s[12:13], s24, v6, v[2:3]
	v_add_u32_e32 v7, s39, v7
	flat_load_dwordx2 v[6:7], v[6:7]
.LBB164_20:
	s_or_b64 exec, exec, s[10:11]
	v_add_co_u32_e32 v2, vcc, v2, v1
	v_addc_co_u32_e32 v3, vcc, 0, v3, vcc
	s_waitcnt vmcnt(0) lgkmcnt(0)
	ds_write_b64 v10, v[6:7] offset:6336
	v_mov_b32_e32 v6, s9
	v_subrev_co_u32_e32 v2, vcc, s8, v2
	v_subb_co_u32_e32 v3, vcc, v3, v6, vcc
	v_add_co_u32_e32 v2, vcc, 8, v2
	v_addc_co_u32_e32 v3, vcc, 0, v3, vcc
	v_cndmask_b32_e64 v3, v3, v5, s[2:3]
	v_cndmask_b32_e64 v2, v2, v4, s[2:3]
	v_mul_u32_u24_e32 v20, 33, v18
	s_branch .LBB164_23
.LBB164_21:
                                        ; implicit-def: $vgpr2_vgpr3
	v_mul_u32_u24_e32 v20, 33, v18
	s_cbranch_execz .LBB164_23
; %bb.22:
	flat_load_dwordx2 v[2:3], v[4:5]
	s_lshl_b64 s[2:3], s[24:25], 6
	v_add_lshl_u32 v8, v20, v0, 3
	v_mov_b32_e32 v9, s3
	v_add_co_u32_e32 v6, vcc, s2, v4
	v_addc_co_u32_e32 v7, vcc, v5, v9, vcc
	s_waitcnt vmcnt(0) lgkmcnt(0)
	ds_write_b64 v8, v[2:3]
	flat_load_dwordx2 v[2:3], v[6:7]
	v_add_co_u32_e32 v6, vcc, s2, v6
	v_addc_co_u32_e32 v7, vcc, v7, v9, vcc
	s_waitcnt vmcnt(0) lgkmcnt(0)
	ds_write_b64 v8, v[2:3] offset:2112
	flat_load_dwordx2 v[2:3], v[6:7]
	v_mov_b32_e32 v6, 0xc0
	v_mad_u64_u32 v[6:7], s[2:3], s24, v6, v[4:5]
	v_add_u32_e32 v7, s39, v7
	s_waitcnt vmcnt(0) lgkmcnt(0)
	ds_write_b64 v8, v[2:3] offset:4224
	flat_load_dwordx2 v[2:3], v[6:7]
	s_waitcnt vmcnt(0) lgkmcnt(0)
	ds_write_b64 v8, v[2:3] offset:6336
	v_pk_mov_b32 v[2:3], v[4:5], v[4:5] op_sel:[0,1]
.LBB164_23:
	v_lshlrev_b32_e32 v4, 2, v18
	v_mul_u32_u24_e32 v19, 33, v0
	v_cmp_gt_u32_e64 s[16:17], v4, v0
	v_add_lshl_u32 v16, v4, v19, 3
	s_waitcnt lgkmcnt(0)
	s_barrier
	s_and_saveexec_b64 s[2:3], s[16:17]
	s_cbranch_execz .LBB164_25
; %bb.24:
	v_mul_u32_u24_e32 v5, 0x84, v18
	v_add_lshl_u32 v5, v5, v0, 3
	ds_read_b64 v[6:7], v5
	s_waitcnt lgkmcnt(0)
	ds_write_b64 v16, v[6:7]
.LBB164_25:
	s_or_b64 exec, exec, s[2:3]
	v_cmp_ge_u32_e64 s[8:9], v4, v0
	s_and_saveexec_b64 s[2:3], s[8:9]
	s_cbranch_execz .LBB164_27
; %bb.26:
	v_or_b32_e32 v5, 1, v4
	v_mul_u32_u24_e32 v5, 33, v5
	v_add_lshl_u32 v5, v5, v0, 3
	ds_read_b64 v[6:7], v5
	s_waitcnt lgkmcnt(0)
	ds_write_b64 v16, v[6:7] offset:8
.LBB164_27:
	s_or_b64 exec, exec, s[2:3]
	v_or_b32_e32 v5, 2, v4
	v_cmp_gt_u32_e64 s[10:11], v5, v0
	s_and_saveexec_b64 s[2:3], s[10:11]
	s_cbranch_execz .LBB164_29
; %bb.28:
	v_mul_u32_u24_e32 v5, 33, v5
	v_add_lshl_u32 v5, v5, v0, 3
	ds_read_b64 v[6:7], v5
	s_waitcnt lgkmcnt(0)
	ds_write_b64 v16, v[6:7] offset:16
.LBB164_29:
	s_or_b64 exec, exec, s[2:3]
	v_or_b32_e32 v5, 3, v4
	v_cmp_gt_u32_e64 s[12:13], v5, v0
	v_mad_u32_u24 v5, v5, 33, v0
	v_lshlrev_b32_e32 v29, 3, v5
	s_and_saveexec_b64 s[2:3], s[12:13]
	s_cbranch_execz .LBB164_31
; %bb.30:
	ds_read_b64 v[6:7], v29
	s_waitcnt lgkmcnt(0)
	ds_write_b64 v16, v[6:7] offset:24
.LBB164_31:
	s_or_b64 exec, exec, s[2:3]
	v_mul_u32_u24_e32 v5, 0x84, v18
	v_add_lshl_u32 v21, v5, v0, 3
	s_waitcnt lgkmcnt(0)
	s_barrier
	v_lshlrev_b32_e32 v17, 3, v4
	ds_read_b64 v[36:37], v21
	ds_read_b128 v[4:7], v17 offset:9088
	v_add_u32_e32 v30, 0xfffffdf0, v29
	ds_read2_b64 v[8:11], v30 offset1:33
	ds_read_b128 v[32:35], v17 offset:9104
	ds_read_b64 v[38:39], v29
	v_pk_mov_b32 v[26:27], 0, 0
	v_add_lshl_u32 v28, v18, v19, 3
	s_waitcnt lgkmcnt(3)
	v_fma_f64 v[4:5], v[36:37], v[4:5], 0
	s_waitcnt lgkmcnt(2)
	v_fmac_f64_e32 v[4:5], v[8:9], v[6:7]
	s_waitcnt lgkmcnt(1)
	v_fmac_f64_e32 v[4:5], v[10:11], v[32:33]
	;; [unrolled: 2-line block ×3, first 2 shown]
	v_cmp_gt_u32_e64 s[2:3], 32, v22
	v_lshlrev_b32_e32 v23, 3, v19
	s_barrier
	ds_write_b64 v28, v[4:5]
	s_waitcnt lgkmcnt(0)
	s_barrier
	s_and_saveexec_b64 s[14:15], s[2:3]
	s_cbranch_execz .LBB164_33
; %bb.32:
	ds_read2_b64 v[4:7], v23 offset1:1
	ds_read2_b64 v[8:11], v23 offset0:2 offset1:3
	ds_read2_b64 v[32:35], v23 offset0:4 offset1:5
	s_waitcnt lgkmcnt(2)
	v_add_f64 v[26:27], v[4:5], v[6:7]
	ds_read2_b64 v[4:7], v23 offset0:6 offset1:7
	s_waitcnt lgkmcnt(2)
	v_add_f64 v[8:9], v[26:27], v[8:9]
	v_add_f64 v[8:9], v[8:9], v[10:11]
	s_waitcnt lgkmcnt(1)
	v_add_f64 v[8:9], v[8:9], v[32:33]
	v_add_f64 v[8:9], v[8:9], v[34:35]
	;; [unrolled: 3-line block ×3, first 2 shown]
.LBB164_33:
	s_or_b64 exec, exec, s[14:15]
	s_lshl_b64 s[14:15], s[24:25], 8
	v_mov_b32_e32 v4, s15
	v_add_co_u32_e32 v6, vcc, s14, v2
	v_addc_co_u32_e32 v7, vcc, v3, v4, vcc
	v_add_co_u32_e32 v4, vcc, 0x100, v6
	v_addc_co_u32_e32 v5, vcc, 0, v7, vcc
	s_and_b64 vcc, exec, s[30:31]
	s_barrier
	s_cbranch_vccz .LBB164_43
; %bb.34:
	v_or_b32_e32 v2, 32, v0
	v_lshlrev_b32_e32 v3, 3, v2
	v_sub_co_u32_e32 v3, vcc, v4, v3
	s_ashr_i32 s21, s20, 31
	v_subbrev_co_u32_e32 v8, vcc, 0, v5, vcc
	s_lshl_b64 s[34:35], s[20:21], 3
	v_mov_b32_e32 v9, s35
	v_add_co_u32_e32 v3, vcc, s34, v3
	v_addc_co_u32_e32 v8, vcc, v8, v9, vcc
	v_add_co_u32_e32 v9, vcc, -8, v3
	v_cmp_gt_i32_e64 s[14:15], s20, v2
	v_addc_co_u32_e32 v3, vcc, -1, v8, vcc
	v_cndmask_b32_e64 v2, v9, v4, s[14:15]
	s_sub_i32 s21, s20, 32
	v_pk_mov_b32 v[8:9], 0, 0
	v_cndmask_b32_e64 v3, v3, v5, s[14:15]
	v_cmp_gt_i32_e32 vcc, s21, v18
	v_pk_mov_b32 v[10:11], v[8:9], v[8:9] op_sel:[0,1]
	s_and_saveexec_b64 s[36:37], vcc
	s_cbranch_execz .LBB164_36
; %bb.35:
	flat_load_dwordx2 v[10:11], v[2:3]
.LBB164_36:
	s_or_b64 exec, exec, s[36:37]
	v_add_lshl_u32 v31, v20, v0, 3
	s_waitcnt vmcnt(0) lgkmcnt(0)
	ds_write_b64 v31, v[10:11]
	v_add_u32_e32 v10, 8, v18
	v_cmp_gt_i32_e32 vcc, s21, v10
	s_and_saveexec_b64 s[36:37], vcc
	s_cbranch_execz .LBB164_38
; %bb.37:
	s_lshl_b64 s[40:41], s[24:25], 6
	v_mov_b32_e32 v9, s41
	v_add_co_u32_e32 v8, vcc, s40, v2
	v_addc_co_u32_e32 v9, vcc, v3, v9, vcc
	flat_load_dwordx2 v[8:9], v[8:9]
.LBB164_38:
	s_or_b64 exec, exec, s[36:37]
	s_waitcnt vmcnt(0) lgkmcnt(0)
	ds_write_b64 v31, v[8:9] offset:2112
	v_add_u32_e32 v8, 16, v18
	v_cmp_gt_i32_e32 vcc, s21, v8
	v_pk_mov_b32 v[8:9], 0, 0
	v_pk_mov_b32 v[10:11], v[8:9], v[8:9] op_sel:[0,1]
	s_and_saveexec_b64 s[36:37], vcc
	s_cbranch_execz .LBB164_40
; %bb.39:
	s_lshl_b64 s[40:41], s[24:25], 7
	v_mov_b32_e32 v11, s41
	v_add_co_u32_e32 v10, vcc, s40, v2
	v_addc_co_u32_e32 v11, vcc, v3, v11, vcc
	flat_load_dwordx2 v[10:11], v[10:11]
.LBB164_40:
	s_or_b64 exec, exec, s[36:37]
	s_waitcnt vmcnt(0) lgkmcnt(0)
	ds_write_b64 v31, v[10:11] offset:4224
	v_add_u32_e32 v10, 24, v18
	v_cmp_gt_i32_e32 vcc, s21, v10
	s_and_saveexec_b64 s[36:37], vcc
	s_cbranch_execz .LBB164_42
; %bb.41:
	v_mov_b32_e32 v8, 0xc0
	v_mad_u64_u32 v[8:9], s[40:41], s24, v8, v[2:3]
	v_add_u32_e32 v9, s39, v9
	flat_load_dwordx2 v[8:9], v[8:9]
.LBB164_42:
	s_or_b64 exec, exec, s[36:37]
	v_add_co_u32_e32 v2, vcc, v2, v1
	v_addc_co_u32_e32 v3, vcc, 0, v3, vcc
	s_waitcnt vmcnt(0) lgkmcnt(0)
	ds_write_b64 v31, v[8:9] offset:6336
	v_mov_b32_e32 v8, s35
	v_subrev_co_u32_e32 v2, vcc, s34, v2
	v_subb_co_u32_e32 v3, vcc, v3, v8, vcc
	v_add_co_u32_e32 v2, vcc, 0x108, v2
	v_addc_co_u32_e32 v3, vcc, 0, v3, vcc
	v_cndmask_b32_e64 v3, v3, v5, s[14:15]
	v_cndmask_b32_e64 v2, v2, v4, s[14:15]
	s_branch .LBB164_45
.LBB164_43:
                                        ; implicit-def: $vgpr2_vgpr3
	s_cbranch_execz .LBB164_45
; %bb.44:
	flat_load_dwordx2 v[2:3], v[6:7] offset:256
	s_lshl_b64 s[14:15], s[24:25], 6
	v_add_lshl_u32 v10, v20, v0, 3
	v_mov_b32_e32 v11, s15
	v_add_co_u32_e32 v8, vcc, s14, v6
	v_addc_co_u32_e32 v9, vcc, v7, v11, vcc
	s_waitcnt vmcnt(0) lgkmcnt(0)
	ds_write_b64 v10, v[2:3]
	flat_load_dwordx2 v[2:3], v[8:9] offset:256
	v_add_co_u32_e32 v8, vcc, s14, v8
	v_addc_co_u32_e32 v9, vcc, v9, v11, vcc
	s_waitcnt vmcnt(0) lgkmcnt(0)
	ds_write_b64 v10, v[2:3] offset:2112
	flat_load_dwordx2 v[2:3], v[8:9] offset:256
	v_mov_b32_e32 v8, 0xc0
	v_mad_u64_u32 v[6:7], s[14:15], s24, v8, v[6:7]
	v_add_u32_e32 v7, s39, v7
	s_waitcnt vmcnt(0) lgkmcnt(0)
	ds_write_b64 v10, v[2:3] offset:4224
	flat_load_dwordx2 v[2:3], v[6:7] offset:256
	s_waitcnt vmcnt(0) lgkmcnt(0)
	ds_write_b64 v10, v[2:3] offset:6336
	v_pk_mov_b32 v[2:3], v[4:5], v[4:5] op_sel:[0,1]
.LBB164_45:
	s_waitcnt lgkmcnt(0)
	s_barrier
	s_and_saveexec_b64 s[14:15], s[16:17]
	s_cbranch_execnz .LBB164_62
; %bb.46:
	s_or_b64 exec, exec, s[14:15]
	s_and_saveexec_b64 s[14:15], s[8:9]
	s_cbranch_execnz .LBB164_63
.LBB164_47:
	s_or_b64 exec, exec, s[14:15]
	s_and_saveexec_b64 s[8:9], s[10:11]
	s_cbranch_execnz .LBB164_64
.LBB164_48:
	s_or_b64 exec, exec, s[8:9]
	v_add_u32_e32 v31, 0x2380, v17
	s_and_saveexec_b64 s[8:9], s[12:13]
	s_cbranch_execz .LBB164_50
.LBB164_49:
	ds_read_b64 v[4:5], v29
	s_waitcnt lgkmcnt(0)
	ds_write_b64 v16, v[4:5] offset:24
.LBB164_50:
	s_or_b64 exec, exec, s[8:9]
	s_waitcnt lgkmcnt(0)
	s_barrier
	ds_read_b64 v[16:17], v21
	ds_read_b128 v[4:7], v31 offset:256
	ds_read2_b64 v[8:11], v30 offset1:33
	ds_read_b128 v[32:35], v31 offset:272
	ds_read_b64 v[36:37], v29
	v_cmp_eq_u32_e64 s[8:9], 1, v18
	s_waitcnt lgkmcnt(3)
	v_fma_f64 v[4:5], v[16:17], v[4:5], 0
	s_waitcnt lgkmcnt(2)
	v_fmac_f64_e32 v[4:5], v[8:9], v[6:7]
	s_waitcnt lgkmcnt(1)
	v_fmac_f64_e32 v[4:5], v[10:11], v[32:33]
	;; [unrolled: 2-line block ×3, first 2 shown]
	s_barrier
	ds_write_b64 v28, v[4:5]
	s_waitcnt lgkmcnt(0)
	s_barrier
	s_and_saveexec_b64 s[10:11], s[8:9]
	s_cbranch_execz .LBB164_52
; %bb.51:
	ds_read2_b64 v[4:7], v23 offset1:1
	ds_read2_b64 v[8:11], v23 offset0:2 offset1:3
	ds_read2_b64 v[32:35], v23 offset0:4 offset1:5
	s_waitcnt lgkmcnt(2)
	v_add_f64 v[16:17], v[4:5], v[6:7]
	ds_read2_b64 v[4:7], v23 offset0:6 offset1:7
	s_waitcnt lgkmcnt(2)
	v_add_f64 v[8:9], v[16:17], v[8:9]
	v_add_f64 v[8:9], v[8:9], v[10:11]
	s_waitcnt lgkmcnt(1)
	v_add_f64 v[8:9], v[8:9], v[32:33]
	v_add_f64 v[8:9], v[8:9], v[34:35]
	s_waitcnt lgkmcnt(0)
	v_add_f64 v[4:5], v[8:9], v[4:5]
	v_add_f64 v[26:27], v[4:5], v[6:7]
.LBB164_52:
	s_or_b64 exec, exec, s[10:11]
	v_add_co_u32_e32 v2, vcc, 0xffffff00, v2
	v_addc_co_u32_e32 v3, vcc, -1, v3, vcc
	s_and_b64 vcc, exec, s[30:31]
	s_barrier
	s_cbranch_vccz .LBB164_65
; %bb.53:
	v_sub_co_u32_e32 v4, vcc, v2, v1
	s_ashr_i32 s21, s20, 31
	v_subbrev_co_u32_e32 v5, vcc, 0, v3, vcc
	s_lshl_b64 s[12:13], s[20:21], 3
	v_mov_b32_e32 v6, s13
	v_add_co_u32_e32 v4, vcc, s12, v4
	v_addc_co_u32_e32 v5, vcc, v5, v6, vcc
	v_add_co_u32_e32 v4, vcc, -8, v4
	v_addc_co_u32_e32 v5, vcc, -1, v5, vcc
	v_cmp_gt_i32_e32 vcc, s20, v0
	s_sub_i32 s16, s20, 32
	v_pk_mov_b32 v[6:7], 0, 0
	v_cndmask_b32_e32 v5, v5, v3, vcc
	v_cndmask_b32_e32 v4, v4, v2, vcc
	v_cmp_gt_i32_e64 s[10:11], s16, v18
	v_pk_mov_b32 v[8:9], v[6:7], v[6:7] op_sel:[0,1]
	s_and_saveexec_b64 s[14:15], s[10:11]
	s_cbranch_execz .LBB164_55
; %bb.54:
	flat_load_dwordx2 v[8:9], v[4:5]
.LBB164_55:
	s_or_b64 exec, exec, s[14:15]
	v_add_u32_e32 v10, 8, v18
	v_add_lshl_u32 v16, v20, v0, 3
	v_cmp_gt_i32_e64 s[10:11], s16, v10
	s_waitcnt vmcnt(0) lgkmcnt(0)
	ds_write_b64 v16, v[8:9]
	s_and_saveexec_b64 s[14:15], s[10:11]
	s_cbranch_execz .LBB164_57
; %bb.56:
	s_lshl_b64 s[10:11], s[24:25], 6
	v_mov_b32_e32 v7, s11
	v_add_co_u32_e64 v6, s[10:11], s10, v4
	v_addc_co_u32_e64 v7, s[10:11], v5, v7, s[10:11]
	flat_load_dwordx2 v[6:7], v[6:7]
.LBB164_57:
	s_or_b64 exec, exec, s[14:15]
	s_waitcnt vmcnt(0) lgkmcnt(0)
	ds_write_b64 v16, v[6:7] offset:2112
	v_add_u32_e32 v11, 16, v18
	v_pk_mov_b32 v[6:7], 0, 0
	v_cmp_gt_i32_e64 s[10:11], s16, v11
	v_pk_mov_b32 v[8:9], v[6:7], v[6:7] op_sel:[0,1]
	s_and_saveexec_b64 s[14:15], s[10:11]
	s_cbranch_execz .LBB164_59
; %bb.58:
	s_lshl_b64 s[10:11], s[24:25], 7
	v_mov_b32_e32 v9, s11
	v_add_co_u32_e64 v8, s[10:11], s10, v4
	v_addc_co_u32_e64 v9, s[10:11], v5, v9, s[10:11]
	flat_load_dwordx2 v[8:9], v[8:9]
.LBB164_59:
	s_or_b64 exec, exec, s[14:15]
	s_waitcnt vmcnt(0) lgkmcnt(0)
	ds_write_b64 v16, v[8:9] offset:4224
	v_add_u32_e32 v8, 24, v18
	v_cmp_gt_i32_e64 s[10:11], s16, v8
	s_and_saveexec_b64 s[14:15], s[10:11]
	s_cbranch_execz .LBB164_61
; %bb.60:
	v_mov_b32_e32 v6, 0xc0
	v_mad_u64_u32 v[6:7], s[10:11], s24, v6, v[4:5]
	v_add_u32_e32 v7, s39, v7
	flat_load_dwordx2 v[6:7], v[6:7]
.LBB164_61:
	s_or_b64 exec, exec, s[14:15]
	v_add_co_u32_e64 v1, s[10:11], v4, v1
	v_addc_co_u32_e64 v4, s[10:11], 0, v5, s[10:11]
	v_mov_b32_e32 v5, s13
	v_subrev_co_u32_e64 v1, s[10:11], s12, v1
	v_subb_co_u32_e64 v4, s[10:11], v4, v5, s[10:11]
	v_add_co_u32_e64 v1, s[10:11], 8, v1
	v_addc_co_u32_e64 v4, s[10:11], 0, v4, s[10:11]
	s_waitcnt vmcnt(0) lgkmcnt(0)
	ds_write_b64 v16, v[6:7] offset:6336
	v_cndmask_b32_e32 v17, v4, v3, vcc
	v_cndmask_b32_e32 v16, v1, v2, vcc
	s_branch .LBB164_67
.LBB164_62:
	ds_read_b64 v[4:5], v21
	s_waitcnt lgkmcnt(0)
	ds_write_b64 v16, v[4:5]
	s_or_b64 exec, exec, s[14:15]
	s_and_saveexec_b64 s[14:15], s[8:9]
	s_cbranch_execz .LBB164_47
.LBB164_63:
	ds_read_b64 v[4:5], v30
	s_waitcnt lgkmcnt(0)
	ds_write_b64 v16, v[4:5] offset:8
	s_or_b64 exec, exec, s[14:15]
	s_and_saveexec_b64 s[8:9], s[10:11]
	s_cbranch_execz .LBB164_48
.LBB164_64:
	ds_read_b64 v[4:5], v30 offset:264
	s_waitcnt lgkmcnt(0)
	ds_write_b64 v16, v[4:5] offset:16
	s_or_b64 exec, exec, s[8:9]
	v_add_u32_e32 v31, 0x2380, v17
	s_and_saveexec_b64 s[8:9], s[12:13]
	s_cbranch_execnz .LBB164_49
	s_branch .LBB164_50
.LBB164_65:
                                        ; implicit-def: $vgpr16_vgpr17
                                        ; implicit-def: $vgpr10
                                        ; implicit-def: $vgpr11
                                        ; implicit-def: $vgpr8
	s_cbranch_execz .LBB164_67
; %bb.66:
	flat_load_dwordx2 v[4:5], v[2:3]
	s_lshl_b64 s[10:11], s[24:25], 6
	v_add_lshl_u32 v6, v20, v0, 3
	v_mov_b32_e32 v7, s11
	v_add_co_u32_e32 v0, vcc, s10, v2
	v_addc_co_u32_e32 v1, vcc, v3, v7, vcc
	v_add_u32_e32 v10, 8, v18
	v_add_u32_e32 v11, 16, v18
	v_add_u32_e32 v8, 24, v18
	v_pk_mov_b32 v[16:17], v[2:3], v[2:3] op_sel:[0,1]
	s_waitcnt vmcnt(0) lgkmcnt(0)
	ds_write_b64 v6, v[4:5]
	flat_load_dwordx2 v[4:5], v[0:1]
	v_add_co_u32_e32 v0, vcc, s10, v0
	v_addc_co_u32_e32 v1, vcc, v1, v7, vcc
	s_waitcnt vmcnt(0) lgkmcnt(0)
	ds_write_b64 v6, v[4:5] offset:2112
	flat_load_dwordx2 v[0:1], v[0:1]
	v_mov_b32_e32 v4, 0xc0
	v_mad_u64_u32 v[4:5], s[10:11], s24, v4, v[2:3]
	v_add_u32_e32 v5, s39, v5
	s_waitcnt vmcnt(0) lgkmcnt(0)
	ds_write_b64 v6, v[0:1] offset:4224
	flat_load_dwordx2 v[0:1], v[4:5]
	s_waitcnt vmcnt(0) lgkmcnt(0)
	ds_write_b64 v6, v[0:1] offset:6336
.LBB164_67:
	v_lshlrev_b32_e32 v0, 3, v18
	s_waitcnt lgkmcnt(0)
	s_barrier
	v_add_lshl_u32 v1, v10, v19, 3
	v_lshlrev_b32_e32 v2, 3, v10
	v_add_lshl_u32 v3, v11, v19, 3
	ds_read_b64 v[32:33], v0 offset:9088
	ds_read_b64 v[34:35], v1
	ds_read_b64 v[36:37], v2 offset:9088
	ds_read_b64 v[38:39], v3
	v_lshlrev_b32_e32 v18, 3, v11
	v_add_lshl_u32 v19, v8, v19, 3
	v_lshlrev_b32_e32 v44, 3, v8
	ds_read_b64 v[20:21], v21
	ds_read_b128 v[8:11], v31 offset:256
	ds_read_b64 v[40:41], v28
	ds_read_b128 v[0:3], v31 offset:272
	ds_read2_b64 v[4:7], v30 offset1:33
	ds_read_b64 v[30:31], v18 offset:9088
	ds_read_b64 v[42:43], v19
	ds_read_b64 v[44:45], v44 offset:9088
	ds_read_b64 v[18:19], v29
	s_waitcnt lgkmcnt(6)
	v_fma_f64 v[32:33], v[40:41], v[32:33], 0
	v_fmac_f64_e32 v[32:33], v[34:35], v[36:37]
	s_waitcnt lgkmcnt(3)
	v_fmac_f64_e32 v[32:33], v[38:39], v[30:31]
	s_waitcnt lgkmcnt(1)
	;; [unrolled: 2-line block ×3, first 2 shown]
	s_barrier
	ds_write_b64 v28, v[32:33]
	s_waitcnt lgkmcnt(0)
	s_barrier
	s_and_saveexec_b64 s[10:11], s[8:9]
	s_cbranch_execz .LBB164_69
; %bb.68:
	ds_read2_b64 v[30:33], v23 offset1:1
	ds_read2_b64 v[34:37], v23 offset0:2 offset1:3
	ds_read2_b64 v[38:41], v23 offset0:4 offset1:5
	s_waitcnt lgkmcnt(2)
	v_add_f64 v[26:27], v[26:27], v[30:31]
	v_add_f64 v[26:27], v[26:27], v[32:33]
	ds_read2_b64 v[30:33], v23 offset0:6 offset1:7
	s_waitcnt lgkmcnt(2)
	v_add_f64 v[26:27], v[26:27], v[34:35]
	v_add_f64 v[26:27], v[26:27], v[36:37]
	s_waitcnt lgkmcnt(1)
	v_add_f64 v[26:27], v[26:27], v[38:39]
	v_add_f64 v[26:27], v[26:27], v[40:41]
	;; [unrolled: 3-line block ×3, first 2 shown]
.LBB164_69:
	s_or_b64 exec, exec, s[10:11]
	v_fma_f64 v[8:9], v[20:21], v[8:9], 0
	v_fmac_f64_e32 v[8:9], v[4:5], v[10:11]
	v_fmac_f64_e32 v[8:9], v[6:7], v[0:1]
	;; [unrolled: 1-line block ×3, first 2 shown]
	s_barrier
	ds_write_b64 v28, v[8:9]
	s_waitcnt lgkmcnt(0)
	s_barrier
	s_and_saveexec_b64 s[8:9], s[2:3]
	s_cbranch_execz .LBB164_71
; %bb.70:
	ds_read2_b64 v[0:3], v23 offset1:1
	ds_read2_b64 v[4:7], v23 offset0:2 offset1:3
	ds_read2_b64 v[8:11], v23 offset0:4 offset1:5
	s_waitcnt lgkmcnt(2)
	v_add_f64 v[0:1], v[26:27], v[0:1]
	v_add_f64 v[18:19], v[0:1], v[2:3]
	ds_read2_b64 v[0:3], v23 offset0:6 offset1:7
	s_waitcnt lgkmcnt(2)
	v_add_f64 v[4:5], v[18:19], v[4:5]
	v_add_f64 v[4:5], v[4:5], v[6:7]
	s_waitcnt lgkmcnt(1)
	v_add_f64 v[4:5], v[4:5], v[8:9]
	v_add_f64 v[4:5], v[4:5], v[10:11]
	;; [unrolled: 3-line block ×3, first 2 shown]
.LBB164_71:
	s_or_b64 exec, exec, s[8:9]
	s_load_dwordx2 s[2:3], s[4:5], 0x68
	s_mul_hi_u32 s4, s33, s28
	s_mul_i32 s38, s38, s28
	s_add_i32 s4, s4, s38
	s_mul_i32 s8, s33, s28
	s_mul_i32 s4, s4, s7
	s_mul_hi_u32 s5, s8, s7
	s_add_i32 s5, s5, s4
	s_mul_i32 s4, s8, s7
	s_lshl_b64 s[4:5], s[4:5], 3
	s_waitcnt lgkmcnt(0)
	s_add_u32 s4, s2, s4
	s_addc_u32 s5, s3, s5
	s_mul_hi_i32 s3, s33, s6
	s_mul_i32 s2, s33, s6
	s_lshl_b64 s[2:3], s[2:3], 3
	s_add_u32 s14, s4, s2
	s_addc_u32 s15, s5, s3
	s_add_i32 s2, s6, 1
	s_cmp_ge_u32 s2, s7
	v_lshlrev_b32_e32 v28, 3, v61
	s_barrier
	s_cbranch_scc1 .LBB164_128
; %bb.72:
	s_mul_i32 s2, s26, s19
	s_mul_hi_u32 s3, s26, s18
	s_add_i32 s2, s3, s2
	s_mul_i32 s3, s27, s18
	s_add_i32 s3, s2, s3
	s_mul_i32 s2, s26, s18
	s_lshl_b64 s[2:3], s[2:3], 3
	v_mov_b32_e32 v0, s3
	v_subrev_co_u32_e32 v121, vcc, s2, v14
	v_and_b32_e32 v1, 48, v61
	v_subb_co_u32_e32 v122, vcc, v15, v0, vcc
	v_and_b32_e32 v0, 15, v61
	v_lshlrev_b32_e32 v2, 3, v1
	s_movk_i32 s4, 0x218
	v_lshrrev_b32_e32 v4, 4, v22
	v_mad_u32_u24 v123, v0, s4, v2
	v_or_b32_e32 v2, 0x78, v28
	v_lshlrev_b32_e32 v5, 5, v120
	v_mad_u32_u24 v124, v0, s4, v2
	v_lshlrev_b32_e32 v2, 5, v4
	v_add_u32_e32 v3, 0x118, v5
	v_mad_u32_u24 v125, v0, s4, v2
	v_or_b32_e32 v126, v1, v0
	v_mad_u64_u32 v[0:1], s[4:5], s24, v3, 0
	v_mov_b32_e32 v2, v1
	v_mad_u64_u32 v[2:3], s[4:5], s25, v3, v[2:3]
	v_mov_b32_e32 v1, v2
	v_sub_co_u32_e32 v0, vcc, v0, v12
	v_subb_co_u32_e32 v1, vcc, v1, v13, vcc
	v_add_co_u32_e32 v30, vcc, v16, v0
	v_add_u32_e32 v3, 0x110, v5
	v_addc_co_u32_e32 v29, vcc, v17, v1, vcc
	v_mad_u64_u32 v[0:1], s[4:5], s24, v3, 0
	v_mov_b32_e32 v2, v1
	v_mad_u64_u32 v[2:3], s[4:5], s25, v3, v[2:3]
	v_mov_b32_e32 v1, v2
	v_sub_co_u32_e32 v0, vcc, v0, v12
	v_subb_co_u32_e32 v1, vcc, v1, v13, vcc
	v_add_co_u32_e32 v32, vcc, v16, v0
	v_add_u32_e32 v3, 0x108, v5
	v_addc_co_u32_e32 v31, vcc, v17, v1, vcc
	;; [unrolled: 9-line block ×12, first 2 shown]
	v_mad_u64_u32 v[0:1], s[4:5], s24, v3, 0
	v_mov_b32_e32 v2, v1
	v_mad_u64_u32 v[2:3], s[4:5], s25, v3, v[2:3]
	v_mov_b32_e32 v1, v2
	v_sub_co_u32_e32 v6, vcc, v0, v12
	v_add_u32_e32 v3, 0x290, v5
	v_subb_co_u32_e32 v7, vcc, v1, v13, vcc
	v_mad_u64_u32 v[0:1], s[4:5], s24, v3, 0
	v_mov_b32_e32 v2, v1
	v_mad_u64_u32 v[2:3], s[4:5], s25, v3, v[2:3]
	v_mov_b32_e32 v1, v2
	v_sub_co_u32_e32 v8, vcc, v0, v12
	v_add_u32_e32 v3, 0x288, v5
	v_subb_co_u32_e32 v9, vcc, v1, v13, vcc
	v_mad_u64_u32 v[0:1], s[4:5], s24, v3, 0
	v_mov_b32_e32 v2, v1
	v_mad_u64_u32 v[2:3], s[4:5], s25, v3, v[2:3]
	v_mov_b32_e32 v1, v2
	v_sub_co_u32_e32 v10, vcc, v0, v12
	v_add_u32_e32 v3, 0x280, v5
	v_subb_co_u32_e32 v11, vcc, v1, v13, vcc
	v_mad_u64_u32 v[0:1], s[4:5], s24, v3, 0
	v_mov_b32_e32 v2, v1
	v_add_co_u32_e32 v54, vcc, v16, v6
	v_mad_u64_u32 v[2:3], s[4:5], s25, v3, v[2:3]
	v_addc_co_u32_e32 v53, vcc, v17, v7, vcc
	v_mov_b32_e32 v1, v2
	v_sub_co_u32_e32 v0, vcc, v0, v12
	v_subb_co_u32_e32 v1, vcc, v1, v13, vcc
	v_add_co_u32_e32 v56, vcc, v16, v8
	v_addc_co_u32_e32 v55, vcc, v17, v9, vcc
	v_add_co_u32_e32 v58, vcc, v16, v10
	v_addc_co_u32_e32 v57, vcc, v17, v11, vcc
	v_add_co_u32_e32 v60, vcc, v16, v0
	s_movk_i32 s4, 0x860
	v_mul_i32_i24_e32 v0, 0xffffffe8, v4
	v_lshlrev_b32_e32 v129, 2, v120
	v_cmp_gt_u32_e64 s[2:3], 64, v22
	v_addc_co_u32_e32 v59, vcc, v17, v1, vcc
	s_add_i32 s16, s7, -2
	v_add_u32_e32 v127, 0x2180, v5
	s_add_i32 s17, s26, 64
	s_lshl_b64 s[10:11], s[24:25], 9
	v_add_u32_e32 v128, v125, v0
	v_add_u32_e32 v130, 0x2180, v28
	;; [unrolled: 1-line block ×3, first 2 shown]
	v_or_b32_e32 v132, 1, v129
	v_or_b32_e32 v133, 2, v129
	;; [unrolled: 1-line block ×3, first 2 shown]
	v_mad_u32_u24 v135, v120, s4, v28
	v_add_u32_e32 v136, 16, v129
	v_add_u32_e32 v137, 17, v129
	;; [unrolled: 1-line block ×12, first 2 shown]
	s_cmp_eq_u32 s16, s6
	s_cselect_b32 s21, s29, 0
	s_and_saveexec_b64 s[4:5], s[0:1]
	s_cbranch_execz .LBB164_76
.LBB164_73:
	s_cmp_eq_u32 s21, 0
	s_cselect_b64 s[8:9], -1, 0
	v_cmp_gt_i32_e32 vcc, s21, v61
	s_or_b64 s[12:13], s[8:9], vcc
	v_pk_mov_b32 v[0:1], 0, 0
	s_and_saveexec_b64 s[8:9], s[12:13]
	s_cbranch_execz .LBB164_75
; %bb.74:
	s_ashr_i32 s12, s17, 31
	s_mul_i32 s13, s17, s19
	s_mul_hi_u32 s24, s17, s18
	s_add_i32 s13, s24, s13
	s_mul_i32 s12, s12, s18
	s_add_i32 s13, s13, s12
	s_mul_i32 s12, s17, s18
	s_lshl_b64 s[12:13], s[12:13], 3
	v_mov_b32_e32 v1, s13
	v_add_co_u32_e32 v0, vcc, s12, v121
	v_addc_co_u32_e32 v1, vcc, v122, v1, vcc
	flat_load_dwordx2 v[0:1], v[0:1]
.LBB164_75:
	s_or_b64 exec, exec, s[8:9]
	s_waitcnt vmcnt(0) lgkmcnt(0)
	ds_write_b64 v130, v[0:1]
.LBB164_76:                             ; =>This Inner Loop Header: Depth=1
	s_or_b64 exec, exec, s[4:5]
	s_cmp_eq_u32 s21, 0
	v_add_co_u32_e32 v0, vcc, v36, v28
	s_cselect_b64 s[12:13], -1, 0
	s_cmp_lg_u32 s21, 0
	v_addc_co_u32_e32 v1, vcc, 0, v35, vcc
	s_cselect_b64 s[8:9], -1, 0
	s_and_b64 vcc, exec, s[8:9]
	s_waitcnt lgkmcnt(0)
	s_barrier
	s_cbranch_vccz .LBB164_124
; %bb.77:                               ;   in Loop: Header=BB164_76 Depth=1
	v_pk_mov_b32 v[64:65], 0, 0
	v_cmp_gt_i32_e32 vcc, s21, v129
	v_pk_mov_b32 v[62:63], v[64:65], v[64:65] op_sel:[0,1]
	s_and_saveexec_b64 s[4:5], vcc
	s_cbranch_execz .LBB164_79
; %bb.78:                               ;   in Loop: Header=BB164_76 Depth=1
	flat_load_dwordx2 v[62:63], v[0:1]
.LBB164_79:                             ;   in Loop: Header=BB164_76 Depth=1
	s_or_b64 exec, exec, s[4:5]
	v_cmp_gt_i32_e32 vcc, s21, v132
	s_and_saveexec_b64 s[4:5], vcc
	s_cbranch_execz .LBB164_81
; %bb.80:                               ;   in Loop: Header=BB164_76 Depth=1
	v_add_co_u32_e32 v2, vcc, v34, v28
	v_addc_co_u32_e32 v3, vcc, 0, v33, vcc
	flat_load_dwordx2 v[64:65], v[2:3]
.LBB164_81:                             ;   in Loop: Header=BB164_76 Depth=1
	s_or_b64 exec, exec, s[4:5]
	v_pk_mov_b32 v[68:69], 0, 0
	v_cmp_gt_i32_e32 vcc, s21, v133
	v_pk_mov_b32 v[66:67], v[68:69], v[68:69] op_sel:[0,1]
	s_and_saveexec_b64 s[4:5], vcc
	s_cbranch_execz .LBB164_83
; %bb.82:                               ;   in Loop: Header=BB164_76 Depth=1
	v_add_co_u32_e32 v2, vcc, v32, v28
	v_addc_co_u32_e32 v3, vcc, 0, v31, vcc
	flat_load_dwordx2 v[66:67], v[2:3]
.LBB164_83:                             ;   in Loop: Header=BB164_76 Depth=1
	s_or_b64 exec, exec, s[4:5]
	v_cmp_gt_i32_e32 vcc, s21, v134
	s_and_saveexec_b64 s[4:5], vcc
	s_cbranch_execz .LBB164_85
; %bb.84:                               ;   in Loop: Header=BB164_76 Depth=1
	v_add_co_u32_e32 v2, vcc, v30, v28
	v_addc_co_u32_e32 v3, vcc, 0, v29, vcc
	flat_load_dwordx2 v[68:69], v[2:3]
.LBB164_85:                             ;   in Loop: Header=BB164_76 Depth=1
	s_or_b64 exec, exec, s[4:5]
	s_branch .LBB164_87
.LBB164_86:                             ;   in Loop: Header=BB164_76 Depth=1
	s_waitcnt vmcnt(0) lgkmcnt(0)
	flat_load_dwordx2 v[62:63], v[0:1]
	v_add_co_u32_e32 v0, vcc, v34, v28
	v_addc_co_u32_e32 v1, vcc, 0, v33, vcc
	flat_load_dwordx2 v[64:65], v[0:1]
	v_add_co_u32_e32 v0, vcc, v32, v28
	v_addc_co_u32_e32 v1, vcc, 0, v31, vcc
	;; [unrolled: 3-line block ×3, first 2 shown]
	flat_load_dwordx2 v[68:69], v[0:1]
.LBB164_87:                             ;   in Loop: Header=BB164_76 Depth=1
	ds_read_b64 v[0:1], v131
	ds_read_b64 v[70:71], v127
	v_cndmask_b32_e64 v8, 0, 1, s[8:9]
	v_cmp_ne_u32_e64 s[4:5], 1, v8
	s_andn2_b64 vcc, exec, s[8:9]
	s_waitcnt vmcnt(0) lgkmcnt(0)
	v_mul_f64 v[2:3], v[62:63], v[0:1]
	v_mul_f64 v[4:5], v[64:65], v[0:1]
	ds_write_b64 v135, v[2:3]
	v_mul_f64 v[6:7], v[66:67], v[0:1]
	ds_read_b64 v[72:73], v127 offset:8
	ds_write_b64 v135, v[4:5] offset:536
	ds_read_b64 v[74:75], v127 offset:16
	ds_write_b64 v135, v[6:7] offset:1072
	v_mul_f64 v[0:1], v[68:69], v[0:1]
	ds_read_b64 v[76:77], v127 offset:24
	ds_write_b64 v135, v[0:1] offset:1608
	s_waitcnt lgkmcnt(0)
	s_barrier
	ds_read2_b64 v[4:7], v125 offset1:1
	ds_read2_b64 v[0:3], v125 offset0:2 offset1:3
	v_add_co_u32_e64 v8, s[8:9], v44, v28
	v_addc_co_u32_e64 v9, s[8:9], 0, v43, s[8:9]
	s_waitcnt lgkmcnt(0)
	s_barrier
	s_cbranch_vccnz .LBB164_125
; %bb.88:                               ;   in Loop: Header=BB164_76 Depth=1
	v_pk_mov_b32 v[80:81], 0, 0
	v_cmp_gt_i32_e32 vcc, s21, v136
	v_pk_mov_b32 v[78:79], v[80:81], v[80:81] op_sel:[0,1]
	s_and_saveexec_b64 s[8:9], vcc
	s_cbranch_execz .LBB164_90
; %bb.89:                               ;   in Loop: Header=BB164_76 Depth=1
	flat_load_dwordx2 v[78:79], v[8:9]
.LBB164_90:                             ;   in Loop: Header=BB164_76 Depth=1
	s_or_b64 exec, exec, s[8:9]
	v_cmp_gt_i32_e32 vcc, s21, v137
	s_and_saveexec_b64 s[8:9], vcc
	s_cbranch_execz .LBB164_92
; %bb.91:                               ;   in Loop: Header=BB164_76 Depth=1
	v_add_co_u32_e32 v10, vcc, v42, v28
	v_addc_co_u32_e32 v11, vcc, 0, v41, vcc
	flat_load_dwordx2 v[80:81], v[10:11]
.LBB164_92:                             ;   in Loop: Header=BB164_76 Depth=1
	s_or_b64 exec, exec, s[8:9]
	v_pk_mov_b32 v[84:85], 0, 0
	v_cmp_gt_i32_e32 vcc, s21, v138
	v_pk_mov_b32 v[82:83], v[84:85], v[84:85] op_sel:[0,1]
	s_and_saveexec_b64 s[8:9], vcc
	s_cbranch_execz .LBB164_94
; %bb.93:                               ;   in Loop: Header=BB164_76 Depth=1
	v_add_co_u32_e32 v10, vcc, v40, v28
	v_addc_co_u32_e32 v11, vcc, 0, v39, vcc
	flat_load_dwordx2 v[82:83], v[10:11]
.LBB164_94:                             ;   in Loop: Header=BB164_76 Depth=1
	s_or_b64 exec, exec, s[8:9]
	v_cmp_gt_i32_e32 vcc, s21, v139
	s_and_saveexec_b64 s[8:9], vcc
	s_cbranch_execz .LBB164_96
; %bb.95:                               ;   in Loop: Header=BB164_76 Depth=1
	v_add_co_u32_e32 v10, vcc, v38, v28
	v_addc_co_u32_e32 v11, vcc, 0, v37, vcc
	flat_load_dwordx2 v[84:85], v[10:11]
.LBB164_96:                             ;   in Loop: Header=BB164_76 Depth=1
	s_or_b64 exec, exec, s[8:9]
	s_branch .LBB164_98
.LBB164_97:                             ;   in Loop: Header=BB164_76 Depth=1
	s_waitcnt vmcnt(0) lgkmcnt(0)
	flat_load_dwordx2 v[78:79], v[8:9]
	v_add_co_u32_e32 v8, vcc, v42, v28
	v_addc_co_u32_e32 v9, vcc, 0, v41, vcc
	flat_load_dwordx2 v[80:81], v[8:9]
	v_add_co_u32_e32 v8, vcc, v40, v28
	v_addc_co_u32_e32 v9, vcc, 0, v39, vcc
	;; [unrolled: 3-line block ×3, first 2 shown]
	flat_load_dwordx2 v[84:85], v[8:9]
.LBB164_98:                             ;   in Loop: Header=BB164_76 Depth=1
	ds_read_b64 v[8:9], v131
	ds_read_b64 v[86:87], v127 offset:128
	v_add_co_u32_e64 v16, s[8:9], v52, v28
	s_and_b64 vcc, exec, s[4:5]
	s_waitcnt vmcnt(0) lgkmcnt(0)
	v_mul_f64 v[10:11], v[78:79], v[8:9]
	v_mul_f64 v[12:13], v[80:81], v[8:9]
	ds_write_b64 v135, v[10:11]
	v_mul_f64 v[14:15], v[82:83], v[8:9]
	ds_read_b64 v[88:89], v127 offset:136
	ds_write_b64 v135, v[12:13] offset:536
	ds_read_b64 v[90:91], v127 offset:144
	ds_write_b64 v135, v[14:15] offset:1072
	v_mul_f64 v[8:9], v[84:85], v[8:9]
	ds_read_b64 v[92:93], v127 offset:152
	ds_write_b64 v135, v[8:9] offset:1608
	s_waitcnt lgkmcnt(0)
	s_barrier
	ds_read2_b64 v[12:15], v125 offset1:1
	ds_read2_b64 v[8:11], v125 offset0:2 offset1:3
	v_addc_co_u32_e64 v17, s[8:9], 0, v51, s[8:9]
	s_waitcnt lgkmcnt(0)
	s_barrier
	s_cbranch_vccnz .LBB164_126
; %bb.99:                               ;   in Loop: Header=BB164_76 Depth=1
	v_pk_mov_b32 v[96:97], 0, 0
	v_cmp_gt_i32_e32 vcc, s21, v140
	v_pk_mov_b32 v[94:95], v[96:97], v[96:97] op_sel:[0,1]
	s_and_saveexec_b64 s[8:9], vcc
	s_cbranch_execz .LBB164_101
; %bb.100:                              ;   in Loop: Header=BB164_76 Depth=1
	flat_load_dwordx2 v[94:95], v[16:17]
.LBB164_101:                            ;   in Loop: Header=BB164_76 Depth=1
	s_or_b64 exec, exec, s[8:9]
	v_cmp_gt_i32_e32 vcc, s21, v141
	s_and_saveexec_b64 s[8:9], vcc
	s_cbranch_execz .LBB164_103
; %bb.102:                              ;   in Loop: Header=BB164_76 Depth=1
	v_add_co_u32_e32 v18, vcc, v50, v28
	v_addc_co_u32_e32 v19, vcc, 0, v49, vcc
	flat_load_dwordx2 v[96:97], v[18:19]
.LBB164_103:                            ;   in Loop: Header=BB164_76 Depth=1
	s_or_b64 exec, exec, s[8:9]
	v_pk_mov_b32 v[100:101], 0, 0
	v_cmp_gt_i32_e32 vcc, s21, v142
	v_pk_mov_b32 v[98:99], v[100:101], v[100:101] op_sel:[0,1]
	s_and_saveexec_b64 s[8:9], vcc
	s_cbranch_execz .LBB164_105
; %bb.104:                              ;   in Loop: Header=BB164_76 Depth=1
	v_add_co_u32_e32 v18, vcc, v48, v28
	v_addc_co_u32_e32 v19, vcc, 0, v47, vcc
	flat_load_dwordx2 v[98:99], v[18:19]
.LBB164_105:                            ;   in Loop: Header=BB164_76 Depth=1
	s_or_b64 exec, exec, s[8:9]
	v_cmp_gt_i32_e32 vcc, s21, v143
	s_and_saveexec_b64 s[8:9], vcc
	s_cbranch_execz .LBB164_107
; %bb.106:                              ;   in Loop: Header=BB164_76 Depth=1
	v_add_co_u32_e32 v18, vcc, v46, v28
	v_addc_co_u32_e32 v19, vcc, 0, v45, vcc
	flat_load_dwordx2 v[100:101], v[18:19]
.LBB164_107:                            ;   in Loop: Header=BB164_76 Depth=1
	s_or_b64 exec, exec, s[8:9]
	s_branch .LBB164_109
.LBB164_108:                            ;   in Loop: Header=BB164_76 Depth=1
	s_waitcnt vmcnt(0) lgkmcnt(0)
	flat_load_dwordx2 v[94:95], v[16:17]
	v_add_co_u32_e32 v16, vcc, v50, v28
	v_addc_co_u32_e32 v17, vcc, 0, v49, vcc
	flat_load_dwordx2 v[96:97], v[16:17]
	v_add_co_u32_e32 v16, vcc, v48, v28
	v_addc_co_u32_e32 v17, vcc, 0, v47, vcc
	;; [unrolled: 3-line block ×3, first 2 shown]
	flat_load_dwordx2 v[100:101], v[16:17]
.LBB164_109:                            ;   in Loop: Header=BB164_76 Depth=1
	ds_read_b64 v[16:17], v131
	ds_read_b64 v[102:103], v127 offset:256
	s_and_b64 vcc, exec, s[4:5]
	v_add_co_u32_e64 v118, s[4:5], v60, v28
	s_waitcnt vmcnt(0) lgkmcnt(0)
	v_mul_f64 v[18:19], v[94:95], v[16:17]
	v_mul_f64 v[20:21], v[96:97], v[16:17]
	ds_write_b64 v135, v[18:19]
	v_mul_f64 v[22:23], v[98:99], v[16:17]
	ds_read_b64 v[104:105], v127 offset:264
	ds_write_b64 v135, v[20:21] offset:536
	ds_read_b64 v[106:107], v127 offset:272
	ds_write_b64 v135, v[22:23] offset:1072
	v_mul_f64 v[16:17], v[100:101], v[16:17]
	ds_read_b64 v[108:109], v127 offset:280
	ds_write_b64 v135, v[16:17] offset:1608
	s_waitcnt lgkmcnt(0)
	s_barrier
	ds_read2_b64 v[20:23], v125 offset1:1
	ds_read2_b64 v[16:19], v125 offset0:2 offset1:3
	v_addc_co_u32_e64 v119, s[4:5], 0, v59, s[4:5]
	s_waitcnt lgkmcnt(0)
	s_barrier
	s_cbranch_vccnz .LBB164_127
; %bb.110:                              ;   in Loop: Header=BB164_76 Depth=1
	v_pk_mov_b32 v[112:113], 0, 0
	v_cmp_gt_i32_e32 vcc, s21, v144
	v_pk_mov_b32 v[110:111], v[112:113], v[112:113] op_sel:[0,1]
	s_and_saveexec_b64 s[4:5], vcc
	s_cbranch_execz .LBB164_112
; %bb.111:                              ;   in Loop: Header=BB164_76 Depth=1
	flat_load_dwordx2 v[110:111], v[118:119]
.LBB164_112:                            ;   in Loop: Header=BB164_76 Depth=1
	s_or_b64 exec, exec, s[4:5]
	v_cmp_gt_i32_e32 vcc, s21, v145
	s_and_saveexec_b64 s[4:5], vcc
	s_cbranch_execz .LBB164_114
; %bb.113:                              ;   in Loop: Header=BB164_76 Depth=1
	v_add_co_u32_e32 v112, vcc, v58, v28
	v_addc_co_u32_e32 v113, vcc, 0, v57, vcc
	flat_load_dwordx2 v[112:113], v[112:113]
.LBB164_114:                            ;   in Loop: Header=BB164_76 Depth=1
	s_or_b64 exec, exec, s[4:5]
	v_pk_mov_b32 v[116:117], 0, 0
	v_cmp_gt_i32_e32 vcc, s21, v146
	v_pk_mov_b32 v[114:115], v[116:117], v[116:117] op_sel:[0,1]
	s_and_saveexec_b64 s[4:5], vcc
	s_cbranch_execz .LBB164_116
; %bb.115:                              ;   in Loop: Header=BB164_76 Depth=1
	v_add_co_u32_e32 v114, vcc, v56, v28
	v_addc_co_u32_e32 v115, vcc, 0, v55, vcc
	flat_load_dwordx2 v[114:115], v[114:115]
.LBB164_116:                            ;   in Loop: Header=BB164_76 Depth=1
	s_or_b64 exec, exec, s[4:5]
	v_cmp_gt_i32_e32 vcc, s21, v147
	s_and_saveexec_b64 s[4:5], vcc
	s_cbranch_execz .LBB164_118
; %bb.117:                              ;   in Loop: Header=BB164_76 Depth=1
	v_add_co_u32_e32 v116, vcc, v54, v28
	v_addc_co_u32_e32 v117, vcc, 0, v53, vcc
	flat_load_dwordx2 v[116:117], v[116:117]
.LBB164_118:                            ;   in Loop: Header=BB164_76 Depth=1
	s_or_b64 exec, exec, s[4:5]
	s_branch .LBB164_120
.LBB164_119:                            ;   in Loop: Header=BB164_76 Depth=1
	s_waitcnt vmcnt(0) lgkmcnt(0)
	v_add_co_u32_e32 v112, vcc, v58, v28
	v_addc_co_u32_e32 v113, vcc, 0, v57, vcc
	v_add_co_u32_e32 v114, vcc, v56, v28
	v_addc_co_u32_e32 v115, vcc, 0, v55, vcc
	;; [unrolled: 2-line block ×3, first 2 shown]
	flat_load_dwordx2 v[110:111], v[118:119]
	s_nop 0
	flat_load_dwordx2 v[112:113], v[112:113]
	s_nop 0
	;; [unrolled: 2-line block ×3, first 2 shown]
	flat_load_dwordx2 v[116:117], v[116:117]
.LBB164_120:                            ;   in Loop: Header=BB164_76 Depth=1
	v_add_f64 v[12:13], v[12:13], 0
	v_add_f64 v[12:13], v[12:13], v[14:15]
	ds_read_b64 v[14:15], v131
	v_add_f64 v[20:21], v[20:21], 0
	v_add_f64 v[20:21], v[20:21], v[22:23]
	;; [unrolled: 1-line block ×7, first 2 shown]
	ds_read_b64 v[4:5], v127 offset:384
	s_waitcnt vmcnt(0) lgkmcnt(0)
	v_mul_f64 v[8:9], v[110:111], v[14:15]
	ds_write_b64 v135, v[8:9]
	v_mul_f64 v[10:11], v[112:113], v[14:15]
	ds_read_b64 v[8:9], v127 offset:392
	ds_write_b64 v135, v[10:11] offset:536
	v_mul_f64 v[12:13], v[114:115], v[14:15]
	ds_read_b64 v[10:11], v127 offset:400
	ds_write_b64 v135, v[12:13] offset:1072
	;; [unrolled: 3-line block ×3, first 2 shown]
	s_waitcnt lgkmcnt(0)
	s_barrier
	ds_read2_b64 v[14:17], v125 offset1:1
	v_add_f64 v[6:7], v[18:19], v[6:7]
	ds_read2_b64 v[18:21], v125 offset0:2 offset1:3
	v_add_f64 v[0:1], v[6:7], v[0:1]
	v_add_f64 v[0:1], v[0:1], v[2:3]
	s_waitcnt lgkmcnt(1)
	v_add_f64 v[2:3], v[14:15], 0
	v_cmp_gt_i32_e32 vcc, s21, v61
	v_add_f64 v[2:3], v[2:3], v[16:17]
	s_or_b64 s[4:5], s[12:13], vcc
	s_waitcnt lgkmcnt(0)
	v_add_f64 v[2:3], v[2:3], v[18:19]
	s_and_b64 s[8:9], s[2:3], s[4:5]
	v_add_f64 v[2:3], v[2:3], v[20:21]
	s_barrier
	ds_write2_b64 v128, v[0:1], v[118:119] offset1:16
	ds_write2_b64 v128, v[22:23], v[2:3] offset0:32 offset1:48
	s_waitcnt lgkmcnt(0)
	s_barrier
	s_and_saveexec_b64 s[4:5], s[8:9]
	s_cbranch_execz .LBB164_122
; %bb.121:                              ;   in Loop: Header=BB164_76 Depth=1
	ds_read2_b64 v[0:3], v123 offset1:1
	ds_read2_b64 v[14:17], v123 offset0:2 offset1:3
	ds_read2_b64 v[18:21], v123 offset0:4 offset1:5
	;; [unrolled: 1-line block ×3, first 2 shown]
	s_waitcnt lgkmcnt(3)
	v_add_f64 v[0:1], v[0:1], v[2:3]
	s_waitcnt lgkmcnt(2)
	v_add_f64 v[0:1], v[0:1], v[14:15]
	v_add_f64 v[0:1], v[0:1], v[16:17]
	s_waitcnt lgkmcnt(1)
	v_add_f64 v[6:7], v[0:1], v[18:19]
	ds_read2_b64 v[0:3], v123 offset0:8 offset1:9
	ds_read2_b64 v[14:17], v123 offset0:10 offset1:11
	v_add_f64 v[6:7], v[6:7], v[20:21]
	s_waitcnt lgkmcnt(2)
	v_add_f64 v[6:7], v[6:7], v[148:149]
	v_add_f64 v[6:7], v[6:7], v[150:151]
	s_waitcnt lgkmcnt(1)
	v_add_f64 v[0:1], v[6:7], v[0:1]
	v_add_f64 v[6:7], v[0:1], v[2:3]
	ds_read2_b64 v[0:3], v123 offset0:12 offset1:13
	s_waitcnt lgkmcnt(1)
	v_add_f64 v[6:7], v[6:7], v[14:15]
	v_add_f64 v[6:7], v[6:7], v[16:17]
	ds_read_b64 v[14:15], v123 offset:112
	ds_read_b64 v[18:19], v124
	s_waitcnt lgkmcnt(2)
	v_add_f64 v[0:1], v[6:7], v[0:1]
	v_add_f64 v[0:1], v[0:1], v[2:3]
	v_add_u32_e32 v2, s17, v126
	v_ashrrev_i32_e32 v3, 31, v2
	v_lshlrev_b64 v[2:3], 3, v[2:3]
	s_waitcnt lgkmcnt(1)
	v_add_f64 v[0:1], v[0:1], v[14:15]
	v_mov_b32_e32 v6, s15
	v_add_co_u32_e32 v2, vcc, s14, v2
	s_waitcnt lgkmcnt(0)
	v_add_f64 v[0:1], v[0:1], v[18:19]
	v_addc_co_u32_e32 v3, vcc, v6, v3, vcc
	global_store_dwordx2 v[2:3], v[0:1], off
.LBB164_122:                            ;   in Loop: Header=BB164_76 Depth=1
	s_or_b64 exec, exec, s[4:5]
	v_mov_b32_e32 v0, s11
	v_add_co_u32_e32 v30, vcc, s10, v30
	v_addc_co_u32_e32 v29, vcc, v29, v0, vcc
	v_add_co_u32_e32 v32, vcc, s10, v32
	v_addc_co_u32_e32 v31, vcc, v31, v0, vcc
	v_add_co_u32_e32 v34, vcc, s10, v34
	v_addc_co_u32_e32 v33, vcc, v33, v0, vcc
	v_add_co_u32_e32 v36, vcc, s10, v36
	v_addc_co_u32_e32 v35, vcc, v35, v0, vcc
	v_add_co_u32_e32 v38, vcc, s10, v38
	v_addc_co_u32_e32 v37, vcc, v37, v0, vcc
	v_add_co_u32_e32 v40, vcc, s10, v40
	v_addc_co_u32_e32 v39, vcc, v39, v0, vcc
	v_add_co_u32_e32 v42, vcc, s10, v42
	v_addc_co_u32_e32 v41, vcc, v41, v0, vcc
	v_add_co_u32_e32 v44, vcc, s10, v44
	v_addc_co_u32_e32 v43, vcc, v43, v0, vcc
	v_fmac_f64_e32 v[26:27], v[62:63], v[70:71]
	v_add_co_u32_e32 v46, vcc, s10, v46
	v_fmac_f64_e32 v[26:27], v[64:65], v[72:73]
	v_addc_co_u32_e32 v45, vcc, v45, v0, vcc
	v_fmac_f64_e32 v[26:27], v[66:67], v[74:75]
	v_add_co_u32_e32 v48, vcc, s10, v48
	v_fmac_f64_e32 v[26:27], v[68:69], v[76:77]
	v_addc_co_u32_e32 v47, vcc, v47, v0, vcc
	;; [unrolled: 4-line block ×7, first 2 shown]
	v_fmac_f64_e32 v[26:27], v[114:115], v[10:11]
	s_add_i32 s4, s6, 1
	s_add_i32 s17, s17, 64
	;; [unrolled: 1-line block ×3, first 2 shown]
	v_add_co_u32_e32 v60, vcc, s10, v60
	v_fmac_f64_e32 v[26:27], v[116:117], v[12:13]
	s_cmp_ge_u32 s5, s7
	v_addc_co_u32_e32 v59, vcc, v59, v0, vcc
	s_barrier
	s_cbranch_scc1 .LBB164_128
; %bb.123:                              ;   in Loop: Header=BB164_76 Depth=1
	s_mov_b32 s6, s4
	s_cmp_eq_u32 s16, s6
	s_cselect_b32 s21, s29, 0
	s_and_saveexec_b64 s[4:5], s[0:1]
	s_cbranch_execnz .LBB164_73
	s_branch .LBB164_76
.LBB164_124:                            ;   in Loop: Header=BB164_76 Depth=1
                                        ; implicit-def: $vgpr68_vgpr69
                                        ; implicit-def: $vgpr66_vgpr67
                                        ; implicit-def: $vgpr64_vgpr65
                                        ; implicit-def: $vgpr62_vgpr63
	s_cbranch_execnz .LBB164_86
	s_branch .LBB164_87
.LBB164_125:                            ;   in Loop: Header=BB164_76 Depth=1
                                        ; implicit-def: $vgpr84_vgpr85
                                        ; implicit-def: $vgpr82_vgpr83
                                        ; implicit-def: $vgpr80_vgpr81
                                        ; implicit-def: $vgpr78_vgpr79
	s_cbranch_execnz .LBB164_97
	s_branch .LBB164_98
.LBB164_126:                            ;   in Loop: Header=BB164_76 Depth=1
                                        ; implicit-def: $vgpr100_vgpr101
                                        ; implicit-def: $vgpr98_vgpr99
                                        ; implicit-def: $vgpr96_vgpr97
                                        ; implicit-def: $vgpr94_vgpr95
	s_cbranch_execnz .LBB164_108
	s_branch .LBB164_109
.LBB164_127:                            ;   in Loop: Header=BB164_76 Depth=1
                                        ; implicit-def: $vgpr116_vgpr117
                                        ; implicit-def: $vgpr114_vgpr115
                                        ; implicit-def: $vgpr112_vgpr113
                                        ; implicit-def: $vgpr110_vgpr111
	s_cbranch_execnz .LBB164_119
	s_branch .LBB164_120
.LBB164_128:
	s_movk_i32 s2, 0x218
	v_cmp_gt_i32_e32 vcc, s20, v61
	v_mad_u32_u24 v0, v120, s2, v28
	s_or_b64 s[2:3], s[22:23], vcc
	s_and_b64 s[0:1], s[0:1], s[2:3]
	ds_write_b64 v0, v[26:27]
	s_waitcnt lgkmcnt(0)
	s_barrier
	s_and_saveexec_b64 s[2:3], s[0:1]
	s_cbranch_execz .LBB164_130
; %bb.129:
	ds_read2_b64 v[0:3], v28 offset1:67
	ds_read2_b64 v[4:7], v28 offset0:134 offset1:201
	v_lshlrev_b64 v[8:9], 3, v[24:25]
	v_mov_b32_e32 v10, s15
	s_waitcnt lgkmcnt(1)
	v_add_f64 v[0:1], v[0:1], v[2:3]
	s_waitcnt lgkmcnt(0)
	v_add_f64 v[0:1], v[0:1], v[4:5]
	v_add_co_u32_e32 v2, vcc, s14, v8
	v_add_f64 v[0:1], v[0:1], v[6:7]
	v_addc_co_u32_e32 v3, vcc, v10, v9, vcc
	global_store_dwordx2 v[2:3], v[0:1], off
.LBB164_130:
	s_endpgm
	.section	.rodata,"a",@progbits
	.p2align	6, 0x0
	.amdhsa_kernel _ZL26rocblas_hemvn_kernel_upperILb0ELi64ELi4ELi33ELi32ELi16EldPKPKdPdEviT6_lT7_lT5_lS6_lS7_lS5_lT8_i
		.amdhsa_group_segment_fixed_size 9600
		.amdhsa_private_segment_fixed_size 0
		.amdhsa_kernarg_size 376
		.amdhsa_user_sgpr_count 6
		.amdhsa_user_sgpr_private_segment_buffer 1
		.amdhsa_user_sgpr_dispatch_ptr 0
		.amdhsa_user_sgpr_queue_ptr 0
		.amdhsa_user_sgpr_kernarg_segment_ptr 1
		.amdhsa_user_sgpr_dispatch_id 0
		.amdhsa_user_sgpr_flat_scratch_init 0
		.amdhsa_user_sgpr_kernarg_preload_length 0
		.amdhsa_user_sgpr_kernarg_preload_offset 0
		.amdhsa_user_sgpr_private_segment_size 0
		.amdhsa_uses_dynamic_stack 0
		.amdhsa_system_sgpr_private_segment_wavefront_offset 0
		.amdhsa_system_sgpr_workgroup_id_x 1
		.amdhsa_system_sgpr_workgroup_id_y 0
		.amdhsa_system_sgpr_workgroup_id_z 1
		.amdhsa_system_sgpr_workgroup_info 0
		.amdhsa_system_vgpr_workitem_id 1
		.amdhsa_next_free_vgpr 152
		.amdhsa_next_free_sgpr 42
		.amdhsa_accum_offset 152
		.amdhsa_reserve_vcc 1
		.amdhsa_reserve_flat_scratch 0
		.amdhsa_float_round_mode_32 0
		.amdhsa_float_round_mode_16_64 0
		.amdhsa_float_denorm_mode_32 3
		.amdhsa_float_denorm_mode_16_64 3
		.amdhsa_dx10_clamp 1
		.amdhsa_ieee_mode 1
		.amdhsa_fp16_overflow 0
		.amdhsa_tg_split 0
		.amdhsa_exception_fp_ieee_invalid_op 0
		.amdhsa_exception_fp_denorm_src 0
		.amdhsa_exception_fp_ieee_div_zero 0
		.amdhsa_exception_fp_ieee_overflow 0
		.amdhsa_exception_fp_ieee_underflow 0
		.amdhsa_exception_fp_ieee_inexact 0
		.amdhsa_exception_int_div_zero 0
	.end_amdhsa_kernel
	.section	.text._ZL26rocblas_hemvn_kernel_upperILb0ELi64ELi4ELi33ELi32ELi16EldPKPKdPdEviT6_lT7_lT5_lS6_lS7_lS5_lT8_i,"axG",@progbits,_ZL26rocblas_hemvn_kernel_upperILb0ELi64ELi4ELi33ELi32ELi16EldPKPKdPdEviT6_lT7_lT5_lS6_lS7_lS5_lT8_i,comdat
.Lfunc_end164:
	.size	_ZL26rocblas_hemvn_kernel_upperILb0ELi64ELi4ELi33ELi32ELi16EldPKPKdPdEviT6_lT7_lT5_lS6_lS7_lS5_lT8_i, .Lfunc_end164-_ZL26rocblas_hemvn_kernel_upperILb0ELi64ELi4ELi33ELi32ELi16EldPKPKdPdEviT6_lT7_lT5_lS6_lS7_lS5_lT8_i
                                        ; -- End function
	.section	.AMDGPU.csdata,"",@progbits
; Kernel info:
; codeLenInByte = 7368
; NumSgprs: 46
; NumVgprs: 152
; NumAgprs: 0
; TotalNumVgprs: 152
; ScratchSize: 0
; MemoryBound: 0
; FloatMode: 240
; IeeeMode: 1
; LDSByteSize: 9600 bytes/workgroup (compile time only)
; SGPRBlocks: 5
; VGPRBlocks: 18
; NumSGPRsForWavesPerEU: 46
; NumVGPRsForWavesPerEU: 152
; AccumOffset: 152
; Occupancy: 3
; WaveLimiterHint : 1
; COMPUTE_PGM_RSRC2:SCRATCH_EN: 0
; COMPUTE_PGM_RSRC2:USER_SGPR: 6
; COMPUTE_PGM_RSRC2:TRAP_HANDLER: 0
; COMPUTE_PGM_RSRC2:TGID_X_EN: 1
; COMPUTE_PGM_RSRC2:TGID_Y_EN: 0
; COMPUTE_PGM_RSRC2:TGID_Z_EN: 1
; COMPUTE_PGM_RSRC2:TIDIG_COMP_CNT: 1
; COMPUTE_PGM_RSRC3_GFX90A:ACCUM_OFFSET: 37
; COMPUTE_PGM_RSRC3_GFX90A:TG_SPLIT: 0
	.section	.text._ZL36rocblas_hemvn_kernel_upper_block_sumILi64EldPKPddEviT1_lS3_lT2_lT0_lPT3_i,"axG",@progbits,_ZL36rocblas_hemvn_kernel_upper_block_sumILi64EldPKPddEviT1_lS3_lT2_lT0_lPT3_i,comdat
	.globl	_ZL36rocblas_hemvn_kernel_upper_block_sumILi64EldPKPddEviT1_lS3_lT2_lT0_lPT3_i ; -- Begin function _ZL36rocblas_hemvn_kernel_upper_block_sumILi64EldPKPddEviT1_lS3_lT2_lT0_lPT3_i
	.p2align	8
	.type	_ZL36rocblas_hemvn_kernel_upper_block_sumILi64EldPKPddEviT1_lS3_lT2_lT0_lPT3_i,@function
_ZL36rocblas_hemvn_kernel_upper_block_sumILi64EldPKPddEviT1_lS3_lT2_lT0_lPT3_i: ; @_ZL36rocblas_hemvn_kernel_upper_block_sumILi64EldPKPddEviT1_lS3_lT2_lT0_lPT3_i
; %bb.0:
	s_load_dwordx2 s[8:9], s[4:5], 0x8
	s_load_dwordx2 s[10:11], s[4:5], 0x18
	s_waitcnt lgkmcnt(0)
	v_cmp_eq_f64_e64 s[0:1], s[8:9], 0
	v_cmp_eq_f64_e64 s[2:3], s[10:11], 1.0
	s_and_b64 s[0:1], s[0:1], s[2:3]
	s_and_b64 vcc, exec, s[0:1]
	s_cbranch_vccnz .LBB165_19
; %bb.1:
	s_load_dwordx2 s[12:13], s[4:5], 0x28
	s_load_dword s14, s[4:5], 0x0
	s_load_dwordx4 s[0:3], s[4:5], 0x30
	s_mov_b32 s16, s7
	s_mov_b32 s17, 0
	s_lshl_b64 s[18:19], s[16:17], 3
	s_waitcnt lgkmcnt(0)
	s_add_u32 s12, s12, s18
	s_addc_u32 s13, s13, s19
	s_load_dwordx2 s[18:19], s[12:13], 0x0
	s_lshl_b64 s[0:1], s[0:1], 3
	v_lshl_or_b32 v0, s6, 6, v0
	v_cmp_neq_f64_e64 s[20:21], s[8:9], 0
	s_mov_b64 s[12:13], 0
	s_waitcnt lgkmcnt(0)
	s_add_u32 s7, s18, s0
	s_addc_u32 s17, s19, s1
	s_and_b64 vcc, exec, s[20:21]
	v_cmp_gt_i32_e64 s[0:1], s14, v0
	s_cbranch_vccnz .LBB165_6
; %bb.2:
	s_mov_b64 s[18:19], 0
                                        ; implicit-def: $vgpr4_vgpr5
                                        ; implicit-def: $vgpr2_vgpr3
	s_and_saveexec_b64 s[20:21], s[0:1]
	s_cbranch_execz .LBB165_7
; %bb.3:
	v_ashrrev_i32_e32 v1, 31, v0
	v_cmp_eq_f64_e64 s[0:1], s[10:11], 0
	v_mul_lo_u32 v6, v0, s3
	v_mul_lo_u32 v1, v1, s2
	v_mad_u64_u32 v[2:3], s[12:13], v0, s2, 0
	v_pk_mov_b32 v[4:5], 0, 0
	v_add3_u32 v3, v3, v6, v1
	s_and_b64 vcc, exec, s[0:1]
	s_cbranch_vccnz .LBB165_5
; %bb.4:
	v_lshlrev_b64 v[4:5], 3, v[2:3]
	v_mov_b32_e32 v1, s17
	v_add_co_u32_e32 v4, vcc, s7, v4
	v_addc_co_u32_e32 v5, vcc, v1, v5, vcc
	global_load_dwordx2 v[4:5], v[4:5], off
	s_waitcnt vmcnt(0)
	v_mul_f64 v[4:5], v[4:5], s[10:11]
.LBB165_5:
	s_mov_b64 s[12:13], exec
	s_or_b64 exec, exec, s[20:21]
	s_and_b64 vcc, exec, s[18:19]
	s_cbranch_vccnz .LBB165_8
	s_branch .LBB165_17
.LBB165_6:
                                        ; implicit-def: $vgpr4_vgpr5
                                        ; implicit-def: $vgpr2_vgpr3
	s_cbranch_execnz .LBB165_8
	s_branch .LBB165_17
.LBB165_7:
	s_or_b64 exec, exec, s[20:21]
	s_and_b64 vcc, exec, s[18:19]
	s_cbranch_vccz .LBB165_17
.LBB165_8:
	v_cmp_gt_i32_e32 vcc, s14, v0
                                        ; implicit-def: $vgpr4_vgpr5
                                        ; implicit-def: $vgpr2_vgpr3
	s_and_saveexec_b64 s[0:1], vcc
	s_cbranch_execz .LBB165_16
; %bb.9:
	v_ashrrev_i32_e32 v1, 31, v0
	s_cmp_lt_i32 s6, 0
	v_pk_mov_b32 v[6:7], 0, 0
	s_cbranch_scc1 .LBB165_12
; %bb.10:
	s_load_dwordx2 s[18:19], s[4:5], 0x48
	s_load_dword s20, s[4:5], 0x58
	s_ashr_i32 s15, s14, 31
	s_mul_hi_u32 s4, s14, s16
	s_mul_i32 s5, s15, s16
	s_add_i32 s4, s4, s5
	s_mul_i32 s16, s14, s16
	s_waitcnt lgkmcnt(0)
	s_mul_i32 s4, s4, s20
	s_mul_hi_u32 s5, s16, s20
	s_add_i32 s5, s5, s4
	s_mul_i32 s4, s16, s20
	s_lshl_b64 s[4:5], s[4:5], 3
	s_add_u32 s4, s18, s4
	s_addc_u32 s5, s19, s5
	v_lshlrev_b64 v[2:3], 3, v[0:1]
	v_mov_b32_e32 v4, s5
	v_add_co_u32_e32 v2, vcc, s4, v2
	s_lshl_b64 s[4:5], s[14:15], 3
	v_addc_co_u32_e32 v3, vcc, v4, v3, vcc
	s_add_i32 s6, s6, 1
	v_pk_mov_b32 v[6:7], 0, 0
	v_mov_b32_e32 v4, s5
.LBB165_11:                             ; =>This Inner Loop Header: Depth=1
	global_load_dwordx2 v[8:9], v[2:3], off
	s_add_i32 s6, s6, -1
	v_add_co_u32_e32 v2, vcc, s4, v2
	v_addc_co_u32_e32 v3, vcc, v3, v4, vcc
	s_cmp_eq_u32 s6, 0
	s_waitcnt vmcnt(0)
	v_add_f64 v[6:7], v[6:7], v[8:9]
	s_cbranch_scc0 .LBB165_11
.LBB165_12:
	v_cmp_eq_f64_e64 s[14:15], s[10:11], 0
	s_mov_b64 s[4:5], 0
	s_and_b64 vcc, exec, s[14:15]
	v_mul_lo_u32 v1, v1, s2
	v_mul_lo_u32 v8, v0, s3
	s_cbranch_vccz .LBB165_20
; %bb.13:
	v_mad_u64_u32 v[2:3], s[14:15], v0, s2, 0
	v_mul_f64 v[4:5], v[6:7], s[8:9]
	v_add3_u32 v3, v3, v8, v1
	s_andn2_b64 vcc, exec, s[4:5]
	s_cbranch_vccnz .LBB165_15
.LBB165_14:
	v_mad_u64_u32 v[2:3], s[2:3], v0, s2, 0
	v_add3_u32 v3, v3, v8, v1
	v_lshlrev_b64 v[0:1], 3, v[2:3]
	v_mov_b32_e32 v4, s17
	v_add_co_u32_e32 v0, vcc, s7, v0
	v_addc_co_u32_e32 v1, vcc, v4, v1, vcc
	global_load_dwordx2 v[0:1], v[0:1], off
	s_waitcnt vmcnt(0)
	v_mul_f64 v[4:5], v[0:1], s[10:11]
	v_fmac_f64_e32 v[4:5], s[8:9], v[6:7]
.LBB165_15:
	s_or_b64 s[12:13], s[12:13], exec
.LBB165_16:
	s_or_b64 exec, exec, s[0:1]
.LBB165_17:
	s_and_saveexec_b64 s[0:1], s[12:13]
	s_cbranch_execz .LBB165_19
; %bb.18:
	v_lshlrev_b64 v[0:1], 3, v[2:3]
	v_mov_b32_e32 v2, s17
	v_add_co_u32_e32 v0, vcc, s7, v0
	v_addc_co_u32_e32 v1, vcc, v2, v1, vcc
	global_store_dwordx2 v[0:1], v[4:5], off
.LBB165_19:
	s_endpgm
.LBB165_20:
                                        ; implicit-def: $vgpr4_vgpr5
                                        ; implicit-def: $vgpr2_vgpr3
	s_branch .LBB165_14
	.section	.rodata,"a",@progbits
	.p2align	6, 0x0
	.amdhsa_kernel _ZL36rocblas_hemvn_kernel_upper_block_sumILi64EldPKPddEviT1_lS3_lT2_lT0_lPT3_i
		.amdhsa_group_segment_fixed_size 0
		.amdhsa_private_segment_fixed_size 0
		.amdhsa_kernarg_size 344
		.amdhsa_user_sgpr_count 6
		.amdhsa_user_sgpr_private_segment_buffer 1
		.amdhsa_user_sgpr_dispatch_ptr 0
		.amdhsa_user_sgpr_queue_ptr 0
		.amdhsa_user_sgpr_kernarg_segment_ptr 1
		.amdhsa_user_sgpr_dispatch_id 0
		.amdhsa_user_sgpr_flat_scratch_init 0
		.amdhsa_user_sgpr_kernarg_preload_length 0
		.amdhsa_user_sgpr_kernarg_preload_offset 0
		.amdhsa_user_sgpr_private_segment_size 0
		.amdhsa_uses_dynamic_stack 0
		.amdhsa_system_sgpr_private_segment_wavefront_offset 0
		.amdhsa_system_sgpr_workgroup_id_x 1
		.amdhsa_system_sgpr_workgroup_id_y 0
		.amdhsa_system_sgpr_workgroup_id_z 1
		.amdhsa_system_sgpr_workgroup_info 0
		.amdhsa_system_vgpr_workitem_id 0
		.amdhsa_next_free_vgpr 10
		.amdhsa_next_free_sgpr 22
		.amdhsa_accum_offset 12
		.amdhsa_reserve_vcc 1
		.amdhsa_reserve_flat_scratch 0
		.amdhsa_float_round_mode_32 0
		.amdhsa_float_round_mode_16_64 0
		.amdhsa_float_denorm_mode_32 3
		.amdhsa_float_denorm_mode_16_64 3
		.amdhsa_dx10_clamp 1
		.amdhsa_ieee_mode 1
		.amdhsa_fp16_overflow 0
		.amdhsa_tg_split 0
		.amdhsa_exception_fp_ieee_invalid_op 0
		.amdhsa_exception_fp_denorm_src 0
		.amdhsa_exception_fp_ieee_div_zero 0
		.amdhsa_exception_fp_ieee_overflow 0
		.amdhsa_exception_fp_ieee_underflow 0
		.amdhsa_exception_fp_ieee_inexact 0
		.amdhsa_exception_int_div_zero 0
	.end_amdhsa_kernel
	.section	.text._ZL36rocblas_hemvn_kernel_upper_block_sumILi64EldPKPddEviT1_lS3_lT2_lT0_lPT3_i,"axG",@progbits,_ZL36rocblas_hemvn_kernel_upper_block_sumILi64EldPKPddEviT1_lS3_lT2_lT0_lPT3_i,comdat
.Lfunc_end165:
	.size	_ZL36rocblas_hemvn_kernel_upper_block_sumILi64EldPKPddEviT1_lS3_lT2_lT0_lPT3_i, .Lfunc_end165-_ZL36rocblas_hemvn_kernel_upper_block_sumILi64EldPKPddEviT1_lS3_lT2_lT0_lPT3_i
                                        ; -- End function
	.section	.AMDGPU.csdata,"",@progbits
; Kernel info:
; codeLenInByte = 668
; NumSgprs: 26
; NumVgprs: 10
; NumAgprs: 0
; TotalNumVgprs: 10
; ScratchSize: 0
; MemoryBound: 0
; FloatMode: 240
; IeeeMode: 1
; LDSByteSize: 0 bytes/workgroup (compile time only)
; SGPRBlocks: 3
; VGPRBlocks: 1
; NumSGPRsForWavesPerEU: 26
; NumVGPRsForWavesPerEU: 10
; AccumOffset: 12
; Occupancy: 8
; WaveLimiterHint : 1
; COMPUTE_PGM_RSRC2:SCRATCH_EN: 0
; COMPUTE_PGM_RSRC2:USER_SGPR: 6
; COMPUTE_PGM_RSRC2:TRAP_HANDLER: 0
; COMPUTE_PGM_RSRC2:TGID_X_EN: 1
; COMPUTE_PGM_RSRC2:TGID_Y_EN: 0
; COMPUTE_PGM_RSRC2:TGID_Z_EN: 1
; COMPUTE_PGM_RSRC2:TIDIG_COMP_CNT: 0
; COMPUTE_PGM_RSRC3_GFX90A:ACCUM_OFFSET: 2
; COMPUTE_PGM_RSRC3_GFX90A:TG_SPLIT: 0
	.section	.text._ZL26rocblas_hemvn_kernel_upperILb0ELi64ELi4ELi33ELi32ELi16EidPKPKdPdEviT6_lT7_lT5_lS6_lS7_lS5_lT8_i,"axG",@progbits,_ZL26rocblas_hemvn_kernel_upperILb0ELi64ELi4ELi33ELi32ELi16EidPKPKdPdEviT6_lT7_lT5_lS6_lS7_lS5_lT8_i,comdat
	.globl	_ZL26rocblas_hemvn_kernel_upperILb0ELi64ELi4ELi33ELi32ELi16EidPKPKdPdEviT6_lT7_lT5_lS6_lS7_lS5_lT8_i ; -- Begin function _ZL26rocblas_hemvn_kernel_upperILb0ELi64ELi4ELi33ELi32ELi16EidPKPKdPdEviT6_lT7_lT5_lS6_lS7_lS5_lT8_i
	.p2align	8
	.type	_ZL26rocblas_hemvn_kernel_upperILb0ELi64ELi4ELi33ELi32ELi16EidPKPKdPdEviT6_lT7_lT5_lS6_lS7_lS5_lT8_i,@function
_ZL26rocblas_hemvn_kernel_upperILb0ELi64ELi4ELi33ELi32ELi16EidPKPKdPdEviT6_lT7_lT5_lS6_lS7_lS5_lT8_i: ; @_ZL26rocblas_hemvn_kernel_upperILb0ELi64ELi4ELi33ELi32ELi16EidPKPKdPdEviT6_lT7_lT5_lS6_lS7_lS5_lT8_i
; %bb.0:
	s_load_dwordx2 s[0:1], s[4:5], 0x84
	s_add_u32 s8, s4, 0x78
	s_addc_u32 s9, s5, 0
	s_waitcnt lgkmcnt(0)
	s_lshr_b32 s2, s0, 16
	s_and_b32 s0, s0, 0xffff
	s_and_b32 s1, s1, 0xffff
	s_mul_i32 s0, s2, s0
	s_mul_i32 s0, s0, s1
	s_cmpk_lg_i32 s0, 0x100
	s_cbranch_scc1 .LBB166_130
; %bb.1:
	s_load_dwordx2 s[0:1], s[4:5], 0x8
	s_load_dwordx2 s[10:11], s[4:5], 0x58
	s_waitcnt lgkmcnt(0)
	v_cmp_eq_f64_e64 s[2:3], s[0:1], 0
	v_cmp_eq_f64_e64 s[10:11], s[10:11], 1.0
	s_and_b64 s[10:11], s[2:3], s[10:11]
	s_and_b64 vcc, exec, s[10:11]
	s_cbranch_vccnz .LBB166_130
; %bb.2:
	s_mov_b32 s26, s7
	s_mov_b64 s[10:11], 0
	v_cmp_neq_f64_e64 s[12:13], s[0:1], 0
	s_and_b64 vcc, exec, s[2:3]
	s_mov_b64 s[2:3], 0
	s_cbranch_vccnz .LBB166_4
; %bb.3:
	s_load_dwordx4 s[0:3], s[4:5], 0x18
	s_mov_b32 s27, 0
	s_lshl_b64 s[14:15], s[26:27], 3
	s_waitcnt lgkmcnt(0)
	s_add_u32 s0, s0, s14
	s_addc_u32 s1, s1, s15
	s_load_dwordx2 s[0:1], s[0:1], 0x0
	s_lshl_b64 s[2:3], s[2:3], 3
	s_waitcnt lgkmcnt(0)
	s_add_u32 s2, s0, s2
	s_addc_u32 s3, s1, s3
.LBB166_4:
	v_cndmask_b32_e64 v1, 0, 1, s[12:13]
	v_cmp_ne_u32_e64 s[0:1], 1, v1
	s_andn2_b64 vcc, exec, s[12:13]
	s_cbranch_vccnz .LBB166_6
; %bb.5:
	s_load_dwordx4 s[12:15], s[4:5], 0x38
	s_mov_b32 s27, 0
	s_lshl_b64 s[10:11], s[26:27], 3
	s_waitcnt lgkmcnt(0)
	s_add_u32 s10, s12, s10
	s_addc_u32 s11, s13, s11
	s_load_dwordx2 s[10:11], s[10:11], 0x0
	s_lshl_b64 s[12:13], s[14:15], 3
	s_waitcnt lgkmcnt(0)
	s_add_u32 s10, s10, s12
	s_addc_u32 s11, s11, s13
.LBB166_6:
	s_and_b64 vcc, exec, s[0:1]
	s_cbranch_vccnz .LBB166_130
; %bb.7:
	s_load_dword s7, s[8:9], 0x0
	s_load_dword s33, s[4:5], 0x0
	s_load_dword s40, s[4:5], 0x48
	v_and_b32_e32 v26, 0x3ff, v0
	s_lshl_b32 s22, s6, 6
	v_add_u32_e32 v24, s22, v26
	s_waitcnt lgkmcnt(0)
	s_ashr_i32 s41, s33, 31
	s_lshr_b32 s1, s41, 26
	v_bfe_u32 v77, v0, 10, 10
	s_add_i32 s1, s33, s1
	v_mul_lo_u32 v0, v24, s40
	s_andn2_b32 s1, s1, 63
	v_ashrrev_i32_e32 v1, 31, v0
	s_add_i32 s0, s7, -1
	s_sub_i32 s27, s33, s1
	v_lshlrev_b64 v[0:1], 3, v[0:1]
	s_cmp_eq_u32 s6, s0
	v_mov_b32_e32 v2, s11
	v_add_co_u32_e32 v16, vcc, s10, v0
	s_cselect_b32 s18, s27, 0
	v_addc_co_u32_e32 v17, vcc, v2, v1, vcc
	v_cmp_eq_u32_e64 s[0:1], 0, v77
	s_and_saveexec_b64 s[8:9], s[0:1]
	s_cbranch_execz .LBB166_11
; %bb.8:
	s_cmp_eq_u32 s18, 0
	s_cselect_b64 s[10:11], -1, 0
	v_cmp_gt_i32_e32 vcc, s18, v26
	s_or_b64 s[12:13], s[10:11], vcc
	v_pk_mov_b32 v[0:1], 0, 0
	s_and_saveexec_b64 s[10:11], s[12:13]
	s_cbranch_execz .LBB166_10
; %bb.9:
	flat_load_dwordx2 v[0:1], v[16:17]
.LBB166_10:
	s_or_b64 exec, exec, s[10:11]
	v_lshlrev_b32_e32 v2, 3, v26
	s_waitcnt vmcnt(0) lgkmcnt(0)
	ds_write_b64 v2, v[0:1] offset:9088
.LBB166_11:
	s_or_b64 exec, exec, s[8:9]
	s_load_dword s24, s[4:5], 0x28
	s_ashr_i32 s23, s22, 31
	v_lshl_add_u32 v79, v77, 6, v26
	s_lshl_b64 s[8:9], s[22:23], 3
	v_and_b32_e32 v0, 31, v26
	v_lshrrev_b32_e32 v1, 5, v79
	s_add_u32 s8, s2, s8
	s_addc_u32 s9, s3, s9
	s_waitcnt lgkmcnt(0)
	v_mad_u64_u32 v[12:13], s[2:3], v1, s24, v[0:1]
	s_mul_i32 s2, s22, s24
	s_ashr_i32 s3, s2, 31
	s_lshl_b64 s[2:3], s[2:3], 3
	s_add_u32 s2, s2, s8
	v_ashrrev_i32_e32 v13, 31, v12
	s_addc_u32 s3, s3, s9
	v_lshlrev_b64 v[14:15], 3, v[12:13]
	s_cmp_eq_u32 s18, 0
	v_mov_b32_e32 v2, s3
	v_add_co_u32_e32 v4, vcc, s2, v14
	s_cselect_b64 s[20:21], -1, 0
	s_cmp_lg_u32 s18, 0
	v_addc_co_u32_e32 v5, vcc, v2, v15, vcc
	s_cselect_b64 s[34:35], -1, 0
	s_and_b64 vcc, exec, s[34:35]
	v_cmp_gt_i32_e64 s[2:3], s18, v0
	v_lshlrev_b32_e32 v13, 3, v0
	s_cbranch_vccz .LBB166_21
; %bb.12:
	v_sub_co_u32_e32 v2, vcc, v4, v13
	s_ashr_i32 s19, s18, 31
	v_subbrev_co_u32_e32 v3, vcc, 0, v5, vcc
	s_lshl_b64 s[8:9], s[18:19], 3
	v_mov_b32_e32 v6, s9
	v_add_co_u32_e32 v2, vcc, s8, v2
	v_addc_co_u32_e32 v3, vcc, v3, v6, vcc
	v_add_co_u32_e32 v2, vcc, -8, v2
	v_addc_co_u32_e32 v3, vcc, -1, v3, vcc
	v_pk_mov_b32 v[6:7], 0, 0
	v_cndmask_b32_e64 v3, v3, v5, s[2:3]
	v_cndmask_b32_e64 v2, v2, v4, s[2:3]
	v_cmp_gt_i32_e32 vcc, s18, v1
	v_pk_mov_b32 v[8:9], v[6:7], v[6:7] op_sel:[0,1]
	s_and_saveexec_b64 s[10:11], vcc
	s_cbranch_execz .LBB166_14
; %bb.13:
	flat_load_dwordx2 v[8:9], v[2:3]
.LBB166_14:
	s_or_b64 exec, exec, s[10:11]
	v_mul_u32_u24_e32 v10, 33, v1
	v_add_lshl_u32 v10, v10, v0, 3
	s_waitcnt vmcnt(0) lgkmcnt(0)
	ds_write_b64 v10, v[8:9]
	v_add_u32_e32 v8, 8, v1
	v_cmp_gt_i32_e32 vcc, s18, v8
	s_and_saveexec_b64 s[10:11], vcc
	s_cbranch_execz .LBB166_16
; %bb.15:
	s_lshl_b32 s12, s24, 3
	s_ashr_i32 s13, s12, 31
	s_lshl_b64 s[12:13], s[12:13], 3
	v_mov_b32_e32 v7, s13
	v_add_co_u32_e32 v6, vcc, s12, v2
	v_addc_co_u32_e32 v7, vcc, v3, v7, vcc
	flat_load_dwordx2 v[6:7], v[6:7]
.LBB166_16:
	s_or_b64 exec, exec, s[10:11]
	s_waitcnt vmcnt(0) lgkmcnt(0)
	ds_write_b64 v10, v[6:7] offset:2112
	v_add_u32_e32 v6, 16, v1
	v_cmp_gt_i32_e32 vcc, s18, v6
	v_pk_mov_b32 v[6:7], 0, 0
	v_pk_mov_b32 v[8:9], v[6:7], v[6:7] op_sel:[0,1]
	s_and_saveexec_b64 s[10:11], vcc
	s_cbranch_execz .LBB166_18
; %bb.17:
	s_lshl_b32 s12, s24, 4
	s_ashr_i32 s13, s12, 31
	s_lshl_b64 s[12:13], s[12:13], 3
	v_mov_b32_e32 v9, s13
	v_add_co_u32_e32 v8, vcc, s12, v2
	v_addc_co_u32_e32 v9, vcc, v3, v9, vcc
	flat_load_dwordx2 v[8:9], v[8:9]
.LBB166_18:
	s_or_b64 exec, exec, s[10:11]
	s_waitcnt vmcnt(0) lgkmcnt(0)
	ds_write_b64 v10, v[8:9] offset:4224
	v_add_u32_e32 v8, 24, v1
	v_cmp_gt_i32_e32 vcc, s18, v8
	s_and_saveexec_b64 s[10:11], vcc
	s_cbranch_execz .LBB166_20
; %bb.19:
	s_mul_i32 s12, s24, 24
	s_ashr_i32 s13, s12, 31
	s_lshl_b64 s[12:13], s[12:13], 3
	v_mov_b32_e32 v7, s13
	v_add_co_u32_e32 v6, vcc, s12, v2
	v_addc_co_u32_e32 v7, vcc, v3, v7, vcc
	flat_load_dwordx2 v[6:7], v[6:7]
.LBB166_20:
	s_or_b64 exec, exec, s[10:11]
	v_add_co_u32_e32 v2, vcc, v2, v13
	v_addc_co_u32_e32 v3, vcc, 0, v3, vcc
	s_waitcnt vmcnt(0) lgkmcnt(0)
	ds_write_b64 v10, v[6:7] offset:6336
	v_mov_b32_e32 v6, s9
	v_subrev_co_u32_e32 v2, vcc, s8, v2
	v_subb_co_u32_e32 v3, vcc, v3, v6, vcc
	v_add_co_u32_e32 v2, vcc, 8, v2
	v_addc_co_u32_e32 v3, vcc, 0, v3, vcc
	v_cndmask_b32_e64 v3, v3, v5, s[2:3]
	v_cndmask_b32_e64 v2, v2, v4, s[2:3]
	v_mul_u32_u24_e32 v21, 33, v1
	s_branch .LBB166_23
.LBB166_21:
                                        ; implicit-def: $vgpr2_vgpr3
	v_mul_u32_u24_e32 v21, 33, v1
	s_cbranch_execz .LBB166_23
; %bb.22:
	flat_load_dwordx2 v[2:3], v[4:5]
	s_lshl_b32 s2, s24, 3
	s_ashr_i32 s3, s2, 31
	s_lshl_b64 s[2:3], s[2:3], 3
	v_add_lshl_u32 v8, v21, v0, 3
	v_mov_b32_e32 v7, s3
	v_add_co_u32_e32 v6, vcc, s2, v4
	v_addc_co_u32_e32 v7, vcc, v5, v7, vcc
	s_ashr_i32 s25, s24, 31
	s_lshl_b64 s[2:3], s[24:25], 6
	v_mov_b32_e32 v9, s3
	s_waitcnt vmcnt(0) lgkmcnt(0)
	ds_write_b64 v8, v[2:3]
	flat_load_dwordx2 v[2:3], v[6:7]
	v_add_co_u32_e32 v6, vcc, s2, v6
	v_addc_co_u32_e32 v7, vcc, v7, v9, vcc
	s_waitcnt vmcnt(0) lgkmcnt(0)
	ds_write_b64 v8, v[2:3] offset:2112
	flat_load_dwordx2 v[2:3], v[6:7]
	v_add_co_u32_e32 v6, vcc, s2, v6
	v_addc_co_u32_e32 v7, vcc, v7, v9, vcc
	s_waitcnt vmcnt(0) lgkmcnt(0)
	ds_write_b64 v8, v[2:3] offset:4224
	flat_load_dwordx2 v[2:3], v[6:7]
	s_waitcnt vmcnt(0) lgkmcnt(0)
	ds_write_b64 v8, v[2:3] offset:6336
	v_pk_mov_b32 v[2:3], v[4:5], v[4:5] op_sel:[0,1]
.LBB166_23:
	v_lshlrev_b32_e32 v4, 2, v1
	v_mul_u32_u24_e32 v20, 33, v0
	v_cmp_gt_u32_e64 s[16:17], v4, v0
	v_add_lshl_u32 v18, v4, v20, 3
	s_waitcnt lgkmcnt(0)
	s_barrier
	s_and_saveexec_b64 s[2:3], s[16:17]
	s_cbranch_execz .LBB166_25
; %bb.24:
	v_mul_u32_u24_e32 v5, 0x84, v1
	v_add_lshl_u32 v5, v5, v0, 3
	ds_read_b64 v[6:7], v5
	s_waitcnt lgkmcnt(0)
	ds_write_b64 v18, v[6:7]
.LBB166_25:
	s_or_b64 exec, exec, s[2:3]
	v_cmp_ge_u32_e64 s[8:9], v4, v0
	s_and_saveexec_b64 s[2:3], s[8:9]
	s_cbranch_execz .LBB166_27
; %bb.26:
	v_or_b32_e32 v5, 1, v4
	v_mul_u32_u24_e32 v5, 33, v5
	v_add_lshl_u32 v5, v5, v0, 3
	ds_read_b64 v[6:7], v5
	s_waitcnt lgkmcnt(0)
	ds_write_b64 v18, v[6:7] offset:8
.LBB166_27:
	s_or_b64 exec, exec, s[2:3]
	v_or_b32_e32 v5, 2, v4
	v_cmp_gt_u32_e64 s[10:11], v5, v0
	s_and_saveexec_b64 s[2:3], s[10:11]
	s_cbranch_execz .LBB166_29
; %bb.28:
	v_mul_u32_u24_e32 v5, 33, v5
	v_add_lshl_u32 v5, v5, v0, 3
	ds_read_b64 v[6:7], v5
	s_waitcnt lgkmcnt(0)
	ds_write_b64 v18, v[6:7] offset:16
.LBB166_29:
	s_or_b64 exec, exec, s[2:3]
	v_or_b32_e32 v5, 3, v4
	v_cmp_gt_u32_e64 s[12:13], v5, v0
	v_mad_u32_u24 v5, v5, 33, v0
	v_lshlrev_b32_e32 v30, 3, v5
	s_and_saveexec_b64 s[2:3], s[12:13]
	s_cbranch_execz .LBB166_31
; %bb.30:
	ds_read_b64 v[6:7], v30
	s_waitcnt lgkmcnt(0)
	ds_write_b64 v18, v[6:7] offset:24
.LBB166_31:
	s_or_b64 exec, exec, s[2:3]
	v_mul_u32_u24_e32 v5, 0x84, v1
	v_add_lshl_u32 v22, v5, v0, 3
	s_waitcnt lgkmcnt(0)
	s_barrier
	v_lshlrev_b32_e32 v19, 3, v4
	ds_read_b64 v[36:37], v22
	ds_read_b128 v[4:7], v19 offset:9088
	v_add_u32_e32 v31, 0xfffffdf0, v30
	ds_read2_b64 v[8:11], v31 offset1:33
	ds_read_b128 v[32:35], v19 offset:9104
	ds_read_b64 v[38:39], v30
	v_pk_mov_b32 v[28:29], 0, 0
	v_add_lshl_u32 v27, v1, v20, 3
	s_waitcnt lgkmcnt(3)
	v_fma_f64 v[4:5], v[36:37], v[4:5], 0
	s_waitcnt lgkmcnt(2)
	v_fmac_f64_e32 v[4:5], v[8:9], v[6:7]
	s_waitcnt lgkmcnt(1)
	v_fmac_f64_e32 v[4:5], v[10:11], v[32:33]
	;; [unrolled: 2-line block ×3, first 2 shown]
	v_cmp_gt_u32_e64 s[2:3], 32, v79
	v_lshlrev_b32_e32 v25, 3, v20
	s_barrier
	ds_write_b64 v27, v[4:5]
	s_waitcnt lgkmcnt(0)
	s_barrier
	s_and_saveexec_b64 s[14:15], s[2:3]
	s_cbranch_execz .LBB166_33
; %bb.32:
	ds_read2_b64 v[4:7], v25 offset1:1
	ds_read2_b64 v[8:11], v25 offset0:2 offset1:3
	ds_read2_b64 v[32:35], v25 offset0:4 offset1:5
	s_waitcnt lgkmcnt(2)
	v_add_f64 v[28:29], v[4:5], v[6:7]
	ds_read2_b64 v[4:7], v25 offset0:6 offset1:7
	s_waitcnt lgkmcnt(2)
	v_add_f64 v[8:9], v[28:29], v[8:9]
	v_add_f64 v[8:9], v[8:9], v[10:11]
	s_waitcnt lgkmcnt(1)
	v_add_f64 v[8:9], v[8:9], v[32:33]
	v_add_f64 v[8:9], v[8:9], v[34:35]
	;; [unrolled: 3-line block ×3, first 2 shown]
.LBB166_33:
	s_or_b64 exec, exec, s[14:15]
	s_lshl_b32 s30, s24, 5
	s_ashr_i32 s31, s30, 31
	s_lshl_b64 s[28:29], s[30:31], 3
	v_mov_b32_e32 v4, s29
	v_add_co_u32_e32 v6, vcc, s28, v2
	v_addc_co_u32_e32 v7, vcc, v3, v4, vcc
	v_add_co_u32_e32 v2, vcc, 0x100, v6
	v_addc_co_u32_e32 v3, vcc, 0, v7, vcc
	s_and_b64 vcc, exec, s[34:35]
	s_barrier
	s_cbranch_vccz .LBB166_43
; %bb.34:
	v_or_b32_e32 v4, 32, v0
	v_lshlrev_b32_e32 v5, 3, v4
	v_sub_co_u32_e32 v5, vcc, v2, v5
	s_ashr_i32 s19, s18, 31
	v_subbrev_co_u32_e32 v8, vcc, 0, v3, vcc
	s_lshl_b64 s[36:37], s[18:19], 3
	v_mov_b32_e32 v9, s37
	v_add_co_u32_e32 v5, vcc, s36, v5
	v_addc_co_u32_e32 v8, vcc, v8, v9, vcc
	v_add_co_u32_e32 v9, vcc, -8, v5
	v_cmp_gt_i32_e64 s[14:15], s18, v4
	v_addc_co_u32_e32 v5, vcc, -1, v8, vcc
	v_cndmask_b32_e64 v4, v9, v2, s[14:15]
	s_sub_i32 s19, s18, 32
	v_pk_mov_b32 v[8:9], 0, 0
	v_cndmask_b32_e64 v5, v5, v3, s[14:15]
	v_cmp_gt_i32_e32 vcc, s19, v1
	v_pk_mov_b32 v[10:11], v[8:9], v[8:9] op_sel:[0,1]
	s_and_saveexec_b64 s[38:39], vcc
	s_cbranch_execz .LBB166_36
; %bb.35:
	flat_load_dwordx2 v[10:11], v[4:5]
.LBB166_36:
	s_or_b64 exec, exec, s[38:39]
	v_add_lshl_u32 v23, v21, v0, 3
	s_waitcnt vmcnt(0) lgkmcnt(0)
	ds_write_b64 v23, v[10:11]
	v_add_u32_e32 v10, 8, v1
	v_cmp_gt_i32_e32 vcc, s19, v10
	s_and_saveexec_b64 s[38:39], vcc
	s_cbranch_execz .LBB166_38
; %bb.37:
	s_lshl_b32 s42, s24, 3
	s_ashr_i32 s43, s42, 31
	s_lshl_b64 s[42:43], s[42:43], 3
	v_mov_b32_e32 v9, s43
	v_add_co_u32_e32 v8, vcc, s42, v4
	v_addc_co_u32_e32 v9, vcc, v5, v9, vcc
	flat_load_dwordx2 v[8:9], v[8:9]
.LBB166_38:
	s_or_b64 exec, exec, s[38:39]
	s_waitcnt vmcnt(0) lgkmcnt(0)
	ds_write_b64 v23, v[8:9] offset:2112
	v_add_u32_e32 v8, 16, v1
	v_cmp_gt_i32_e32 vcc, s19, v8
	v_pk_mov_b32 v[8:9], 0, 0
	v_pk_mov_b32 v[10:11], v[8:9], v[8:9] op_sel:[0,1]
	s_and_saveexec_b64 s[38:39], vcc
	s_cbranch_execz .LBB166_40
; %bb.39:
	s_lshl_b32 s42, s24, 4
	s_ashr_i32 s43, s42, 31
	s_lshl_b64 s[42:43], s[42:43], 3
	v_mov_b32_e32 v11, s43
	v_add_co_u32_e32 v10, vcc, s42, v4
	v_addc_co_u32_e32 v11, vcc, v5, v11, vcc
	flat_load_dwordx2 v[10:11], v[10:11]
.LBB166_40:
	s_or_b64 exec, exec, s[38:39]
	s_waitcnt vmcnt(0) lgkmcnt(0)
	ds_write_b64 v23, v[10:11] offset:4224
	v_add_u32_e32 v10, 24, v1
	v_cmp_gt_i32_e32 vcc, s19, v10
	s_and_saveexec_b64 s[38:39], vcc
	s_cbranch_execz .LBB166_42
; %bb.41:
	s_mul_i32 s42, s24, 24
	s_ashr_i32 s43, s42, 31
	s_lshl_b64 s[42:43], s[42:43], 3
	v_mov_b32_e32 v9, s43
	v_add_co_u32_e32 v8, vcc, s42, v4
	v_addc_co_u32_e32 v9, vcc, v5, v9, vcc
	flat_load_dwordx2 v[8:9], v[8:9]
.LBB166_42:
	s_or_b64 exec, exec, s[38:39]
	v_add_co_u32_e32 v4, vcc, v4, v13
	v_addc_co_u32_e32 v5, vcc, 0, v5, vcc
	s_waitcnt vmcnt(0) lgkmcnt(0)
	ds_write_b64 v23, v[8:9] offset:6336
	v_mov_b32_e32 v8, s37
	v_subrev_co_u32_e32 v4, vcc, s36, v4
	v_subb_co_u32_e32 v5, vcc, v5, v8, vcc
	v_add_co_u32_e32 v4, vcc, 0x108, v4
	v_addc_co_u32_e32 v5, vcc, 0, v5, vcc
	v_cndmask_b32_e64 v5, v5, v3, s[14:15]
	v_cndmask_b32_e64 v4, v4, v2, s[14:15]
	s_branch .LBB166_45
.LBB166_43:
                                        ; implicit-def: $vgpr4_vgpr5
	s_cbranch_execz .LBB166_45
; %bb.44:
	flat_load_dwordx2 v[4:5], v[6:7] offset:256
	s_lshl_b32 s14, s24, 3
	s_ashr_i32 s15, s14, 31
	s_lshl_b64 s[14:15], s[14:15], 3
	v_add_lshl_u32 v8, v21, v0, 3
	v_mov_b32_e32 v9, s15
	v_add_co_u32_e32 v6, vcc, s14, v6
	v_addc_co_u32_e32 v7, vcc, v7, v9, vcc
	s_ashr_i32 s25, s24, 31
	s_lshl_b64 s[14:15], s[24:25], 6
	v_mov_b32_e32 v9, s15
	s_waitcnt vmcnt(0) lgkmcnt(0)
	ds_write_b64 v8, v[4:5]
	flat_load_dwordx2 v[4:5], v[6:7] offset:256
	v_add_co_u32_e32 v6, vcc, s14, v6
	v_addc_co_u32_e32 v7, vcc, v7, v9, vcc
	s_waitcnt vmcnt(0) lgkmcnt(0)
	ds_write_b64 v8, v[4:5] offset:2112
	flat_load_dwordx2 v[4:5], v[6:7] offset:256
	v_add_co_u32_e32 v6, vcc, s14, v6
	v_addc_co_u32_e32 v7, vcc, v7, v9, vcc
	s_waitcnt vmcnt(0) lgkmcnt(0)
	ds_write_b64 v8, v[4:5] offset:4224
	flat_load_dwordx2 v[4:5], v[6:7] offset:256
	s_waitcnt vmcnt(0) lgkmcnt(0)
	ds_write_b64 v8, v[4:5] offset:6336
	v_pk_mov_b32 v[4:5], v[2:3], v[2:3] op_sel:[0,1]
.LBB166_45:
	s_waitcnt lgkmcnt(0)
	s_barrier
	s_and_saveexec_b64 s[14:15], s[16:17]
	s_cbranch_execnz .LBB166_62
; %bb.46:
	s_or_b64 exec, exec, s[14:15]
	s_and_saveexec_b64 s[14:15], s[8:9]
	s_cbranch_execnz .LBB166_63
.LBB166_47:
	s_or_b64 exec, exec, s[14:15]
	s_and_saveexec_b64 s[8:9], s[10:11]
	s_cbranch_execnz .LBB166_64
.LBB166_48:
	s_or_b64 exec, exec, s[8:9]
	v_add_u32_e32 v32, 0x2380, v19
	s_and_saveexec_b64 s[8:9], s[12:13]
	s_cbranch_execz .LBB166_50
.LBB166_49:
	ds_read_b64 v[2:3], v30
	s_waitcnt lgkmcnt(0)
	ds_write_b64 v18, v[2:3] offset:24
.LBB166_50:
	s_or_b64 exec, exec, s[8:9]
	s_waitcnt lgkmcnt(0)
	s_barrier
	ds_read_b64 v[2:3], v22
	ds_read_b128 v[6:9], v32 offset:256
	ds_read2_b64 v[34:37], v31 offset1:33
	ds_read_b128 v[38:41], v32 offset:272
	ds_read_b64 v[10:11], v30
	v_cmp_eq_u32_e64 s[8:9], 1, v1
	s_waitcnt lgkmcnt(3)
	v_fma_f64 v[2:3], v[2:3], v[6:7], 0
	s_waitcnt lgkmcnt(2)
	v_fmac_f64_e32 v[2:3], v[34:35], v[8:9]
	s_waitcnt lgkmcnt(1)
	v_fmac_f64_e32 v[2:3], v[36:37], v[38:39]
	;; [unrolled: 2-line block ×3, first 2 shown]
	s_barrier
	ds_write_b64 v27, v[2:3]
	s_waitcnt lgkmcnt(0)
	s_barrier
	s_and_saveexec_b64 s[10:11], s[8:9]
	s_cbranch_execz .LBB166_52
; %bb.51:
	ds_read2_b64 v[6:9], v25 offset1:1
	ds_read2_b64 v[34:37], v25 offset0:2 offset1:3
	ds_read2_b64 v[38:41], v25 offset0:4 offset1:5
	s_waitcnt lgkmcnt(2)
	v_add_f64 v[2:3], v[6:7], v[8:9]
	ds_read2_b64 v[6:9], v25 offset0:6 offset1:7
	s_waitcnt lgkmcnt(2)
	v_add_f64 v[2:3], v[2:3], v[34:35]
	v_add_f64 v[2:3], v[2:3], v[36:37]
	s_waitcnt lgkmcnt(1)
	v_add_f64 v[2:3], v[2:3], v[38:39]
	v_add_f64 v[2:3], v[2:3], v[40:41]
	;; [unrolled: 3-line block ×3, first 2 shown]
.LBB166_52:
	s_or_b64 exec, exec, s[10:11]
	v_add_co_u32_e32 v2, vcc, 0xffffff00, v4
	v_addc_co_u32_e32 v3, vcc, -1, v5, vcc
	s_and_b64 vcc, exec, s[34:35]
	s_barrier
	s_cbranch_vccz .LBB166_65
; %bb.53:
	v_sub_co_u32_e32 v4, vcc, v2, v13
	s_ashr_i32 s19, s18, 31
	v_subbrev_co_u32_e32 v5, vcc, 0, v3, vcc
	s_lshl_b64 s[12:13], s[18:19], 3
	v_mov_b32_e32 v6, s13
	v_add_co_u32_e32 v4, vcc, s12, v4
	v_addc_co_u32_e32 v5, vcc, v5, v6, vcc
	v_add_co_u32_e32 v4, vcc, -8, v4
	v_addc_co_u32_e32 v5, vcc, -1, v5, vcc
	v_cmp_gt_i32_e32 vcc, s18, v0
	s_sub_i32 s16, s18, 32
	v_pk_mov_b32 v[6:7], 0, 0
	v_cndmask_b32_e32 v5, v5, v3, vcc
	v_cndmask_b32_e32 v4, v4, v2, vcc
	v_cmp_gt_i32_e64 s[10:11], s16, v1
	v_pk_mov_b32 v[8:9], v[6:7], v[6:7] op_sel:[0,1]
	s_and_saveexec_b64 s[14:15], s[10:11]
	s_cbranch_execz .LBB166_55
; %bb.54:
	flat_load_dwordx2 v[8:9], v[4:5]
.LBB166_55:
	s_or_b64 exec, exec, s[14:15]
	v_add_u32_e32 v10, 8, v1
	v_add_lshl_u32 v18, v21, v0, 3
	v_cmp_gt_i32_e64 s[10:11], s16, v10
	s_waitcnt vmcnt(0) lgkmcnt(0)
	ds_write_b64 v18, v[8:9]
	s_and_saveexec_b64 s[14:15], s[10:11]
	s_cbranch_execz .LBB166_57
; %bb.56:
	s_lshl_b32 s10, s24, 3
	s_ashr_i32 s11, s10, 31
	s_lshl_b64 s[10:11], s[10:11], 3
	v_mov_b32_e32 v7, s11
	v_add_co_u32_e64 v6, s[10:11], s10, v4
	v_addc_co_u32_e64 v7, s[10:11], v5, v7, s[10:11]
	flat_load_dwordx2 v[6:7], v[6:7]
.LBB166_57:
	s_or_b64 exec, exec, s[14:15]
	s_waitcnt vmcnt(0) lgkmcnt(0)
	ds_write_b64 v18, v[6:7] offset:2112
	v_add_u32_e32 v11, 16, v1
	v_pk_mov_b32 v[6:7], 0, 0
	v_cmp_gt_i32_e64 s[10:11], s16, v11
	v_pk_mov_b32 v[8:9], v[6:7], v[6:7] op_sel:[0,1]
	s_and_saveexec_b64 s[14:15], s[10:11]
	s_cbranch_execz .LBB166_59
; %bb.58:
	s_lshl_b32 s10, s24, 4
	s_ashr_i32 s11, s10, 31
	s_lshl_b64 s[10:11], s[10:11], 3
	v_mov_b32_e32 v9, s11
	v_add_co_u32_e64 v8, s[10:11], s10, v4
	v_addc_co_u32_e64 v9, s[10:11], v5, v9, s[10:11]
	flat_load_dwordx2 v[8:9], v[8:9]
.LBB166_59:
	s_or_b64 exec, exec, s[14:15]
	s_waitcnt vmcnt(0) lgkmcnt(0)
	ds_write_b64 v18, v[8:9] offset:4224
	v_add_u32_e32 v8, 24, v1
	v_cmp_gt_i32_e64 s[10:11], s16, v8
	s_and_saveexec_b64 s[14:15], s[10:11]
	s_cbranch_execz .LBB166_61
; %bb.60:
	s_mul_i32 s10, s24, 24
	s_ashr_i32 s11, s10, 31
	s_lshl_b64 s[10:11], s[10:11], 3
	v_mov_b32_e32 v7, s11
	v_add_co_u32_e64 v6, s[10:11], s10, v4
	v_addc_co_u32_e64 v7, s[10:11], v5, v7, s[10:11]
	flat_load_dwordx2 v[6:7], v[6:7]
.LBB166_61:
	s_or_b64 exec, exec, s[14:15]
	v_add_co_u32_e64 v4, s[10:11], v4, v13
	v_addc_co_u32_e64 v5, s[10:11], 0, v5, s[10:11]
	s_waitcnt vmcnt(0) lgkmcnt(0)
	ds_write_b64 v18, v[6:7] offset:6336
	v_mov_b32_e32 v6, s13
	v_subrev_co_u32_e64 v4, s[10:11], s12, v4
	v_subb_co_u32_e64 v5, s[10:11], v5, v6, s[10:11]
	v_add_co_u32_e64 v4, s[10:11], 8, v4
	v_addc_co_u32_e64 v5, s[10:11], 0, v5, s[10:11]
	v_cndmask_b32_e32 v19, v5, v3, vcc
	v_cndmask_b32_e32 v18, v4, v2, vcc
	s_branch .LBB166_67
.LBB166_62:
	ds_read_b64 v[2:3], v22
	s_waitcnt lgkmcnt(0)
	ds_write_b64 v18, v[2:3]
	s_or_b64 exec, exec, s[14:15]
	s_and_saveexec_b64 s[14:15], s[8:9]
	s_cbranch_execz .LBB166_47
.LBB166_63:
	ds_read_b64 v[2:3], v31
	s_waitcnt lgkmcnt(0)
	ds_write_b64 v18, v[2:3] offset:8
	s_or_b64 exec, exec, s[14:15]
	s_and_saveexec_b64 s[8:9], s[10:11]
	s_cbranch_execz .LBB166_48
.LBB166_64:
	ds_read_b64 v[2:3], v31 offset:264
	s_waitcnt lgkmcnt(0)
	ds_write_b64 v18, v[2:3] offset:16
	s_or_b64 exec, exec, s[8:9]
	v_add_u32_e32 v32, 0x2380, v19
	s_and_saveexec_b64 s[8:9], s[12:13]
	s_cbranch_execnz .LBB166_49
	s_branch .LBB166_50
.LBB166_65:
                                        ; implicit-def: $vgpr18_vgpr19
                                        ; implicit-def: $vgpr10
                                        ; implicit-def: $vgpr11
                                        ; implicit-def: $vgpr8
	s_cbranch_execz .LBB166_67
; %bb.66:
	flat_load_dwordx2 v[4:5], v[2:3]
	s_lshl_b32 s10, s24, 3
	s_ashr_i32 s11, s10, 31
	s_lshl_b64 s[10:11], s[10:11], 3
	v_add_lshl_u32 v0, v21, v0, 3
	v_mov_b32_e32 v7, s11
	v_add_co_u32_e32 v6, vcc, s10, v2
	v_addc_co_u32_e32 v7, vcc, v3, v7, vcc
	s_ashr_i32 s25, s24, 31
	s_lshl_b64 s[10:11], s[24:25], 6
	v_mov_b32_e32 v8, s11
	v_add_u32_e32 v10, 8, v1
	v_add_u32_e32 v11, 16, v1
	v_pk_mov_b32 v[18:19], v[2:3], v[2:3] op_sel:[0,1]
	s_waitcnt vmcnt(0) lgkmcnt(0)
	ds_write_b64 v0, v[4:5]
	flat_load_dwordx2 v[4:5], v[6:7]
	v_add_co_u32_e32 v6, vcc, s10, v6
	v_addc_co_u32_e32 v7, vcc, v7, v8, vcc
	s_waitcnt vmcnt(0) lgkmcnt(0)
	ds_write_b64 v0, v[4:5] offset:2112
	flat_load_dwordx2 v[4:5], v[6:7]
	v_add_co_u32_e32 v6, vcc, s10, v6
	v_addc_co_u32_e32 v7, vcc, v7, v8, vcc
	v_add_u32_e32 v8, 24, v1
	s_waitcnt vmcnt(0) lgkmcnt(0)
	ds_write_b64 v0, v[4:5] offset:4224
	flat_load_dwordx2 v[4:5], v[6:7]
	s_waitcnt vmcnt(0) lgkmcnt(0)
	ds_write_b64 v0, v[4:5] offset:6336
.LBB166_67:
	v_lshlrev_b32_e32 v0, 3, v1
	s_waitcnt lgkmcnt(0)
	s_barrier
	v_add_lshl_u32 v1, v10, v20, 3
	v_lshlrev_b32_e32 v2, 3, v10
	v_add_lshl_u32 v3, v11, v20, 3
	ds_read_b64 v[34:35], v0 offset:9088
	ds_read_b64 v[36:37], v1
	ds_read_b64 v[38:39], v2 offset:9088
	ds_read_b64 v[40:41], v3
	v_add_lshl_u32 v20, v8, v20, 3
	v_lshlrev_b32_e32 v21, 3, v8
	v_lshlrev_b32_e32 v13, 3, v11
	ds_read_b64 v[22:23], v22
	ds_read_b128 v[8:11], v32 offset:256
	ds_read_b64 v[42:43], v27
	ds_read_b128 v[0:3], v32 offset:272
	ds_read2_b64 v[4:7], v31 offset1:33
	ds_read_b64 v[32:33], v13 offset:9088
	ds_read_b64 v[44:45], v20
	ds_read_b64 v[46:47], v21 offset:9088
	ds_read_b64 v[20:21], v30
	s_waitcnt lgkmcnt(6)
	v_fma_f64 v[30:31], v[42:43], v[34:35], 0
	v_fmac_f64_e32 v[30:31], v[36:37], v[38:39]
	s_waitcnt lgkmcnt(3)
	v_fmac_f64_e32 v[30:31], v[40:41], v[32:33]
	s_waitcnt lgkmcnt(1)
	;; [unrolled: 2-line block ×3, first 2 shown]
	s_barrier
	ds_write_b64 v27, v[30:31]
	s_waitcnt lgkmcnt(0)
	s_barrier
	s_and_saveexec_b64 s[10:11], s[8:9]
	s_cbranch_execz .LBB166_69
; %bb.68:
	ds_read2_b64 v[30:33], v25 offset1:1
	ds_read2_b64 v[34:37], v25 offset0:2 offset1:3
	s_waitcnt lgkmcnt(1)
	v_add_f64 v[38:39], v[28:29], v[30:31]
	ds_read2_b64 v[28:31], v25 offset0:4 offset1:5
	v_add_f64 v[32:33], v[38:39], v[32:33]
	ds_read2_b64 v[38:41], v25 offset0:6 offset1:7
	s_waitcnt lgkmcnt(2)
	v_add_f64 v[32:33], v[32:33], v[34:35]
	v_add_f64 v[32:33], v[32:33], v[36:37]
	s_waitcnt lgkmcnt(1)
	v_add_f64 v[28:29], v[32:33], v[28:29]
	v_add_f64 v[28:29], v[28:29], v[30:31]
	;; [unrolled: 3-line block ×3, first 2 shown]
.LBB166_69:
	s_or_b64 exec, exec, s[10:11]
	v_fma_f64 v[8:9], v[22:23], v[8:9], 0
	v_fmac_f64_e32 v[8:9], v[4:5], v[10:11]
	v_fmac_f64_e32 v[8:9], v[6:7], v[0:1]
	;; [unrolled: 1-line block ×3, first 2 shown]
	s_barrier
	ds_write_b64 v27, v[8:9]
	s_waitcnt lgkmcnt(0)
	s_barrier
	s_and_saveexec_b64 s[8:9], s[2:3]
	s_cbranch_execz .LBB166_71
; %bb.70:
	ds_read2_b64 v[0:3], v25 offset1:1
	ds_read2_b64 v[4:7], v25 offset0:2 offset1:3
	ds_read2_b64 v[8:11], v25 offset0:4 offset1:5
	s_waitcnt lgkmcnt(2)
	v_add_f64 v[0:1], v[28:29], v[0:1]
	v_add_f64 v[20:21], v[0:1], v[2:3]
	ds_read2_b64 v[0:3], v25 offset0:6 offset1:7
	s_waitcnt lgkmcnt(2)
	v_add_f64 v[4:5], v[20:21], v[4:5]
	v_add_f64 v[4:5], v[4:5], v[6:7]
	s_waitcnt lgkmcnt(1)
	v_add_f64 v[4:5], v[4:5], v[8:9]
	v_add_f64 v[4:5], v[4:5], v[10:11]
	s_waitcnt lgkmcnt(0)
	v_add_f64 v[0:1], v[4:5], v[0:1]
	v_add_f64 v[28:29], v[0:1], v[2:3]
.LBB166_71:
	s_or_b64 exec, exec, s[8:9]
	s_load_dwordx2 s[2:3], s[4:5], 0x68
	s_mul_hi_u32 s4, s33, s26
	s_mul_i32 s41, s41, s26
	s_add_i32 s4, s4, s41
	s_mul_i32 s8, s33, s26
	s_mul_i32 s4, s4, s7
	s_mul_hi_u32 s5, s8, s7
	s_add_i32 s5, s5, s4
	s_mul_i32 s4, s8, s7
	s_lshl_b64 s[4:5], s[4:5], 3
	s_waitcnt lgkmcnt(0)
	s_add_u32 s4, s2, s4
	s_addc_u32 s5, s3, s5
	s_mul_hi_i32 s3, s33, s6
	s_mul_i32 s2, s33, s6
	s_lshl_b64 s[2:3], s[2:3], 3
	s_add_u32 s19, s4, s2
	s_addc_u32 s23, s5, s3
	s_add_i32 s8, s6, 1
	s_cmp_ge_u32 s8, s7
	v_lshlrev_b32_e32 v140, 3, v26
	s_barrier
	s_cbranch_scc1 .LBB166_128
; %bb.72:
	s_mul_i32 s2, s22, s40
	s_ashr_i32 s3, s2, 31
	s_lshl_b64 s[2:3], s[2:3], 3
	v_mov_b32_e32 v0, s3
	v_subrev_co_u32_e32 v142, vcc, s2, v16
	v_subb_co_u32_e32 v143, vcc, v17, v0, vcc
	v_lshlrev_b32_e32 v141, 2, v77
	v_mov_b32_e32 v0, s29
	v_add_co_u32_e32 v30, vcc, s28, v18
	v_addc_co_u32_e32 v25, vcc, v19, v0, vcc
	v_mad_u64_u32 v[0:1], s[2:3], v141, s24, v[26:27]
	s_lshl_b32 s33, s40, 6
	s_lshl_b32 s2, s24, 4
	s_ashr_i32 s25, s24, 31
	s_lshl_b32 s14, s24, 1
	s_mul_i32 s34, s24, 3
	s_mul_i32 s40, s40, s8
	s_add_i32 s26, s7, -2
	s_ashr_i32 s3, s2, 31
	s_ashr_i32 s15, s14, 31
	;; [unrolled: 1-line block ×3, first 2 shown]
	s_lshl_b64 s[4:5], s[24:25], 3
	s_lshl_b32 s10, s40, 6
	s_lshl_b64 s[16:17], s[24:25], 4
	v_sub_co_u32_e32 v144, vcc, 0, v14
	s_add_u32 s11, s16, s28
	v_subb_co_u32_e32 v145, vcc, 0, v15, vcc
	s_addc_u32 s36, s17, s29
	v_ashrrev_i32_e32 v1, 31, v0
	v_mov_b32_e32 v4, s36
	v_add_co_u32_e32 v32, vcc, s11, v18
	v_lshlrev_b64 v[2:3], 3, v[0:1]
	v_addc_co_u32_e32 v27, vcc, v19, v4, vcc
	v_mad_i64_i32 v[34:35], s[8:9], v12, -8, v[2:3]
	v_mov_b32_e32 v3, s31
	v_add_co_u32_e32 v2, vcc, s30, v0
	v_addc_co_u32_e32 v3, vcc, v3, v1, vcc
	v_lshlrev_b64 v[2:3], 3, v[2:3]
	s_lshl_b64 s[12:13], s[2:3], 5
	v_mad_i64_i32 v[4:5], s[8:9], s24, 24, v[2:3]
	v_add_co_u32_e32 v36, vcc, v18, v4
	s_add_u32 s39, s4, s28
	v_addc_co_u32_e32 v31, vcc, v19, v5, vcc
	s_addc_u32 s40, s5, s29
	s_lshl_b64 s[8:9], s[14:15], 3
	v_mov_b32_e32 v4, s40
	v_add_co_u32_e32 v38, vcc, s39, v18
	s_add_u32 s14, s28, s8
	v_addc_co_u32_e32 v33, vcc, v19, v4, vcc
	s_addc_u32 s15, s29, s9
	v_mov_b32_e32 v4, s15
	v_add_co_u32_e32 v40, vcc, s14, v18
	s_lshl_b64 s[14:15], s[34:35], 3
	s_add_u32 s34, s28, s14
	v_addc_co_u32_e32 v37, vcc, v19, v4, vcc
	s_addc_u32 s35, s29, s15
	v_mov_b32_e32 v4, s35
	v_add_co_u32_e32 v42, vcc, s34, v18
	s_lshl_b64 s[34:35], s[2:3], 3
	s_add_u32 s41, s11, s34
	v_addc_co_u32_e32 v39, vcc, v19, v4, vcc
	s_addc_u32 s42, s36, s35
	v_mov_b32_e32 v4, s42
	v_add_co_u32_e32 v44, vcc, s41, v18
	s_add_u32 s30, s30, s2
	v_addc_co_u32_e32 v41, vcc, v19, v4, vcc
	s_addc_u32 s31, s31, s3
	v_mov_b32_e32 v4, s31
	v_add_co_u32_e32 v0, vcc, s30, v0
	v_addc_co_u32_e32 v1, vcc, v4, v1, vcc
	v_lshlrev_b64 v[0:1], 3, v[0:1]
	v_mad_i64_i32 v[0:1], s[30:31], s24, 24, v[0:1]
	v_add_co_u32_e32 v46, vcc, v18, v0
	s_add_u32 s30, s39, s34
	v_addc_co_u32_e32 v43, vcc, v19, v1, vcc
	s_addc_u32 s31, s40, s35
	v_mov_b32_e32 v0, s31
	v_add_co_u32_e32 v48, vcc, s30, v18
	s_add_u32 s30, s28, s34
	v_addc_co_u32_e32 v45, vcc, v19, v0, vcc
	s_addc_u32 s31, s29, s35
	v_mov_b32_e32 v0, s31
	v_add_co_u32_e32 v50, vcc, s30, v18
	s_add_u32 s34, s30, s8
	v_addc_co_u32_e32 v47, vcc, v19, v0, vcc
	s_addc_u32 s35, s31, s9
	v_add_co_u32_e32 v52, vcc, s34, v18
	s_add_u32 s34, s30, s14
	v_mov_b32_e32 v0, s35
	s_addc_u32 s35, s31, s15
	s_lshl_b64 s[30:31], s[2:3], 4
	s_add_u32 s11, s11, s30
	s_mul_i32 s38, s24, 24
	s_addc_u32 s36, s36, s31
	s_mul_hi_i32 s37, s24, 24
	s_add_u32 s38, s38, s30
	s_addc_u32 s37, s37, s31
	s_add_u32 s28, s30, s28
	s_addc_u32 s29, s31, s29
	;; [unrolled: 2-line block ×3, first 2 shown]
	v_addc_co_u32_e32 v49, vcc, v19, v0, vcc
	v_mov_b32_e32 v0, s37
	s_add_u32 s37, s28, s8
	v_add_co_u32_e32 v6, vcc, s38, v2
	s_addc_u32 s38, s29, s9
	s_add_u32 s39, s28, s14
	s_addc_u32 s40, s29, s15
	s_mul_i32 s41, s24, 0x180
	s_mul_hi_i32 s42, s2, 24
	s_add_u32 s16, s41, s16
	v_addc_co_u32_e32 v7, vcc, v0, v3, vcc
	s_addc_u32 s17, s42, s17
	v_mov_b32_e32 v0, s17
	v_add_co_u32_e32 v8, vcc, s16, v2
	s_add_u32 s16, s24, s2
	v_addc_co_u32_e32 v9, vcc, v0, v3, vcc
	v_mad_u64_u32 v[0:1], s[16:17], s16, 24, v[2:3]
	s_addc_u32 s3, s25, s3
	v_mov_b32_e32 v4, v1
	v_mad_u64_u32 v[4:5], s[16:17], s3, 24, v[4:5]
	v_mov_b32_e32 v1, v4
	v_add_co_u32_e32 v54, vcc, v18, v0
	v_addc_co_u32_e32 v51, vcc, v19, v1, vcc
	v_mad_i64_i32 v[0:1], s[2:3], s2, 24, v[2:3]
	v_mov_b32_e32 v2, s5
	v_add_co_u32_e32 v3, vcc, s4, v0
	v_addc_co_u32_e32 v2, vcc, v1, v2, vcc
	v_mov_b32_e32 v4, s9
	v_add_co_u32_e32 v5, vcc, s8, v0
	v_addc_co_u32_e32 v4, vcc, v1, v4, vcc
	;; [unrolled: 3-line block ×3, first 2 shown]
	v_add_co_u32_e32 v56, vcc, v18, v0
	v_addc_co_u32_e32 v53, vcc, v19, v1, vcc
	v_mov_b32_e32 v0, s35
	v_add_co_u32_e32 v58, vcc, s34, v18
	v_addc_co_u32_e32 v55, vcc, v19, v0, vcc
	v_mov_b32_e32 v0, s36
	v_add_co_u32_e32 v60, vcc, s11, v18
	v_addc_co_u32_e32 v57, vcc, v19, v0, vcc
	v_add_co_u32_e32 v62, vcc, v18, v6
	v_addc_co_u32_e32 v59, vcc, v19, v7, vcc
	v_mov_b32_e32 v0, s31
	v_add_co_u32_e32 v64, vcc, s30, v18
	v_addc_co_u32_e32 v61, vcc, v19, v0, vcc
	v_mov_b32_e32 v0, s29
	;; [unrolled: 3-line block ×4, first 2 shown]
	v_add_co_u32_e32 v70, vcc, s39, v18
	v_addc_co_u32_e32 v67, vcc, v19, v0, vcc
	v_add_co_u32_e32 v72, vcc, v18, v8
	v_addc_co_u32_e32 v69, vcc, v19, v9, vcc
	;; [unrolled: 2-line block ×3, first 2 shown]
	v_and_b32_e32 v2, 48, v26
	s_movk_i32 s4, 0x218
	v_and_b32_e32 v1, 15, v26
	v_lshlrev_b32_e32 v3, 3, v2
	v_add_co_u32_e32 v76, vcc, v18, v5
	v_cmp_gt_u32_e64 s[2:3], 64, v79
	v_lshrrev_b32_e32 v0, 4, v79
	v_mad_u32_u24 v79, v1, s4, v3
	v_or_b32_e32 v3, 0x78, v140
	v_addc_co_u32_e32 v73, vcc, v19, v4, vcc
	v_mad_u32_u24 v146, v1, s4, v3
	v_lshlrev_b32_e32 v3, 5, v0
	v_add_co_u32_e32 v78, vcc, v18, v11
	v_mad_u32_u24 v147, v1, s4, v3
	v_mov_b32_e32 v3, 0x2180
	s_movk_i32 s4, 0x860
	v_mul_i32_i24_e32 v0, 0xffffffe8, v0
	v_add_u32_e32 v2, s22, v2
	v_addc_co_u32_e32 v75, vcc, v19, v10, vcc
	v_lshl_add_u32 v148, v77, 5, v3
	v_add3_u32 v80, v2, v1, 64
	v_add_u32_e32 v149, v147, v0
	v_add_u32_e32 v150, 0x2180, v140
	;; [unrolled: 1-line block ×3, first 2 shown]
	v_or_b32_e32 v152, 1, v141
	v_or_b32_e32 v153, 2, v141
	;; [unrolled: 1-line block ×3, first 2 shown]
	v_mad_u32_u24 v155, v77, s4, v140
	v_add_u32_e32 v156, 16, v141
	v_add_u32_e32 v157, 17, v141
	;; [unrolled: 1-line block ×12, first 2 shown]
	s_cmp_eq_u32 s26, s6
	s_cselect_b32 s16, s27, 0
	s_and_saveexec_b64 s[4:5], s[0:1]
	s_cbranch_execz .LBB166_76
.LBB166_73:
	s_cmp_eq_u32 s16, 0
	s_cselect_b64 s[8:9], -1, 0
	v_cmp_gt_i32_e32 vcc, s16, v26
	s_or_b64 s[14:15], s[8:9], vcc
	v_pk_mov_b32 v[0:1], 0, 0
	s_and_saveexec_b64 s[8:9], s[14:15]
	s_cbranch_execz .LBB166_75
; %bb.74:
	s_ashr_i32 s11, s10, 31
	s_lshl_b64 s[14:15], s[10:11], 3
	v_mov_b32_e32 v1, s15
	v_add_co_u32_e32 v0, vcc, s14, v142
	v_addc_co_u32_e32 v1, vcc, v143, v1, vcc
	flat_load_dwordx2 v[0:1], v[0:1]
.LBB166_75:
	s_or_b64 exec, exec, s[8:9]
	s_waitcnt vmcnt(0) lgkmcnt(0)
	ds_write_b64 v150, v[0:1]
.LBB166_76:                             ; =>This Inner Loop Header: Depth=1
	s_or_b64 exec, exec, s[4:5]
	s_cmp_eq_u32 s16, 0
	v_add_co_u32_e32 v0, vcc, v30, v34
	s_cselect_b64 s[14:15], -1, 0
	s_cmp_lg_u32 s16, 0
	v_addc_co_u32_e32 v1, vcc, v25, v35, vcc
	s_cselect_b64 s[8:9], -1, 0
	s_and_b64 vcc, exec, s[8:9]
	s_waitcnt lgkmcnt(0)
	s_barrier
	s_cbranch_vccz .LBB166_124
; %bb.77:                               ;   in Loop: Header=BB166_76 Depth=1
	v_pk_mov_b32 v[84:85], 0, 0
	v_cmp_gt_i32_e32 vcc, s16, v141
	v_pk_mov_b32 v[82:83], v[84:85], v[84:85] op_sel:[0,1]
	s_and_saveexec_b64 s[4:5], vcc
	s_cbranch_execz .LBB166_79
; %bb.78:                               ;   in Loop: Header=BB166_76 Depth=1
	flat_load_dwordx2 v[82:83], v[0:1]
.LBB166_79:                             ;   in Loop: Header=BB166_76 Depth=1
	s_or_b64 exec, exec, s[4:5]
	v_cmp_gt_i32_e32 vcc, s16, v152
	s_and_saveexec_b64 s[4:5], vcc
	s_cbranch_execz .LBB166_81
; %bb.80:                               ;   in Loop: Header=BB166_76 Depth=1
	v_add_co_u32_e32 v2, vcc, v38, v34
	v_addc_co_u32_e32 v3, vcc, v33, v35, vcc
	flat_load_dwordx2 v[84:85], v[2:3]
.LBB166_81:                             ;   in Loop: Header=BB166_76 Depth=1
	s_or_b64 exec, exec, s[4:5]
	v_pk_mov_b32 v[88:89], 0, 0
	v_cmp_gt_i32_e32 vcc, s16, v153
	v_pk_mov_b32 v[86:87], v[88:89], v[88:89] op_sel:[0,1]
	s_and_saveexec_b64 s[4:5], vcc
	s_cbranch_execz .LBB166_83
; %bb.82:                               ;   in Loop: Header=BB166_76 Depth=1
	v_add_co_u32_e32 v2, vcc, v40, v34
	v_addc_co_u32_e32 v3, vcc, v37, v35, vcc
	flat_load_dwordx2 v[86:87], v[2:3]
.LBB166_83:                             ;   in Loop: Header=BB166_76 Depth=1
	s_or_b64 exec, exec, s[4:5]
	v_cmp_gt_i32_e32 vcc, s16, v154
	s_and_saveexec_b64 s[4:5], vcc
	s_cbranch_execz .LBB166_85
; %bb.84:                               ;   in Loop: Header=BB166_76 Depth=1
	v_add_co_u32_e32 v2, vcc, v42, v34
	v_addc_co_u32_e32 v3, vcc, v39, v35, vcc
	flat_load_dwordx2 v[88:89], v[2:3]
.LBB166_85:                             ;   in Loop: Header=BB166_76 Depth=1
	s_or_b64 exec, exec, s[4:5]
	s_branch .LBB166_87
.LBB166_86:                             ;   in Loop: Header=BB166_76 Depth=1
	s_waitcnt vmcnt(0) lgkmcnt(0)
	flat_load_dwordx2 v[82:83], v[0:1]
	v_add_co_u32_e32 v0, vcc, v38, v34
	v_addc_co_u32_e32 v1, vcc, v33, v35, vcc
	flat_load_dwordx2 v[84:85], v[0:1]
	v_add_co_u32_e32 v0, vcc, v32, v34
	v_addc_co_u32_e32 v1, vcc, v27, v35, vcc
	;; [unrolled: 3-line block ×3, first 2 shown]
	flat_load_dwordx2 v[88:89], v[0:1]
.LBB166_87:                             ;   in Loop: Header=BB166_76 Depth=1
	ds_read_b64 v[0:1], v151
	ds_read_b64 v[90:91], v148
	v_cndmask_b32_e64 v8, 0, 1, s[8:9]
	v_cmp_ne_u32_e64 s[4:5], 1, v8
	s_andn2_b64 vcc, exec, s[8:9]
	s_waitcnt vmcnt(0) lgkmcnt(0)
	v_mul_f64 v[2:3], v[82:83], v[0:1]
	v_mul_f64 v[4:5], v[84:85], v[0:1]
	ds_write_b64 v155, v[2:3]
	v_mul_f64 v[6:7], v[86:87], v[0:1]
	ds_read_b64 v[92:93], v148 offset:8
	ds_write_b64 v155, v[4:5] offset:536
	ds_read_b64 v[94:95], v148 offset:16
	ds_write_b64 v155, v[6:7] offset:1072
	v_mul_f64 v[0:1], v[88:89], v[0:1]
	ds_read_b64 v[96:97], v148 offset:24
	ds_write_b64 v155, v[0:1] offset:1608
	s_waitcnt lgkmcnt(0)
	s_barrier
	ds_read2_b64 v[4:7], v147 offset1:1
	ds_read2_b64 v[0:3], v147 offset0:2 offset1:3
	v_add_co_u32_e64 v8, s[8:9], v50, v34
	v_addc_co_u32_e64 v9, s[8:9], v47, v35, s[8:9]
	s_waitcnt lgkmcnt(0)
	s_barrier
	s_cbranch_vccnz .LBB166_125
; %bb.88:                               ;   in Loop: Header=BB166_76 Depth=1
	v_pk_mov_b32 v[100:101], 0, 0
	v_cmp_gt_i32_e32 vcc, s16, v156
	v_pk_mov_b32 v[98:99], v[100:101], v[100:101] op_sel:[0,1]
	s_and_saveexec_b64 s[8:9], vcc
	s_cbranch_execz .LBB166_90
; %bb.89:                               ;   in Loop: Header=BB166_76 Depth=1
	flat_load_dwordx2 v[98:99], v[8:9]
.LBB166_90:                             ;   in Loop: Header=BB166_76 Depth=1
	s_or_b64 exec, exec, s[8:9]
	v_cmp_gt_i32_e32 vcc, s16, v157
	s_and_saveexec_b64 s[8:9], vcc
	s_cbranch_execz .LBB166_92
; %bb.91:                               ;   in Loop: Header=BB166_76 Depth=1
	v_add_co_u32_e32 v10, vcc, v48, v34
	v_addc_co_u32_e32 v11, vcc, v45, v35, vcc
	flat_load_dwordx2 v[100:101], v[10:11]
.LBB166_92:                             ;   in Loop: Header=BB166_76 Depth=1
	s_or_b64 exec, exec, s[8:9]
	v_pk_mov_b32 v[104:105], 0, 0
	v_cmp_gt_i32_e32 vcc, s16, v158
	v_pk_mov_b32 v[102:103], v[104:105], v[104:105] op_sel:[0,1]
	s_and_saveexec_b64 s[8:9], vcc
	s_cbranch_execz .LBB166_94
; %bb.93:                               ;   in Loop: Header=BB166_76 Depth=1
	v_add_co_u32_e32 v10, vcc, v52, v34
	v_addc_co_u32_e32 v11, vcc, v49, v35, vcc
	flat_load_dwordx2 v[102:103], v[10:11]
.LBB166_94:                             ;   in Loop: Header=BB166_76 Depth=1
	s_or_b64 exec, exec, s[8:9]
	v_cmp_gt_i32_e32 vcc, s16, v159
	s_and_saveexec_b64 s[8:9], vcc
	s_cbranch_execz .LBB166_96
; %bb.95:                               ;   in Loop: Header=BB166_76 Depth=1
	v_add_co_u32_e32 v10, vcc, v58, v34
	v_addc_co_u32_e32 v11, vcc, v55, v35, vcc
	flat_load_dwordx2 v[104:105], v[10:11]
.LBB166_96:                             ;   in Loop: Header=BB166_76 Depth=1
	s_or_b64 exec, exec, s[8:9]
	s_branch .LBB166_98
.LBB166_97:                             ;   in Loop: Header=BB166_76 Depth=1
	s_waitcnt vmcnt(0) lgkmcnt(0)
	flat_load_dwordx2 v[98:99], v[8:9]
	v_add_co_u32_e32 v8, vcc, v48, v34
	v_addc_co_u32_e32 v9, vcc, v45, v35, vcc
	flat_load_dwordx2 v[100:101], v[8:9]
	v_add_co_u32_e32 v8, vcc, v44, v34
	v_addc_co_u32_e32 v9, vcc, v41, v35, vcc
	;; [unrolled: 3-line block ×3, first 2 shown]
	flat_load_dwordx2 v[104:105], v[8:9]
.LBB166_98:                             ;   in Loop: Header=BB166_76 Depth=1
	ds_read_b64 v[8:9], v151
	ds_read_b64 v[106:107], v148 offset:128
	v_add_co_u32_e64 v16, s[8:9], v66, v34
	s_and_b64 vcc, exec, s[4:5]
	s_waitcnt vmcnt(0) lgkmcnt(0)
	v_mul_f64 v[10:11], v[98:99], v[8:9]
	v_mul_f64 v[12:13], v[100:101], v[8:9]
	ds_write_b64 v155, v[10:11]
	v_mul_f64 v[14:15], v[102:103], v[8:9]
	ds_read_b64 v[108:109], v148 offset:136
	ds_write_b64 v155, v[12:13] offset:536
	ds_read_b64 v[110:111], v148 offset:144
	ds_write_b64 v155, v[14:15] offset:1072
	v_mul_f64 v[8:9], v[104:105], v[8:9]
	ds_read_b64 v[112:113], v148 offset:152
	ds_write_b64 v155, v[8:9] offset:1608
	s_waitcnt lgkmcnt(0)
	s_barrier
	ds_read2_b64 v[12:15], v147 offset1:1
	ds_read2_b64 v[8:11], v147 offset0:2 offset1:3
	v_addc_co_u32_e64 v17, s[8:9], v63, v35, s[8:9]
	s_waitcnt lgkmcnt(0)
	s_barrier
	s_cbranch_vccnz .LBB166_126
; %bb.99:                               ;   in Loop: Header=BB166_76 Depth=1
	v_pk_mov_b32 v[116:117], 0, 0
	v_cmp_gt_i32_e32 vcc, s16, v160
	v_pk_mov_b32 v[114:115], v[116:117], v[116:117] op_sel:[0,1]
	s_and_saveexec_b64 s[8:9], vcc
	s_cbranch_execz .LBB166_101
; %bb.100:                              ;   in Loop: Header=BB166_76 Depth=1
	flat_load_dwordx2 v[114:115], v[16:17]
.LBB166_101:                            ;   in Loop: Header=BB166_76 Depth=1
	s_or_b64 exec, exec, s[8:9]
	v_cmp_gt_i32_e32 vcc, s16, v161
	s_and_saveexec_b64 s[8:9], vcc
	s_cbranch_execz .LBB166_103
; %bb.102:                              ;   in Loop: Header=BB166_76 Depth=1
	v_add_co_u32_e32 v18, vcc, v64, v34
	v_addc_co_u32_e32 v19, vcc, v61, v35, vcc
	flat_load_dwordx2 v[116:117], v[18:19]
.LBB166_103:                            ;   in Loop: Header=BB166_76 Depth=1
	s_or_b64 exec, exec, s[8:9]
	v_pk_mov_b32 v[120:121], 0, 0
	v_cmp_gt_i32_e32 vcc, s16, v162
	v_pk_mov_b32 v[118:119], v[120:121], v[120:121] op_sel:[0,1]
	s_and_saveexec_b64 s[8:9], vcc
	s_cbranch_execz .LBB166_105
; %bb.104:                              ;   in Loop: Header=BB166_76 Depth=1
	v_add_co_u32_e32 v18, vcc, v68, v34
	v_addc_co_u32_e32 v19, vcc, v65, v35, vcc
	flat_load_dwordx2 v[118:119], v[18:19]
.LBB166_105:                            ;   in Loop: Header=BB166_76 Depth=1
	s_or_b64 exec, exec, s[8:9]
	v_cmp_gt_i32_e32 vcc, s16, v163
	s_and_saveexec_b64 s[8:9], vcc
	s_cbranch_execz .LBB166_107
; %bb.106:                              ;   in Loop: Header=BB166_76 Depth=1
	v_add_co_u32_e32 v18, vcc, v70, v34
	v_addc_co_u32_e32 v19, vcc, v67, v35, vcc
	flat_load_dwordx2 v[120:121], v[18:19]
.LBB166_107:                            ;   in Loop: Header=BB166_76 Depth=1
	s_or_b64 exec, exec, s[8:9]
	s_branch .LBB166_109
.LBB166_108:                            ;   in Loop: Header=BB166_76 Depth=1
	s_waitcnt vmcnt(0) lgkmcnt(0)
	flat_load_dwordx2 v[114:115], v[16:17]
	v_add_co_u32_e32 v16, vcc, v64, v34
	v_addc_co_u32_e32 v17, vcc, v61, v35, vcc
	flat_load_dwordx2 v[116:117], v[16:17]
	v_add_co_u32_e32 v16, vcc, v60, v34
	v_addc_co_u32_e32 v17, vcc, v57, v35, vcc
	;; [unrolled: 3-line block ×3, first 2 shown]
	flat_load_dwordx2 v[120:121], v[16:17]
.LBB166_109:                            ;   in Loop: Header=BB166_76 Depth=1
	ds_read_b64 v[16:17], v151
	ds_read_b64 v[122:123], v148 offset:256
	s_and_b64 vcc, exec, s[4:5]
	v_add_co_u32_e64 v138, s[4:5], v56, v144
	s_waitcnt vmcnt(0) lgkmcnt(0)
	v_mul_f64 v[18:19], v[114:115], v[16:17]
	v_mul_f64 v[20:21], v[116:117], v[16:17]
	ds_write_b64 v155, v[18:19]
	v_mul_f64 v[22:23], v[118:119], v[16:17]
	ds_read_b64 v[124:125], v148 offset:264
	ds_write_b64 v155, v[20:21] offset:536
	ds_read_b64 v[126:127], v148 offset:272
	ds_write_b64 v155, v[22:23] offset:1072
	v_mul_f64 v[16:17], v[120:121], v[16:17]
	ds_read_b64 v[128:129], v148 offset:280
	ds_write_b64 v155, v[16:17] offset:1608
	s_waitcnt lgkmcnt(0)
	s_barrier
	ds_read2_b64 v[20:23], v147 offset1:1
	ds_read2_b64 v[16:19], v147 offset0:2 offset1:3
	v_addc_co_u32_e64 v139, s[4:5], v53, v145, s[4:5]
	s_waitcnt lgkmcnt(0)
	s_barrier
	s_cbranch_vccnz .LBB166_127
; %bb.110:                              ;   in Loop: Header=BB166_76 Depth=1
	v_pk_mov_b32 v[132:133], 0, 0
	v_cmp_gt_i32_e32 vcc, s16, v164
	v_pk_mov_b32 v[130:131], v[132:133], v[132:133] op_sel:[0,1]
	s_and_saveexec_b64 s[4:5], vcc
	s_cbranch_execz .LBB166_112
; %bb.111:                              ;   in Loop: Header=BB166_76 Depth=1
	flat_load_dwordx2 v[130:131], v[138:139]
.LBB166_112:                            ;   in Loop: Header=BB166_76 Depth=1
	s_or_b64 exec, exec, s[4:5]
	v_cmp_gt_i32_e32 vcc, s16, v165
	s_and_saveexec_b64 s[4:5], vcc
	s_cbranch_execz .LBB166_114
; %bb.113:                              ;   in Loop: Header=BB166_76 Depth=1
	v_add_co_u32_e32 v132, vcc, v74, v144
	v_addc_co_u32_e32 v133, vcc, v71, v145, vcc
	flat_load_dwordx2 v[132:133], v[132:133]
.LBB166_114:                            ;   in Loop: Header=BB166_76 Depth=1
	s_or_b64 exec, exec, s[4:5]
	v_pk_mov_b32 v[136:137], 0, 0
	v_cmp_gt_i32_e32 vcc, s16, v166
	v_pk_mov_b32 v[134:135], v[136:137], v[136:137] op_sel:[0,1]
	s_and_saveexec_b64 s[4:5], vcc
	s_cbranch_execz .LBB166_116
; %bb.115:                              ;   in Loop: Header=BB166_76 Depth=1
	v_add_co_u32_e32 v134, vcc, v76, v144
	v_addc_co_u32_e32 v135, vcc, v73, v145, vcc
	flat_load_dwordx2 v[134:135], v[134:135]
.LBB166_116:                            ;   in Loop: Header=BB166_76 Depth=1
	s_or_b64 exec, exec, s[4:5]
	v_cmp_gt_i32_e32 vcc, s16, v167
	s_and_saveexec_b64 s[4:5], vcc
	s_cbranch_execz .LBB166_118
; %bb.117:                              ;   in Loop: Header=BB166_76 Depth=1
	v_add_co_u32_e32 v136, vcc, v78, v144
	v_addc_co_u32_e32 v137, vcc, v75, v145, vcc
	flat_load_dwordx2 v[136:137], v[136:137]
.LBB166_118:                            ;   in Loop: Header=BB166_76 Depth=1
	s_or_b64 exec, exec, s[4:5]
	s_branch .LBB166_120
.LBB166_119:                            ;   in Loop: Header=BB166_76 Depth=1
	s_waitcnt vmcnt(0) lgkmcnt(0)
	v_add_co_u32_e32 v132, vcc, v74, v144
	v_addc_co_u32_e32 v133, vcc, v71, v145, vcc
	v_add_co_u32_e32 v134, vcc, v72, v144
	v_addc_co_u32_e32 v135, vcc, v69, v145, vcc
	;; [unrolled: 2-line block ×3, first 2 shown]
	flat_load_dwordx2 v[130:131], v[138:139]
	s_nop 0
	flat_load_dwordx2 v[132:133], v[132:133]
	s_nop 0
	;; [unrolled: 2-line block ×3, first 2 shown]
	flat_load_dwordx2 v[136:137], v[136:137]
.LBB166_120:                            ;   in Loop: Header=BB166_76 Depth=1
	v_add_f64 v[12:13], v[12:13], 0
	v_add_f64 v[12:13], v[12:13], v[14:15]
	ds_read_b64 v[14:15], v151
	v_add_f64 v[20:21], v[20:21], 0
	v_add_f64 v[20:21], v[20:21], v[22:23]
	;; [unrolled: 1-line block ×7, first 2 shown]
	ds_read_b64 v[4:5], v148 offset:384
	s_waitcnt vmcnt(0) lgkmcnt(0)
	v_mul_f64 v[8:9], v[130:131], v[14:15]
	ds_write_b64 v155, v[8:9]
	v_mul_f64 v[10:11], v[132:133], v[14:15]
	ds_read_b64 v[8:9], v148 offset:392
	ds_write_b64 v155, v[10:11] offset:536
	v_mul_f64 v[12:13], v[134:135], v[14:15]
	ds_read_b64 v[10:11], v148 offset:400
	ds_write_b64 v155, v[12:13] offset:1072
	;; [unrolled: 3-line block ×3, first 2 shown]
	s_waitcnt lgkmcnt(0)
	s_barrier
	ds_read2_b64 v[14:17], v147 offset1:1
	v_add_f64 v[6:7], v[18:19], v[6:7]
	ds_read2_b64 v[18:21], v147 offset0:2 offset1:3
	v_add_f64 v[0:1], v[6:7], v[0:1]
	v_add_f64 v[0:1], v[0:1], v[2:3]
	s_waitcnt lgkmcnt(1)
	v_add_f64 v[2:3], v[14:15], 0
	v_cmp_gt_i32_e32 vcc, s16, v26
	v_add_f64 v[2:3], v[2:3], v[16:17]
	s_or_b64 s[4:5], s[14:15], vcc
	s_waitcnt lgkmcnt(0)
	v_add_f64 v[2:3], v[2:3], v[18:19]
	s_and_b64 s[8:9], s[2:3], s[4:5]
	v_add_f64 v[2:3], v[2:3], v[20:21]
	s_barrier
	ds_write2_b64 v149, v[0:1], v[138:139] offset1:16
	ds_write2_b64 v149, v[22:23], v[2:3] offset0:32 offset1:48
	s_waitcnt lgkmcnt(0)
	s_barrier
	s_and_saveexec_b64 s[4:5], s[8:9]
	s_cbranch_execz .LBB166_122
; %bb.121:                              ;   in Loop: Header=BB166_76 Depth=1
	ds_read2_b64 v[0:3], v79 offset1:1
	ds_read2_b64 v[14:17], v79 offset0:2 offset1:3
	ds_read2_b64 v[18:21], v79 offset0:4 offset1:5
	;; [unrolled: 1-line block ×3, first 2 shown]
	v_ashrrev_i32_e32 v81, 31, v80
	s_waitcnt lgkmcnt(3)
	v_add_f64 v[0:1], v[0:1], v[2:3]
	s_waitcnt lgkmcnt(2)
	v_add_f64 v[0:1], v[0:1], v[14:15]
	v_add_f64 v[0:1], v[0:1], v[16:17]
	s_waitcnt lgkmcnt(1)
	v_add_f64 v[6:7], v[0:1], v[18:19]
	ds_read2_b64 v[0:3], v79 offset0:8 offset1:9
	ds_read2_b64 v[14:17], v79 offset0:10 offset1:11
	v_add_f64 v[6:7], v[6:7], v[20:21]
	s_waitcnt lgkmcnt(2)
	v_add_f64 v[6:7], v[6:7], v[168:169]
	v_add_f64 v[6:7], v[6:7], v[170:171]
	s_waitcnt lgkmcnt(1)
	v_add_f64 v[0:1], v[6:7], v[0:1]
	v_add_f64 v[6:7], v[0:1], v[2:3]
	ds_read2_b64 v[0:3], v79 offset0:12 offset1:13
	s_waitcnt lgkmcnt(1)
	v_add_f64 v[6:7], v[6:7], v[14:15]
	ds_read_b64 v[14:15], v79 offset:112
	ds_read_b64 v[18:19], v146
	v_add_f64 v[6:7], v[6:7], v[16:17]
	s_waitcnt lgkmcnt(2)
	v_add_f64 v[0:1], v[6:7], v[0:1]
	v_add_f64 v[0:1], v[0:1], v[2:3]
	v_lshlrev_b64 v[2:3], 3, v[80:81]
	s_waitcnt lgkmcnt(1)
	v_add_f64 v[0:1], v[0:1], v[14:15]
	v_mov_b32_e32 v6, s23
	v_add_co_u32_e32 v2, vcc, s19, v2
	s_waitcnt lgkmcnt(0)
	v_add_f64 v[0:1], v[0:1], v[18:19]
	v_addc_co_u32_e32 v3, vcc, v6, v3, vcc
	global_store_dwordx2 v[2:3], v[0:1], off
.LBB166_122:                            ;   in Loop: Header=BB166_76 Depth=1
	s_or_b64 exec, exec, s[4:5]
	v_mov_b32_e32 v0, s13
	v_add_co_u32_e32 v32, vcc, s12, v32
	v_addc_co_u32_e32 v27, vcc, v27, v0, vcc
	v_add_co_u32_e32 v36, vcc, s12, v36
	v_addc_co_u32_e32 v31, vcc, v31, v0, vcc
	v_add_co_u32_e32 v38, vcc, s12, v38
	v_addc_co_u32_e32 v33, vcc, v33, v0, vcc
	v_add_co_u32_e32 v30, vcc, s12, v30
	v_addc_co_u32_e32 v25, vcc, v25, v0, vcc
	v_add_co_u32_e32 v40, vcc, s12, v40
	v_addc_co_u32_e32 v37, vcc, v37, v0, vcc
	v_add_co_u32_e32 v42, vcc, s12, v42
	v_addc_co_u32_e32 v39, vcc, v39, v0, vcc
	v_add_co_u32_e32 v44, vcc, s12, v44
	v_addc_co_u32_e32 v41, vcc, v41, v0, vcc
	v_add_co_u32_e32 v46, vcc, s12, v46
	v_addc_co_u32_e32 v43, vcc, v43, v0, vcc
	v_add_co_u32_e32 v48, vcc, s12, v48
	v_addc_co_u32_e32 v45, vcc, v45, v0, vcc
	v_add_co_u32_e32 v50, vcc, s12, v50
	v_addc_co_u32_e32 v47, vcc, v47, v0, vcc
	v_add_co_u32_e32 v52, vcc, s12, v52
	v_addc_co_u32_e32 v49, vcc, v49, v0, vcc
	v_add_co_u32_e32 v58, vcc, s12, v58
	v_addc_co_u32_e32 v55, vcc, v55, v0, vcc
	v_add_co_u32_e32 v60, vcc, s12, v60
	v_addc_co_u32_e32 v57, vcc, v57, v0, vcc
	v_add_co_u32_e32 v62, vcc, s12, v62
	v_addc_co_u32_e32 v59, vcc, v59, v0, vcc
	v_add_co_u32_e32 v64, vcc, s12, v64
	v_addc_co_u32_e32 v61, vcc, v61, v0, vcc
	v_add_co_u32_e32 v66, vcc, s12, v66
	v_addc_co_u32_e32 v63, vcc, v63, v0, vcc
	v_fmac_f64_e32 v[28:29], v[82:83], v[90:91]
	v_add_co_u32_e32 v68, vcc, s12, v68
	v_fmac_f64_e32 v[28:29], v[84:85], v[92:93]
	v_addc_co_u32_e32 v65, vcc, v65, v0, vcc
	v_fmac_f64_e32 v[28:29], v[86:87], v[94:95]
	v_add_co_u32_e32 v70, vcc, s12, v70
	v_fmac_f64_e32 v[28:29], v[88:89], v[96:97]
	v_addc_co_u32_e32 v67, vcc, v67, v0, vcc
	;; [unrolled: 4-line block ×7, first 2 shown]
	v_fmac_f64_e32 v[28:29], v[134:135], v[10:11]
	s_add_i32 s4, s6, 1
	s_add_i32 s10, s10, s33
	;; [unrolled: 1-line block ×3, first 2 shown]
	v_add_co_u32_e32 v78, vcc, s12, v78
	v_fmac_f64_e32 v[28:29], v[136:137], v[12:13]
	v_add_u32_e32 v80, 64, v80
	s_cmp_ge_u32 s5, s7
	v_addc_co_u32_e32 v75, vcc, v75, v0, vcc
	s_barrier
	s_cbranch_scc1 .LBB166_128
; %bb.123:                              ;   in Loop: Header=BB166_76 Depth=1
	s_mov_b32 s6, s4
	s_cmp_eq_u32 s26, s6
	s_cselect_b32 s16, s27, 0
	s_and_saveexec_b64 s[4:5], s[0:1]
	s_cbranch_execnz .LBB166_73
	s_branch .LBB166_76
.LBB166_124:                            ;   in Loop: Header=BB166_76 Depth=1
                                        ; implicit-def: $vgpr88_vgpr89
                                        ; implicit-def: $vgpr86_vgpr87
                                        ; implicit-def: $vgpr84_vgpr85
                                        ; implicit-def: $vgpr82_vgpr83
	s_cbranch_execnz .LBB166_86
	s_branch .LBB166_87
.LBB166_125:                            ;   in Loop: Header=BB166_76 Depth=1
                                        ; implicit-def: $vgpr104_vgpr105
                                        ; implicit-def: $vgpr102_vgpr103
                                        ; implicit-def: $vgpr100_vgpr101
                                        ; implicit-def: $vgpr98_vgpr99
	s_cbranch_execnz .LBB166_97
	s_branch .LBB166_98
.LBB166_126:                            ;   in Loop: Header=BB166_76 Depth=1
                                        ; implicit-def: $vgpr120_vgpr121
                                        ; implicit-def: $vgpr118_vgpr119
                                        ; implicit-def: $vgpr116_vgpr117
                                        ; implicit-def: $vgpr114_vgpr115
	s_cbranch_execnz .LBB166_108
	s_branch .LBB166_109
.LBB166_127:                            ;   in Loop: Header=BB166_76 Depth=1
                                        ; implicit-def: $vgpr136_vgpr137
                                        ; implicit-def: $vgpr134_vgpr135
                                        ; implicit-def: $vgpr132_vgpr133
                                        ; implicit-def: $vgpr130_vgpr131
	s_cbranch_execnz .LBB166_119
	s_branch .LBB166_120
.LBB166_128:
	s_movk_i32 s2, 0x218
	v_cmp_gt_i32_e32 vcc, s18, v26
	v_mad_u32_u24 v0, v77, s2, v140
	s_or_b64 s[2:3], s[20:21], vcc
	s_and_b64 s[0:1], s[0:1], s[2:3]
	ds_write_b64 v0, v[28:29]
	s_waitcnt lgkmcnt(0)
	s_barrier
	s_and_saveexec_b64 s[2:3], s[0:1]
	s_cbranch_execz .LBB166_130
; %bb.129:
	ds_read2_b64 v[0:3], v140 offset1:67
	ds_read2_b64 v[4:7], v140 offset0:134 offset1:201
	v_ashrrev_i32_e32 v25, 31, v24
	v_lshlrev_b64 v[8:9], 3, v[24:25]
	v_mov_b32_e32 v10, s23
	s_waitcnt lgkmcnt(1)
	v_add_f64 v[0:1], v[0:1], v[2:3]
	s_waitcnt lgkmcnt(0)
	v_add_f64 v[0:1], v[0:1], v[4:5]
	v_add_co_u32_e32 v2, vcc, s19, v8
	v_add_f64 v[0:1], v[0:1], v[6:7]
	v_addc_co_u32_e32 v3, vcc, v10, v9, vcc
	global_store_dwordx2 v[2:3], v[0:1], off
.LBB166_130:
	s_endpgm
	.section	.rodata,"a",@progbits
	.p2align	6, 0x0
	.amdhsa_kernel _ZL26rocblas_hemvn_kernel_upperILb0ELi64ELi4ELi33ELi32ELi16EidPKPKdPdEviT6_lT7_lT5_lS6_lS7_lS5_lT8_i
		.amdhsa_group_segment_fixed_size 9600
		.amdhsa_private_segment_fixed_size 0
		.amdhsa_kernarg_size 376
		.amdhsa_user_sgpr_count 6
		.amdhsa_user_sgpr_private_segment_buffer 1
		.amdhsa_user_sgpr_dispatch_ptr 0
		.amdhsa_user_sgpr_queue_ptr 0
		.amdhsa_user_sgpr_kernarg_segment_ptr 1
		.amdhsa_user_sgpr_dispatch_id 0
		.amdhsa_user_sgpr_flat_scratch_init 0
		.amdhsa_user_sgpr_kernarg_preload_length 0
		.amdhsa_user_sgpr_kernarg_preload_offset 0
		.amdhsa_user_sgpr_private_segment_size 0
		.amdhsa_uses_dynamic_stack 0
		.amdhsa_system_sgpr_private_segment_wavefront_offset 0
		.amdhsa_system_sgpr_workgroup_id_x 1
		.amdhsa_system_sgpr_workgroup_id_y 0
		.amdhsa_system_sgpr_workgroup_id_z 1
		.amdhsa_system_sgpr_workgroup_info 0
		.amdhsa_system_vgpr_workitem_id 1
		.amdhsa_next_free_vgpr 172
		.amdhsa_next_free_sgpr 44
		.amdhsa_accum_offset 172
		.amdhsa_reserve_vcc 1
		.amdhsa_reserve_flat_scratch 0
		.amdhsa_float_round_mode_32 0
		.amdhsa_float_round_mode_16_64 0
		.amdhsa_float_denorm_mode_32 3
		.amdhsa_float_denorm_mode_16_64 3
		.amdhsa_dx10_clamp 1
		.amdhsa_ieee_mode 1
		.amdhsa_fp16_overflow 0
		.amdhsa_tg_split 0
		.amdhsa_exception_fp_ieee_invalid_op 0
		.amdhsa_exception_fp_denorm_src 0
		.amdhsa_exception_fp_ieee_div_zero 0
		.amdhsa_exception_fp_ieee_overflow 0
		.amdhsa_exception_fp_ieee_underflow 0
		.amdhsa_exception_fp_ieee_inexact 0
		.amdhsa_exception_int_div_zero 0
	.end_amdhsa_kernel
	.section	.text._ZL26rocblas_hemvn_kernel_upperILb0ELi64ELi4ELi33ELi32ELi16EidPKPKdPdEviT6_lT7_lT5_lS6_lS7_lS5_lT8_i,"axG",@progbits,_ZL26rocblas_hemvn_kernel_upperILb0ELi64ELi4ELi33ELi32ELi16EidPKPKdPdEviT6_lT7_lT5_lS6_lS7_lS5_lT8_i,comdat
.Lfunc_end166:
	.size	_ZL26rocblas_hemvn_kernel_upperILb0ELi64ELi4ELi33ELi32ELi16EidPKPKdPdEviT6_lT7_lT5_lS6_lS7_lS5_lT8_i, .Lfunc_end166-_ZL26rocblas_hemvn_kernel_upperILb0ELi64ELi4ELi33ELi32ELi16EidPKPKdPdEviT6_lT7_lT5_lS6_lS7_lS5_lT8_i
                                        ; -- End function
	.section	.AMDGPU.csdata,"",@progbits
; Kernel info:
; codeLenInByte = 7340
; NumSgprs: 48
; NumVgprs: 172
; NumAgprs: 0
; TotalNumVgprs: 172
; ScratchSize: 0
; MemoryBound: 0
; FloatMode: 240
; IeeeMode: 1
; LDSByteSize: 9600 bytes/workgroup (compile time only)
; SGPRBlocks: 5
; VGPRBlocks: 21
; NumSGPRsForWavesPerEU: 48
; NumVGPRsForWavesPerEU: 172
; AccumOffset: 172
; Occupancy: 2
; WaveLimiterHint : 1
; COMPUTE_PGM_RSRC2:SCRATCH_EN: 0
; COMPUTE_PGM_RSRC2:USER_SGPR: 6
; COMPUTE_PGM_RSRC2:TRAP_HANDLER: 0
; COMPUTE_PGM_RSRC2:TGID_X_EN: 1
; COMPUTE_PGM_RSRC2:TGID_Y_EN: 0
; COMPUTE_PGM_RSRC2:TGID_Z_EN: 1
; COMPUTE_PGM_RSRC2:TIDIG_COMP_CNT: 1
; COMPUTE_PGM_RSRC3_GFX90A:ACCUM_OFFSET: 42
; COMPUTE_PGM_RSRC3_GFX90A:TG_SPLIT: 0
	.section	.text._ZL36rocblas_hemvn_kernel_upper_block_sumILi64EidPKPddEviT1_lS3_lT2_lT0_lPT3_i,"axG",@progbits,_ZL36rocblas_hemvn_kernel_upper_block_sumILi64EidPKPddEviT1_lS3_lT2_lT0_lPT3_i,comdat
	.globl	_ZL36rocblas_hemvn_kernel_upper_block_sumILi64EidPKPddEviT1_lS3_lT2_lT0_lPT3_i ; -- Begin function _ZL36rocblas_hemvn_kernel_upper_block_sumILi64EidPKPddEviT1_lS3_lT2_lT0_lPT3_i
	.p2align	8
	.type	_ZL36rocblas_hemvn_kernel_upper_block_sumILi64EidPKPddEviT1_lS3_lT2_lT0_lPT3_i,@function
_ZL36rocblas_hemvn_kernel_upper_block_sumILi64EidPKPddEviT1_lS3_lT2_lT0_lPT3_i: ; @_ZL36rocblas_hemvn_kernel_upper_block_sumILi64EidPKPddEviT1_lS3_lT2_lT0_lPT3_i
; %bb.0:
	s_load_dwordx2 s[2:3], s[4:5], 0x8
	s_load_dwordx2 s[8:9], s[4:5], 0x18
	s_waitcnt lgkmcnt(0)
	v_cmp_eq_f64_e64 s[0:1], s[2:3], 0
	v_cmp_eq_f64_e64 s[10:11], s[8:9], 1.0
	s_and_b64 s[0:1], s[0:1], s[10:11]
	s_and_b64 vcc, exec, s[0:1]
	s_cbranch_vccnz .LBB167_19
; %bb.1:
	s_load_dwordx4 s[16:19], s[4:5], 0x28
	s_load_dword s20, s[4:5], 0x38
	s_load_dword s12, s[4:5], 0x0
	s_mov_b32 s14, s7
	s_mov_b32 s15, 0
	s_lshl_b64 s[0:1], s[14:15], 3
	s_waitcnt lgkmcnt(0)
	s_add_u32 s0, s16, s0
	s_addc_u32 s1, s17, s1
	s_load_dwordx2 s[0:1], s[0:1], 0x0
	s_lshl_b64 s[18:19], s[18:19], 3
	v_lshl_or_b32 v0, s6, 6, v0
	v_cmp_neq_f64_e64 s[16:17], s[2:3], 0
	s_mov_b64 s[10:11], 0
	s_waitcnt lgkmcnt(0)
	s_add_u32 s7, s0, s18
	s_addc_u32 s15, s1, s19
	s_and_b64 vcc, exec, s[16:17]
	v_cmp_gt_i32_e64 s[0:1], s12, v0
	s_cbranch_vccnz .LBB167_6
; %bb.2:
	s_mov_b64 s[16:17], 0
                                        ; implicit-def: $vgpr4_vgpr5
                                        ; implicit-def: $vgpr2_vgpr3
	s_and_saveexec_b64 s[18:19], s[0:1]
	s_cbranch_execz .LBB167_7
; %bb.3:
	v_cmp_eq_f64_e64 s[0:1], s[8:9], 0
	v_mul_lo_u32 v2, v0, s20
	v_pk_mov_b32 v[4:5], 0, 0
	v_ashrrev_i32_e32 v3, 31, v2
	s_and_b64 vcc, exec, s[0:1]
	s_cbranch_vccnz .LBB167_5
; %bb.4:
	v_lshlrev_b64 v[4:5], 3, v[2:3]
	v_mov_b32_e32 v1, s15
	v_add_co_u32_e32 v4, vcc, s7, v4
	v_addc_co_u32_e32 v5, vcc, v1, v5, vcc
	global_load_dwordx2 v[4:5], v[4:5], off
	s_waitcnt vmcnt(0)
	v_mul_f64 v[4:5], v[4:5], s[8:9]
.LBB167_5:
	s_mov_b64 s[10:11], exec
	s_or_b64 exec, exec, s[18:19]
	s_and_b64 vcc, exec, s[16:17]
	s_cbranch_vccnz .LBB167_8
	s_branch .LBB167_17
.LBB167_6:
                                        ; implicit-def: $vgpr4_vgpr5
                                        ; implicit-def: $vgpr2_vgpr3
	s_cbranch_execnz .LBB167_8
	s_branch .LBB167_17
.LBB167_7:
	s_or_b64 exec, exec, s[18:19]
	s_and_b64 vcc, exec, s[16:17]
	s_cbranch_vccz .LBB167_17
.LBB167_8:
	v_cmp_gt_i32_e32 vcc, s12, v0
                                        ; implicit-def: $vgpr4_vgpr5
                                        ; implicit-def: $vgpr2_vgpr3
	s_and_saveexec_b64 s[0:1], vcc
	s_cbranch_execz .LBB167_16
; %bb.9:
	s_cmp_lt_i32 s6, 0
	v_pk_mov_b32 v[6:7], 0, 0
	s_cbranch_scc1 .LBB167_12
; %bb.10:
	s_load_dwordx2 s[16:17], s[4:5], 0x48
	s_load_dword s18, s[4:5], 0x58
	s_ashr_i32 s13, s12, 31
	s_mul_hi_u32 s4, s12, s14
	s_mul_i32 s5, s13, s14
	s_add_i32 s4, s4, s5
	s_mul_i32 s14, s12, s14
	s_waitcnt lgkmcnt(0)
	s_mul_i32 s4, s4, s18
	s_mul_hi_u32 s5, s14, s18
	s_add_i32 s5, s5, s4
	s_mul_i32 s4, s14, s18
	s_lshl_b64 s[4:5], s[4:5], 3
	s_add_u32 s4, s16, s4
	v_mov_b32_e32 v1, 0
	s_addc_u32 s5, s17, s5
	v_lshlrev_b64 v[2:3], 3, v[0:1]
	v_mov_b32_e32 v1, s5
	v_add_co_u32_e32 v2, vcc, s4, v2
	s_lshl_b64 s[4:5], s[12:13], 3
	v_addc_co_u32_e32 v3, vcc, v1, v3, vcc
	s_add_i32 s6, s6, 1
	v_pk_mov_b32 v[6:7], 0, 0
	v_mov_b32_e32 v1, s5
.LBB167_11:                             ; =>This Inner Loop Header: Depth=1
	global_load_dwordx2 v[4:5], v[2:3], off
	s_add_i32 s6, s6, -1
	v_add_co_u32_e32 v2, vcc, s4, v2
	v_addc_co_u32_e32 v3, vcc, v3, v1, vcc
	s_cmp_eq_u32 s6, 0
	s_waitcnt vmcnt(0)
	v_add_f64 v[6:7], v[6:7], v[4:5]
	s_cbranch_scc0 .LBB167_11
.LBB167_12:
	v_cmp_eq_f64_e64 s[12:13], s[8:9], 0
	v_mul_lo_u32 v2, v0, s20
	s_mov_b64 s[4:5], 0
	s_and_b64 vcc, exec, s[12:13]
	v_ashrrev_i32_e32 v3, 31, v2
	s_cbranch_vccz .LBB167_20
; %bb.13:
	v_mul_f64 v[4:5], v[6:7], s[2:3]
	s_andn2_b64 vcc, exec, s[4:5]
	s_cbranch_vccnz .LBB167_15
.LBB167_14:
	v_lshlrev_b64 v[0:1], 3, v[2:3]
	v_mov_b32_e32 v4, s15
	v_add_co_u32_e32 v0, vcc, s7, v0
	v_addc_co_u32_e32 v1, vcc, v4, v1, vcc
	global_load_dwordx2 v[0:1], v[0:1], off
	s_waitcnt vmcnt(0)
	v_mul_f64 v[4:5], v[0:1], s[8:9]
	v_fmac_f64_e32 v[4:5], s[2:3], v[6:7]
.LBB167_15:
	s_or_b64 s[10:11], s[10:11], exec
.LBB167_16:
	s_or_b64 exec, exec, s[0:1]
.LBB167_17:
	s_and_saveexec_b64 s[0:1], s[10:11]
	s_cbranch_execz .LBB167_19
; %bb.18:
	v_lshlrev_b64 v[0:1], 3, v[2:3]
	v_mov_b32_e32 v2, s15
	v_add_co_u32_e32 v0, vcc, s7, v0
	v_addc_co_u32_e32 v1, vcc, v2, v1, vcc
	global_store_dwordx2 v[0:1], v[4:5], off
.LBB167_19:
	s_endpgm
.LBB167_20:
                                        ; implicit-def: $vgpr4_vgpr5
	s_branch .LBB167_14
	.section	.rodata,"a",@progbits
	.p2align	6, 0x0
	.amdhsa_kernel _ZL36rocblas_hemvn_kernel_upper_block_sumILi64EidPKPddEviT1_lS3_lT2_lT0_lPT3_i
		.amdhsa_group_segment_fixed_size 0
		.amdhsa_private_segment_fixed_size 0
		.amdhsa_kernarg_size 344
		.amdhsa_user_sgpr_count 6
		.amdhsa_user_sgpr_private_segment_buffer 1
		.amdhsa_user_sgpr_dispatch_ptr 0
		.amdhsa_user_sgpr_queue_ptr 0
		.amdhsa_user_sgpr_kernarg_segment_ptr 1
		.amdhsa_user_sgpr_dispatch_id 0
		.amdhsa_user_sgpr_flat_scratch_init 0
		.amdhsa_user_sgpr_kernarg_preload_length 0
		.amdhsa_user_sgpr_kernarg_preload_offset 0
		.amdhsa_user_sgpr_private_segment_size 0
		.amdhsa_uses_dynamic_stack 0
		.amdhsa_system_sgpr_private_segment_wavefront_offset 0
		.amdhsa_system_sgpr_workgroup_id_x 1
		.amdhsa_system_sgpr_workgroup_id_y 0
		.amdhsa_system_sgpr_workgroup_id_z 1
		.amdhsa_system_sgpr_workgroup_info 0
		.amdhsa_system_vgpr_workitem_id 0
		.amdhsa_next_free_vgpr 8
		.amdhsa_next_free_sgpr 21
		.amdhsa_accum_offset 8
		.amdhsa_reserve_vcc 1
		.amdhsa_reserve_flat_scratch 0
		.amdhsa_float_round_mode_32 0
		.amdhsa_float_round_mode_16_64 0
		.amdhsa_float_denorm_mode_32 3
		.amdhsa_float_denorm_mode_16_64 3
		.amdhsa_dx10_clamp 1
		.amdhsa_ieee_mode 1
		.amdhsa_fp16_overflow 0
		.amdhsa_tg_split 0
		.amdhsa_exception_fp_ieee_invalid_op 0
		.amdhsa_exception_fp_denorm_src 0
		.amdhsa_exception_fp_ieee_div_zero 0
		.amdhsa_exception_fp_ieee_overflow 0
		.amdhsa_exception_fp_ieee_underflow 0
		.amdhsa_exception_fp_ieee_inexact 0
		.amdhsa_exception_int_div_zero 0
	.end_amdhsa_kernel
	.section	.text._ZL36rocblas_hemvn_kernel_upper_block_sumILi64EidPKPddEviT1_lS3_lT2_lT0_lPT3_i,"axG",@progbits,_ZL36rocblas_hemvn_kernel_upper_block_sumILi64EidPKPddEviT1_lS3_lT2_lT0_lPT3_i,comdat
.Lfunc_end167:
	.size	_ZL36rocblas_hemvn_kernel_upper_block_sumILi64EidPKPddEviT1_lS3_lT2_lT0_lPT3_i, .Lfunc_end167-_ZL36rocblas_hemvn_kernel_upper_block_sumILi64EidPKPddEviT1_lS3_lT2_lT0_lPT3_i
                                        ; -- End function
	.section	.AMDGPU.csdata,"",@progbits
; Kernel info:
; codeLenInByte = 608
; NumSgprs: 25
; NumVgprs: 8
; NumAgprs: 0
; TotalNumVgprs: 8
; ScratchSize: 0
; MemoryBound: 0
; FloatMode: 240
; IeeeMode: 1
; LDSByteSize: 0 bytes/workgroup (compile time only)
; SGPRBlocks: 3
; VGPRBlocks: 0
; NumSGPRsForWavesPerEU: 25
; NumVGPRsForWavesPerEU: 8
; AccumOffset: 8
; Occupancy: 8
; WaveLimiterHint : 1
; COMPUTE_PGM_RSRC2:SCRATCH_EN: 0
; COMPUTE_PGM_RSRC2:USER_SGPR: 6
; COMPUTE_PGM_RSRC2:TRAP_HANDLER: 0
; COMPUTE_PGM_RSRC2:TGID_X_EN: 1
; COMPUTE_PGM_RSRC2:TGID_Y_EN: 0
; COMPUTE_PGM_RSRC2:TGID_Z_EN: 1
; COMPUTE_PGM_RSRC2:TIDIG_COMP_CNT: 0
; COMPUTE_PGM_RSRC3_GFX90A:ACCUM_OFFSET: 1
; COMPUTE_PGM_RSRC3_GFX90A:TG_SPLIT: 0
	.section	.text._ZL50rocblas_symv_kernel_lower_double_buffered_diagonalILi32ELi4E24rocblas_internal_val_ptrIdEPKPKdPKPdEvbiT1_lT2_lllSA_lllS9_lT3_llli,"axG",@progbits,_ZL50rocblas_symv_kernel_lower_double_buffered_diagonalILi32ELi4E24rocblas_internal_val_ptrIdEPKPKdPKPdEvbiT1_lT2_lllSA_lllS9_lT3_llli,comdat
	.globl	_ZL50rocblas_symv_kernel_lower_double_buffered_diagonalILi32ELi4E24rocblas_internal_val_ptrIdEPKPKdPKPdEvbiT1_lT2_lllSA_lllS9_lT3_llli ; -- Begin function _ZL50rocblas_symv_kernel_lower_double_buffered_diagonalILi32ELi4E24rocblas_internal_val_ptrIdEPKPKdPKPdEvbiT1_lT2_lllSA_lllS9_lT3_llli
	.p2align	8
	.type	_ZL50rocblas_symv_kernel_lower_double_buffered_diagonalILi32ELi4E24rocblas_internal_val_ptrIdEPKPKdPKPdEvbiT1_lT2_lllSA_lllS9_lT3_llli,@function
_ZL50rocblas_symv_kernel_lower_double_buffered_diagonalILi32ELi4E24rocblas_internal_val_ptrIdEPKPKdPKPdEvbiT1_lT2_lllSA_lllS9_lT3_llli: ; @_ZL50rocblas_symv_kernel_lower_double_buffered_diagonalILi32ELi4E24rocblas_internal_val_ptrIdEPKPKdPKPdEvbiT1_lT2_lllSA_lllS9_lT3_llli
; %bb.0:
	s_load_dword s0, s[4:5], 0x0
	s_load_dwordx8 s[8:15], s[4:5], 0x8
	s_mov_b32 s18, s7
	s_waitcnt lgkmcnt(0)
	s_bitcmp1_b32 s0, 0
	s_load_dwordx2 s[16:17], s[4:5], 0x28
	s_load_dwordx4 s[0:3], s[4:5], 0x58
	s_cselect_b64 s[22:23], -1, 0
	s_xor_b64 s[20:21], s[22:23], -1
	s_and_b64 vcc, exec, s[22:23]
	v_pk_mov_b32 v[2:3], s[8:9], s[8:9] op_sel:[0,1]
	s_cbranch_vccnz .LBB168_2
; %bb.1:
	s_mul_i32 s7, s18, s11
	s_mul_hi_u32 s11, s18, s10
	s_add_i32 s11, s11, s7
	s_mul_i32 s10, s18, s10
	s_lshl_b64 s[10:11], s[10:11], 3
	s_add_u32 s8, s8, s10
	s_addc_u32 s9, s9, s11
	v_pk_mov_b32 v[2:3], s[8:9], s[8:9] op_sel:[0,1]
	flat_load_dwordx2 v[2:3], v[2:3]
.LBB168_2:
	s_andn2_b64 vcc, exec, s[20:21]
	s_waitcnt lgkmcnt(0)
	v_pk_mov_b32 v[4:5], s[0:1], s[0:1] op_sel:[0,1]
	s_cbranch_vccnz .LBB168_4
; %bb.3:
	s_mul_i32 s3, s18, s3
	s_mul_hi_u32 s7, s18, s2
	s_add_i32 s3, s7, s3
	s_mul_i32 s2, s18, s2
	s_lshl_b64 s[2:3], s[2:3], 3
	s_add_u32 s0, s0, s2
	s_addc_u32 s1, s1, s3
	v_pk_mov_b32 v[4:5], s[0:1], s[0:1] op_sel:[0,1]
	flat_load_dwordx2 v[4:5], v[4:5]
.LBB168_4:
	s_waitcnt vmcnt(0)
	v_cmp_neq_f64_e32 vcc, 0, v[2:3]
	s_waitcnt lgkmcnt(0)
	v_cmp_neq_f64_e64 s[0:1], 1.0, v[4:5]
	s_or_b64 s[0:1], vcc, s[0:1]
	s_and_saveexec_b64 s[2:3], s[0:1]
	s_cbranch_execz .LBB168_38
; %bb.5:
	v_cmp_neq_f64_e64 s[0:1], 0, v[2:3]
	v_cmp_eq_f64_e32 vcc, 0, v[2:3]
                                        ; implicit-def: $sgpr10_sgpr11
	s_and_saveexec_b64 s[2:3], vcc
	s_xor_b64 s[2:3], exec, s[2:3]
; %bb.6:
	s_mov_b32 s19, 0
	s_mov_b64 s[10:11], 0
; %bb.7:
	s_or_saveexec_b64 s[8:9], s[2:3]
	s_load_dwordx2 s[2:3], s[4:5], 0x68
	v_pk_mov_b32 v[10:11], s[18:19], s[18:19] op_sel:[0,1]
	v_pk_mov_b32 v[6:7], s[10:11], s[10:11] op_sel:[0,1]
	s_xor_b64 exec, exec, s[8:9]
	s_cbranch_execz .LBB168_9
; %bb.8:
	s_mov_b32 s19, 0
	s_lshl_b64 s[10:11], s[18:19], 3
	s_add_u32 s10, s12, s10
	s_addc_u32 s11, s13, s11
	s_load_dwordx2 s[10:11], s[10:11], 0x0
	s_lshl_b64 s[12:13], s[14:15], 3
	v_pk_mov_b32 v[10:11], s[18:19], s[18:19] op_sel:[0,1]
	s_waitcnt lgkmcnt(0)
	s_add_u32 s10, s10, s12
	s_addc_u32 s11, s11, s13
	v_pk_mov_b32 v[6:7], s[10:11], s[10:11] op_sel:[0,1]
.LBB168_9:
	s_or_b64 exec, exec, s[8:9]
	s_load_dwordx4 s[8:11], s[4:5], 0x38
	s_load_dwordx2 s[12:13], s[4:5], 0x48
	v_pk_mov_b32 v[8:9], 0, 0
	v_lshlrev_b64 v[10:11], 3, v[10:11]
	s_and_saveexec_b64 s[14:15], s[0:1]
	s_cbranch_execz .LBB168_11
; %bb.10:
	s_waitcnt lgkmcnt(0)
	v_mov_b32_e32 v1, s9
	v_add_co_u32_e64 v8, s[0:1], s8, v10
	v_addc_co_u32_e64 v9, s[0:1], v1, v11, s[0:1]
	global_load_dwordx2 v[8:9], v[8:9], off
	s_lshl_b64 s[0:1], s[10:11], 3
	v_mov_b32_e32 v1, s1
	s_waitcnt vmcnt(0)
	v_add_co_u32_e64 v8, s[0:1], s0, v8
	v_addc_co_u32_e64 v9, s[0:1], v9, v1, s[0:1]
.LBB168_11:
	s_or_b64 exec, exec, s[14:15]
	s_waitcnt lgkmcnt(0)
	v_mov_b32_e32 v1, s3
	v_add_co_u32_e64 v10, s[0:1], s2, v10
	v_addc_co_u32_e64 v11, s[0:1], v1, v11, s[0:1]
	global_load_dwordx2 v[14:15], v[10:11], off
	s_load_dwordx4 s[0:3], s[4:5], 0x70
	s_lshl_b32 s8, s6, 5
	s_ashr_i32 s9, s8, 31
	v_and_b32_e32 v10, 0x3ff, v0
	v_bfe_u32 v13, v0, 10, 10
	s_waitcnt lgkmcnt(0)
	s_mul_i32 s5, s8, s3
	s_mul_hi_u32 s6, s8, s2
	s_mul_i32 s7, s9, s2
	s_add_i32 s5, s6, s5
	s_mul_i32 s4, s8, s2
	s_add_i32 s5, s5, s7
	s_lshl_b64 s[0:1], s[0:1], 3
	s_lshl_b64 s[4:5], s[4:5], 3
	s_add_u32 s0, s4, s0
	s_addc_u32 s1, s5, s1
	v_mov_b32_e32 v0, s1
	s_waitcnt vmcnt(0)
	v_add_co_u32_e64 v11, s[0:1], s0, v14
	v_addc_co_u32_e64 v12, s[0:1], v0, v15, s[0:1]
	s_and_saveexec_b64 s[0:1], vcc
	s_xor_b64 s[0:1], exec, s[0:1]
	s_cbranch_execz .LBB168_15
; %bb.12:
	v_cmp_eq_u32_e32 vcc, 0, v13
	s_and_saveexec_b64 s[4:5], vcc
	s_cbranch_execz .LBB168_14
; %bb.13:
	v_mad_u64_u32 v[0:1], s[6:7], v10, s2, 0
	v_mov_b32_e32 v2, v1
	v_mad_u64_u32 v[2:3], s[6:7], v10, s3, v[2:3]
	v_mov_b32_e32 v1, v2
	v_lshlrev_b64 v[0:1], 3, v[0:1]
	v_add_co_u32_e32 v0, vcc, v11, v0
	v_addc_co_u32_e32 v1, vcc, v12, v1, vcc
	global_load_dwordx2 v[2:3], v[0:1], off
	s_waitcnt vmcnt(0)
	v_mul_f64 v[2:3], v[4:5], v[2:3]
	global_store_dwordx2 v[0:1], v[2:3], off
.LBB168_14:
	s_or_b64 exec, exec, s[4:5]
                                        ; implicit-def: $vgpr13
                                        ; implicit-def: $vgpr10
                                        ; implicit-def: $vgpr2_vgpr3
                                        ; implicit-def: $vgpr4_vgpr5
                                        ; implicit-def: $vgpr11
                                        ; implicit-def: $vgpr12
                                        ; implicit-def: $vgpr6_vgpr7
                                        ; implicit-def: $vgpr8_vgpr9
.LBB168_15:
	s_andn2_saveexec_b64 s[0:1], s[0:1]
	s_cbranch_execz .LBB168_38
; %bb.16:
	v_cmp_eq_u32_e32 vcc, 0, v13
	v_pk_mov_b32 v[0:1], 0, 0
	s_and_saveexec_b64 s[4:5], vcc
	s_cbranch_execz .LBB168_20
; %bb.17:
	v_cmp_neq_f64_e64 s[0:1], 0, v[4:5]
	v_pk_mov_b32 v[0:1], 0, 0
	s_and_saveexec_b64 s[6:7], s[0:1]
	s_cbranch_execz .LBB168_19
; %bb.18:
	v_mad_u64_u32 v[0:1], s[0:1], v10, s2, 0
	v_mov_b32_e32 v14, v1
	v_mad_u64_u32 v[14:15], s[0:1], v10, s3, v[14:15]
	v_mov_b32_e32 v1, v14
	v_lshlrev_b64 v[0:1], 3, v[0:1]
	v_add_co_u32_e64 v0, s[0:1], v11, v0
	v_addc_co_u32_e64 v1, s[0:1], v12, v1, s[0:1]
	global_load_dwordx2 v[0:1], v[0:1], off
	s_waitcnt vmcnt(0)
	v_mul_f64 v[0:1], v[4:5], v[0:1]
.LBB168_19:
	s_or_b64 exec, exec, s[6:7]
	s_mul_i32 s0, s8, s13
	s_mul_hi_u32 s1, s8, s12
	s_add_i32 s0, s1, s0
	s_mul_i32 s1, s9, s12
	s_add_i32 s1, s0, s1
	s_mul_i32 s0, s8, s12
	s_lshl_b64 s[0:1], s[0:1], 3
	v_mov_b32_e32 v14, s1
	v_add_co_u32_e64 v16, s[0:1], s0, v8
	v_addc_co_u32_e64 v17, s[0:1], v9, v14, s[0:1]
	v_mad_u64_u32 v[8:9], s[0:1], v10, s12, 0
	v_mov_b32_e32 v14, v9
	v_mad_u64_u32 v[14:15], s[0:1], v10, s13, v[14:15]
	v_mov_b32_e32 v9, v14
	v_lshlrev_b64 v[8:9], 3, v[8:9]
	v_add_co_u32_e64 v8, s[0:1], v16, v8
	v_addc_co_u32_e64 v9, s[0:1], v17, v9, s[0:1]
	flat_load_dwordx2 v[8:9], v[8:9]
	v_lshlrev_b32_e32 v14, 3, v10
	s_waitcnt vmcnt(0) lgkmcnt(0)
	ds_write_b64 v14, v[8:9] offset:10240
.LBB168_20:
	s_or_b64 exec, exec, s[4:5]
	s_add_u32 s0, s16, 1
	s_addc_u32 s1, s17, 0
	s_mul_i32 s4, s0, s9
	s_mul_hi_u32 s5, s0, s8
	s_add_i32 s4, s5, s4
	s_mul_i32 s1, s1, s8
	s_add_i32 s1, s4, s1
	s_mul_i32 s0, s0, s8
	s_lshl_b64 s[0:1], s[0:1], 3
	v_mov_b32_e32 v8, s1
	v_add_co_u32_e64 v14, s[0:1], s0, v6
	v_addc_co_u32_e64 v15, s[0:1], v7, v8, s[0:1]
	v_mad_u64_u32 v[6:7], s[0:1], v13, s16, 0
	v_mov_b32_e32 v8, v7
	v_mad_u64_u32 v[8:9], s[0:1], v13, s17, v[8:9]
	v_mov_b32_e32 v7, v8
	v_lshlrev_b64 v[6:7], 3, v[6:7]
	v_add_co_u32_e64 v6, s[0:1], v14, v6
	v_addc_co_u32_e64 v7, s[0:1], v15, v7, s[0:1]
	v_lshlrev_b32_e32 v8, 3, v10
	v_add_co_u32_e64 v6, s[0:1], v6, v8
	v_addc_co_u32_e64 v7, s[0:1], 0, v7, s[0:1]
	flat_load_dwordx2 v[14:15], v[6:7]
	v_lshl_add_u32 v9, v13, 5, v10
	s_lshl_b64 s[4:5], s[16:17], 5
	v_lshlrev_b32_e32 v9, 3, v9
	v_mov_b32_e32 v20, s5
	v_add_co_u32_e64 v6, s[0:1], s4, v6
	v_addc_co_u32_e64 v7, s[0:1], v7, v20, s[0:1]
	v_add_u32_e32 v19, 4, v13
	v_add_u32_e32 v18, 8, v13
	s_waitcnt vmcnt(0) lgkmcnt(0)
	ds_write_b64 v9, v[14:15]
	flat_load_dwordx2 v[16:17], v[6:7]
	v_lshlrev_b32_e32 v14, 5, v19
	v_add_lshl_u32 v14, v14, v10, 3
	v_add_co_u32_e64 v6, s[0:1], s4, v6
	v_addc_co_u32_e64 v7, s[0:1], v7, v20, s[0:1]
	v_lshlrev_b32_e32 v15, 5, v18
	v_add_lshl_u32 v15, v15, v10, 3
	s_waitcnt vmcnt(0) lgkmcnt(0)
	ds_write_b64 v14, v[16:17]
	flat_load_dwordx2 v[16:17], v[6:7]
	v_add_co_u32_e64 v6, s[0:1], s4, v6
	v_addc_co_u32_e64 v7, s[0:1], v7, v20, s[0:1]
	v_cmp_lt_u32_e64 s[0:1], 15, v10
	s_waitcnt vmcnt(0) lgkmcnt(0)
	ds_write_b64 v15, v[16:17]
	flat_load_dwordx2 v[20:21], v[6:7]
	v_add_u32_e32 v17, 12, v13
	v_lshlrev_b32_e32 v16, 5, v17
	v_add_lshl_u32 v16, v16, v10, 3
	s_waitcnt vmcnt(0) lgkmcnt(0)
	ds_write_b64 v16, v[20:21]
	s_and_saveexec_b64 s[6:7], s[0:1]
	s_cbranch_execz .LBB168_22
; %bb.21:
	v_mov_b32_e32 v22, s5
	v_add_co_u32_e64 v6, s[0:1], s4, v6
	v_addc_co_u32_e64 v7, s[0:1], v7, v22, s[0:1]
	flat_load_dwordx2 v[20:21], v[6:7]
	s_lshl_b64 s[0:1], s[16:17], 2
	s_lshl_b64 s[0:1], s[0:1], 3
	v_mov_b32_e32 v23, s1
	v_add_co_u32_e64 v6, s[0:1], s0, v6
	v_addc_co_u32_e64 v7, s[0:1], v7, v23, s[0:1]
	s_waitcnt vmcnt(0) lgkmcnt(0)
	ds_write_b64 v9, v[20:21] offset:4096
	flat_load_dwordx2 v[20:21], v[6:7]
	v_add_co_u32_e64 v6, s[0:1], s4, v6
	v_addc_co_u32_e64 v7, s[0:1], v7, v22, s[0:1]
	s_waitcnt vmcnt(0) lgkmcnt(0)
	ds_write_b64 v9, v[20:21] offset:5120
	flat_load_dwordx2 v[20:21], v[6:7]
	;; [unrolled: 5-line block ×3, first 2 shown]
	s_waitcnt vmcnt(0) lgkmcnt(0)
	ds_write_b64 v9, v[6:7] offset:7168
.LBB168_22:
	s_or_b64 exec, exec, s[6:7]
	v_cmp_lt_u32_e64 s[0:1], v10, v13
	v_lshlrev_b32_e32 v6, 5, v10
	s_waitcnt lgkmcnt(0)
	s_barrier
	s_and_saveexec_b64 s[4:5], s[0:1]
	s_cbranch_execz .LBB168_24
; %bb.23:
	v_add_lshl_u32 v7, v6, v13, 3
	ds_read_b64 v[20:21], v7
	s_waitcnt lgkmcnt(0)
	ds_write_b64 v9, v[20:21]
.LBB168_24:
	s_or_b64 exec, exec, s[4:5]
	v_sub_u32_e32 v7, v10, v13
	v_sub_u32_e32 v20, 0, v7
	v_max_i32_e32 v20, v7, v20
	v_cmp_gt_u32_e64 s[0:1], 4, v20
	v_add_lshl_u32 v21, v13, v6, 3
	s_and_saveexec_b64 s[4:5], s[0:1]
	s_cbranch_execnz .LBB168_39
; %bb.25:
	s_or_b64 exec, exec, s[4:5]
	v_cmp_gt_u32_e64 s[0:1], 8, v20
	s_and_saveexec_b64 s[4:5], s[0:1]
	s_cbranch_execnz .LBB168_40
.LBB168_26:
	s_or_b64 exec, exec, s[4:5]
	v_cmp_gt_u32_e64 s[0:1], 12, v20
	s_and_saveexec_b64 s[4:5], s[0:1]
	s_cbranch_execz .LBB168_28
.LBB168_27:
	ds_read_b64 v[22:23], v21 offset:96
	s_waitcnt lgkmcnt(0)
	ds_write_b64 v16, v[22:23]
.LBB168_28:
	s_or_b64 exec, exec, s[4:5]
	v_add_u32_e32 v7, 16, v13
	v_cmp_gt_u32_e64 s[0:1], 16, v20
	v_lshlrev_b32_e32 v7, 5, v7
	s_and_saveexec_b64 s[4:5], s[0:1]
	s_cbranch_execnz .LBB168_41
; %bb.29:
	s_or_b64 exec, exec, s[4:5]
	v_cmp_gt_u32_e64 s[0:1], 20, v20
	s_and_saveexec_b64 s[4:5], s[0:1]
	s_cbranch_execnz .LBB168_42
.LBB168_30:
	s_or_b64 exec, exec, s[4:5]
	v_cmp_gt_u32_e64 s[0:1], 24, v20
	s_and_saveexec_b64 s[4:5], s[0:1]
	s_cbranch_execz .LBB168_32
.LBB168_31:
	v_add_lshl_u32 v18, v18, v6, 3
	ds_read_b64 v[18:19], v18 offset:128
	s_waitcnt lgkmcnt(0)
	ds_write_b64 v9, v[18:19] offset:6144
.LBB168_32:
	s_or_b64 exec, exec, s[4:5]
	v_cmp_lt_u32_e64 s[0:1], 27, v20
	v_add_u32_e32 v18, 28, v13
                                        ; implicit-def: $vgpr19
	s_and_saveexec_b64 s[4:5], s[0:1]
	s_xor_b64 s[0:1], exec, s[4:5]
; %bb.33:
	v_add_u32_e32 v18, 28, v13
	v_lshl_add_u32 v19, v18, 5, v10
                                        ; implicit-def: $vgpr17
                                        ; implicit-def: $vgpr6
; %bb.34:
	s_andn2_saveexec_b64 s[0:1], s[0:1]
	s_cbranch_execz .LBB168_36
; %bb.35:
	v_add_lshl_u32 v6, v17, v6, 3
	ds_read_b64 v[20:21], v6 offset:128
	v_lshl_add_u32 v19, v18, 5, v10
	v_lshlrev_b32_e32 v6, 3, v19
	s_waitcnt lgkmcnt(0)
	ds_write_b64 v6, v[20:21]
.LBB168_36:
	s_or_b64 exec, exec, s[0:1]
	v_lshlrev_b32_e32 v36, 3, v13
	v_add_u32_e32 v6, 0x2800, v36
	s_waitcnt lgkmcnt(0)
	s_barrier
	ds_read2_b64 v[20:23], v6 offset1:4
	ds_read_b64 v[24:25], v9
	ds_read_b64 v[26:27], v14
	;; [unrolled: 1-line block ×4, first 2 shown]
	ds_read2_b64 v[14:17], v6 offset0:8 offset1:12
	s_waitcnt lgkmcnt(4)
	v_fma_f64 v[32:33], v[24:25], v[20:21], 0
	s_waitcnt lgkmcnt(3)
	v_fmac_f64_e32 v[32:33], v[26:27], v[22:23]
	ds_read2_b64 v[20:23], v6 offset0:16 offset1:20
	v_lshlrev_b32_e32 v6, 5, v13
	v_add_lshl_u32 v6, v6, v10, 3
	v_add_lshl_u32 v7, v7, v10, 3
	ds_read2st64_b64 v[24:27], v6 offset0:10 offset1:12
	v_lshlrev_b32_e32 v34, 3, v18
	v_lshlrev_b32_e32 v13, 3, v19
	ds_read_b64 v[6:7], v7
	ds_read_b64 v[18:19], v13
	ds_read_b64 v[34:35], v34 offset:10240
	ds_read_b64 v[36:37], v36 offset:10432
	s_waitcnt lgkmcnt(6)
	v_fmac_f64_e32 v[32:33], v[28:29], v[14:15]
	v_fmac_f64_e32 v[32:33], v[30:31], v[16:17]
	s_waitcnt lgkmcnt(3)
	v_fmac_f64_e32 v[32:33], v[6:7], v[20:21]
	v_fmac_f64_e32 v[32:33], v[24:25], v[22:23]
	;; [unrolled: 3-line block ×3, first 2 shown]
	ds_write_b64 v9, v[32:33] offset:8192
	s_waitcnt lgkmcnt(0)
	s_barrier
	s_and_saveexec_b64 s[0:1], vcc
	s_cbranch_execz .LBB168_38
; %bb.37:
	v_add_u32_e32 v13, 0x2000, v8
	ds_read2_b64 v[6:9], v13 offset1:32
	ds_read2_b64 v[14:17], v13 offset0:64 offset1:96
	v_cmp_neq_f64_e32 vcc, 0, v[4:5]
	s_waitcnt lgkmcnt(1)
	v_add_f64 v[6:7], v[6:7], 0
	v_add_f64 v[6:7], v[6:7], v[8:9]
	s_waitcnt lgkmcnt(0)
	v_add_f64 v[6:7], v[6:7], v[14:15]
	v_add_f64 v[6:7], v[6:7], v[16:17]
	v_mul_f64 v[8:9], v[2:3], v[6:7]
	v_fmac_f64_e32 v[0:1], v[2:3], v[6:7]
	v_mad_u64_u32 v[2:3], s[0:1], v10, s2, 0
	v_mov_b32_e32 v4, v3
	v_mad_u64_u32 v[4:5], s[0:1], v10, s3, v[4:5]
	v_mov_b32_e32 v3, v4
	v_lshlrev_b64 v[2:3], 3, v[2:3]
	v_cndmask_b32_e32 v1, v9, v1, vcc
	v_cndmask_b32_e32 v0, v8, v0, vcc
	v_add_co_u32_e32 v2, vcc, v11, v2
	v_addc_co_u32_e32 v3, vcc, v12, v3, vcc
	global_store_dwordx2 v[2:3], v[0:1], off
.LBB168_38:
	s_endpgm
.LBB168_39:
	ds_read_b64 v[22:23], v21 offset:32
	s_waitcnt lgkmcnt(0)
	ds_write_b64 v14, v[22:23]
	s_or_b64 exec, exec, s[4:5]
	v_cmp_gt_u32_e64 s[0:1], 8, v20
	s_and_saveexec_b64 s[4:5], s[0:1]
	s_cbranch_execz .LBB168_26
.LBB168_40:
	ds_read_b64 v[22:23], v21 offset:64
	s_waitcnt lgkmcnt(0)
	ds_write_b64 v15, v[22:23]
	s_or_b64 exec, exec, s[4:5]
	v_cmp_gt_u32_e64 s[0:1], 12, v20
	s_and_saveexec_b64 s[4:5], s[0:1]
	s_cbranch_execnz .LBB168_27
	s_branch .LBB168_28
.LBB168_41:
	ds_read_b64 v[22:23], v21 offset:128
	v_add_lshl_u32 v21, v7, v10, 3
	s_waitcnt lgkmcnt(0)
	ds_write_b64 v21, v[22:23]
	s_or_b64 exec, exec, s[4:5]
	v_cmp_gt_u32_e64 s[0:1], 20, v20
	s_and_saveexec_b64 s[4:5], s[0:1]
	s_cbranch_execz .LBB168_30
.LBB168_42:
	v_add_lshl_u32 v19, v19, v6, 3
	ds_read_b64 v[22:23], v19 offset:128
	s_waitcnt lgkmcnt(0)
	ds_write_b64 v9, v[22:23] offset:5120
	s_or_b64 exec, exec, s[4:5]
	v_cmp_gt_u32_e64 s[0:1], 24, v20
	s_and_saveexec_b64 s[4:5], s[0:1]
	s_cbranch_execnz .LBB168_31
	s_branch .LBB168_32
	.section	.rodata,"a",@progbits
	.p2align	6, 0x0
	.amdhsa_kernel _ZL50rocblas_symv_kernel_lower_double_buffered_diagonalILi32ELi4E24rocblas_internal_val_ptrIdEPKPKdPKPdEvbiT1_lT2_lllSA_lllS9_lT3_llli
		.amdhsa_group_segment_fixed_size 10496
		.amdhsa_private_segment_fixed_size 0
		.amdhsa_kernarg_size 140
		.amdhsa_user_sgpr_count 6
		.amdhsa_user_sgpr_private_segment_buffer 1
		.amdhsa_user_sgpr_dispatch_ptr 0
		.amdhsa_user_sgpr_queue_ptr 0
		.amdhsa_user_sgpr_kernarg_segment_ptr 1
		.amdhsa_user_sgpr_dispatch_id 0
		.amdhsa_user_sgpr_flat_scratch_init 0
		.amdhsa_user_sgpr_kernarg_preload_length 0
		.amdhsa_user_sgpr_kernarg_preload_offset 0
		.amdhsa_user_sgpr_private_segment_size 0
		.amdhsa_uses_dynamic_stack 0
		.amdhsa_system_sgpr_private_segment_wavefront_offset 0
		.amdhsa_system_sgpr_workgroup_id_x 1
		.amdhsa_system_sgpr_workgroup_id_y 0
		.amdhsa_system_sgpr_workgroup_id_z 1
		.amdhsa_system_sgpr_workgroup_info 0
		.amdhsa_system_vgpr_workitem_id 1
		.amdhsa_next_free_vgpr 38
		.amdhsa_next_free_sgpr 24
		.amdhsa_accum_offset 40
		.amdhsa_reserve_vcc 1
		.amdhsa_reserve_flat_scratch 0
		.amdhsa_float_round_mode_32 0
		.amdhsa_float_round_mode_16_64 0
		.amdhsa_float_denorm_mode_32 3
		.amdhsa_float_denorm_mode_16_64 3
		.amdhsa_dx10_clamp 1
		.amdhsa_ieee_mode 1
		.amdhsa_fp16_overflow 0
		.amdhsa_tg_split 0
		.amdhsa_exception_fp_ieee_invalid_op 0
		.amdhsa_exception_fp_denorm_src 0
		.amdhsa_exception_fp_ieee_div_zero 0
		.amdhsa_exception_fp_ieee_overflow 0
		.amdhsa_exception_fp_ieee_underflow 0
		.amdhsa_exception_fp_ieee_inexact 0
		.amdhsa_exception_int_div_zero 0
	.end_amdhsa_kernel
	.section	.text._ZL50rocblas_symv_kernel_lower_double_buffered_diagonalILi32ELi4E24rocblas_internal_val_ptrIdEPKPKdPKPdEvbiT1_lT2_lllSA_lllS9_lT3_llli,"axG",@progbits,_ZL50rocblas_symv_kernel_lower_double_buffered_diagonalILi32ELi4E24rocblas_internal_val_ptrIdEPKPKdPKPdEvbiT1_lT2_lllSA_lllS9_lT3_llli,comdat
.Lfunc_end168:
	.size	_ZL50rocblas_symv_kernel_lower_double_buffered_diagonalILi32ELi4E24rocblas_internal_val_ptrIdEPKPKdPKPdEvbiT1_lT2_lllSA_lllS9_lT3_llli, .Lfunc_end168-_ZL50rocblas_symv_kernel_lower_double_buffered_diagonalILi32ELi4E24rocblas_internal_val_ptrIdEPKPKdPKPdEvbiT1_lT2_lllSA_lllS9_lT3_llli
                                        ; -- End function
	.section	.AMDGPU.csdata,"",@progbits
; Kernel info:
; codeLenInByte = 2300
; NumSgprs: 28
; NumVgprs: 38
; NumAgprs: 0
; TotalNumVgprs: 38
; ScratchSize: 0
; MemoryBound: 0
; FloatMode: 240
; IeeeMode: 1
; LDSByteSize: 10496 bytes/workgroup (compile time only)
; SGPRBlocks: 3
; VGPRBlocks: 4
; NumSGPRsForWavesPerEU: 28
; NumVGPRsForWavesPerEU: 38
; AccumOffset: 40
; Occupancy: 3
; WaveLimiterHint : 1
; COMPUTE_PGM_RSRC2:SCRATCH_EN: 0
; COMPUTE_PGM_RSRC2:USER_SGPR: 6
; COMPUTE_PGM_RSRC2:TRAP_HANDLER: 0
; COMPUTE_PGM_RSRC2:TGID_X_EN: 1
; COMPUTE_PGM_RSRC2:TGID_Y_EN: 0
; COMPUTE_PGM_RSRC2:TGID_Z_EN: 1
; COMPUTE_PGM_RSRC2:TIDIG_COMP_CNT: 1
; COMPUTE_PGM_RSRC3_GFX90A:ACCUM_OFFSET: 9
; COMPUTE_PGM_RSRC3_GFX90A:TG_SPLIT: 0
	.section	.text._ZL54rocblas_symv_kernel_lower_double_buffered_non_diagonalILi32ELi4ELi4E24rocblas_internal_val_ptrIdEPKPKdPKPdEvbiT2_lT3_lllSA_lllT4_llli,"axG",@progbits,_ZL54rocblas_symv_kernel_lower_double_buffered_non_diagonalILi32ELi4ELi4E24rocblas_internal_val_ptrIdEPKPKdPKPdEvbiT2_lT3_lllSA_lllT4_llli,comdat
	.globl	_ZL54rocblas_symv_kernel_lower_double_buffered_non_diagonalILi32ELi4ELi4E24rocblas_internal_val_ptrIdEPKPKdPKPdEvbiT2_lT3_lllSA_lllT4_llli ; -- Begin function _ZL54rocblas_symv_kernel_lower_double_buffered_non_diagonalILi32ELi4ELi4E24rocblas_internal_val_ptrIdEPKPKdPKPdEvbiT2_lT3_lllSA_lllT4_llli
	.p2align	8
	.type	_ZL54rocblas_symv_kernel_lower_double_buffered_non_diagonalILi32ELi4ELi4E24rocblas_internal_val_ptrIdEPKPKdPKPdEvbiT2_lT3_lllSA_lllT4_llli,@function
_ZL54rocblas_symv_kernel_lower_double_buffered_non_diagonalILi32ELi4ELi4E24rocblas_internal_val_ptrIdEPKPKdPKPdEvbiT2_lT3_lllSA_lllT4_llli: ; @_ZL54rocblas_symv_kernel_lower_double_buffered_non_diagonalILi32ELi4ELi4E24rocblas_internal_val_ptrIdEPKPKdPKPdEvbiT2_lT3_lllSA_lllT4_llli
; %bb.0:
	s_load_dword s0, s[4:5], 0x0
	s_load_dwordx8 s[12:19], s[4:5], 0x8
	s_load_dwordx2 s[2:3], s[4:5], 0x28
	s_waitcnt lgkmcnt(0)
	s_bitcmp1_b32 s0, 0
	s_cselect_b64 s[0:1], -1, 0
	s_and_b64 vcc, exec, s[0:1]
	v_pk_mov_b32 v[8:9], s[12:13], s[12:13] op_sel:[0,1]
	s_cbranch_vccnz .LBB169_2
; %bb.1:
	s_mul_i32 s0, s8, s15
	s_mul_hi_u32 s1, s8, s14
	s_add_i32 s1, s1, s0
	s_mul_i32 s0, s8, s14
	s_lshl_b64 s[0:1], s[0:1], 3
	s_add_u32 s0, s12, s0
	s_addc_u32 s1, s13, s1
	v_pk_mov_b32 v[2:3], s[0:1], s[0:1] op_sel:[0,1]
	flat_load_dwordx2 v[8:9], v[2:3]
.LBB169_2:
	s_waitcnt vmcnt(0) lgkmcnt(0)
	v_cmp_neq_f64_e32 vcc, 0, v[8:9]
	s_and_saveexec_b64 s[0:1], vcc
	s_cbranch_execz .LBB169_22
; %bb.3:
	s_load_dwordx2 s[10:11], s[4:5], 0x80
	s_waitcnt lgkmcnt(0)
	v_cvt_f32_u32_e32 v1, s11
	s_add_i32 s0, s10, -1
	s_cmp_eq_u32 s6, s0
	v_rcp_iflag_f32_e32 v1, v1
	v_mul_f32_e32 v1, 0x4f7ffffe, v1
	v_cvt_u32_f32_e32 v1, v1
	v_readfirstlane_b32 s0, v1
	s_cbranch_scc1 .LBB169_22
; %bb.4:
	s_not_b32 s1, s6
	s_add_i32 s10, s10, s1
	s_sub_i32 s1, 0, s11
	s_mul_i32 s1, s1, s0
	s_mul_hi_u32 s1, s0, s1
	s_mov_b32 s9, 0
	s_add_i32 s0, s0, s1
	s_load_dwordx4 s[24:27], s[4:5], 0x38
	s_load_dwordx2 s[12:13], s[4:5], 0x48
	s_mul_hi_u32 s20, s10, s0
	s_lshl_b64 s[0:1], s[8:9], 3
	s_add_u32 s14, s16, s0
	s_addc_u32 s15, s17, s1
	s_load_dwordx2 s[22:23], s[4:5], 0x58
	s_waitcnt lgkmcnt(0)
	s_add_u32 s8, s24, s0
	s_addc_u32 s9, s25, s1
	s_load_dwordx2 s[8:9], s[8:9], 0x0
	v_and_b32_e32 v66, 0x3ff, v0
	s_add_u32 s16, s22, s0
	s_addc_u32 s17, s23, s1
	s_lshl_b64 s[0:1], s[26:27], 3
	s_waitcnt lgkmcnt(0)
	s_add_u32 s8, s8, s0
	s_addc_u32 s9, s9, s1
	s_lshl_b32 s22, s6, 5
	s_ashr_i32 s23, s22, 31
	s_mul_i32 s0, s22, s13
	s_mul_hi_u32 s1, s22, s12
	s_add_i32 s0, s1, s0
	s_mul_i32 s1, s23, s12
	s_add_i32 s1, s0, s1
	s_mul_i32 s0, s22, s12
	s_lshl_b64 s[0:1], s[0:1], 3
	v_bfe_u32 v0, v0, 10, 10
	s_add_u32 s6, s8, s0
	s_addc_u32 s21, s9, s1
	v_cmp_eq_u32_e32 vcc, 0, v0
	s_and_saveexec_b64 s[8:9], vcc
	s_cbranch_execz .LBB169_6
; %bb.5:
	v_mad_u64_u32 v[2:3], s[0:1], v66, s12, 0
	v_mov_b32_e32 v4, v3
	v_mad_u64_u32 v[4:5], s[0:1], v66, s13, v[4:5]
	v_mov_b32_e32 v3, v4
	v_lshlrev_b64 v[2:3], 3, v[2:3]
	v_mov_b32_e32 v1, s21
	v_add_co_u32_e64 v2, s[0:1], s6, v2
	v_addc_co_u32_e64 v3, s[0:1], v1, v3, s[0:1]
	global_load_dwordx2 v[2:3], v[2:3], off
	v_lshlrev_b32_e32 v1, 3, v66
	s_waitcnt vmcnt(0)
	ds_write_b64 v1, v[2:3] offset:6144
.LBB169_6:
	s_or_b64 exec, exec, s[8:9]
	s_mul_i32 s0, s20, s11
	s_sub_i32 s0, s10, s0
	s_add_i32 s1, s20, 1
	s_sub_i32 s8, s0, s11
	s_cmp_ge_u32 s0, s11
	s_cselect_b32 s1, s1, s20
	s_cselect_b32 s0, s8, s0
	s_add_i32 s8, s1, 1
	s_cmp_ge_u32 s0, s11
	s_cselect_b32 s0, s8, s1
	s_add_i32 s1, s11, -1
	s_cmp_lg_u32 s7, s1
	s_mov_b32 s20, s0
	s_cbranch_scc1 .LBB169_8
; %bb.7:
	s_mul_i32 s1, s0, s11
	s_sub_i32 s1, s10, s1
	s_add_i32 s20, s1, s0
.LBB169_8:
	s_cmp_eq_u32 s20, 0
	s_cbranch_scc1 .LBB169_22
; %bb.9:
	s_load_dwordx4 s[8:11], s[4:5], 0x60
	s_load_dwordx2 s[24:25], s[16:17], 0x0
	v_lshl_add_u32 v0, v0, 5, v66
	v_pk_mov_b32 v[16:17], 0, 0
	v_and_b32_e32 v10, 15, v66
	s_waitcnt lgkmcnt(0)
	s_lshl_b64 s[4:5], s[8:9], 3
	s_mul_i32 s1, s22, s11
	s_mul_hi_u32 s8, s22, s10
	s_add_u32 s9, s24, s4
	s_addc_u32 s17, s25, s5
	s_add_i32 s1, s8, s1
	s_mul_i32 s4, s23, s10
	s_add_i32 s5, s1, s4
	s_mul_i32 s4, s22, s10
	s_lshl_b64 s[4:5], s[4:5], 3
	s_add_u32 s16, s9, s4
	s_addc_u32 s17, s17, s5
	v_lshrrev_b32_e32 v67, 4, v0
	s_cmp_lt_i32 s20, 1
	v_pk_mov_b32 v[20:21], v[16:17], v[16:17] op_sel:[0,1]
	v_pk_mov_b32 v[22:23], v[16:17], v[16:17] op_sel:[0,1]
	;; [unrolled: 1-line block ×3, first 2 shown]
	s_barrier
	s_cbranch_scc1 .LBB169_19
; %bb.10:
	s_mul_i32 s7, s7, s0
	v_lshlrev_b32_e32 v3, 2, v67
	v_mov_b32_e32 v11, 0
	s_lshl_b32 s0, s7, 5
	s_load_dwordx2 s[4:5], s[14:15], 0x0
	v_mad_u64_u32 v[0:1], s[8:9], v3, s2, v[10:11]
	s_ashr_i32 s1, s0, 31
	s_mul_i32 s7, s0, s11
	s_mul_hi_u32 s14, s0, s10
	v_mov_b32_e32 v2, v1
	s_add_i32 s7, s14, s7
	s_mul_i32 s14, s1, s10
	v_mad_u64_u32 v[2:3], s[8:9], v3, s3, v[2:3]
	s_add_i32 s15, s7, s14
	s_mul_i32 s14, s0, s10
	s_lshl_b64 s[8:9], s[12:13], 8
	s_lshl_b64 s[14:15], s[14:15], 3
	s_add_u32 s24, s16, s14
	s_addc_u32 s25, s17, s15
	s_lshl_b64 s[14:15], s[18:19], 3
	s_waitcnt lgkmcnt(0)
	s_add_u32 s7, s4, s14
	s_addc_u32 s14, s5, s15
	s_add_u32 s4, s2, 1
	s_addc_u32 s5, s3, 0
	s_mul_i32 s15, s4, s23
	s_mul_hi_u32 s18, s4, s22
	s_add_i32 s15, s18, s15
	s_mul_i32 s5, s5, s22
	s_add_i32 s5, s15, s5
	s_mul_i32 s4, s4, s22
	s_lshl_b64 s[4:5], s[4:5], 3
	s_add_u32 s7, s7, s4
	s_addc_u32 s14, s14, s5
	s_lshl_b64 s[4:5], s[0:1], 3
	s_add_u32 s4, s7, s4
	s_addc_u32 s5, s14, s5
	s_mul_i32 s7, s0, s13
	s_mul_hi_u32 s14, s0, s12
	s_add_i32 s7, s14, s7
	s_mul_i32 s1, s1, s12
	s_add_i32 s1, s7, s1
	s_mul_i32 s0, s0, s12
	s_lshl_b64 s[0:1], s[0:1], 3
	v_mov_b32_e32 v1, v2
	s_add_u32 s14, s6, s0
	s_addc_u32 s15, s21, s1
	v_lshlrev_b64 v[12:13], 3, v[0:1]
	s_add_u32 s18, s4, 0x100
	v_mov_b32_e32 v1, s5
	v_add_co_u32_e64 v0, s[0:1], s4, v12
	s_addc_u32 s19, s5, 0
	v_addc_co_u32_e64 v1, s[0:1], v1, v13, s[0:1]
	s_lshl_b64 s[6:7], s[2:3], 3
	global_load_dwordx2 v[18:19], v[0:1], off offset:256
	v_mov_b32_e32 v11, s7
	v_add_co_u32_e64 v0, s[0:1], s6, v0
	v_addc_co_u32_e64 v1, s[0:1], v1, v11, s[0:1]
	global_load_dwordx2 v[24:25], v[0:1], off offset:256
	v_add_co_u32_e64 v0, s[0:1], s6, v0
	v_addc_co_u32_e64 v1, s[0:1], v1, v11, s[0:1]
	global_load_dwordx2 v[26:27], v[0:1], off offset:256
	;; [unrolled: 3-line block ×3, first 2 shown]
	v_mad_u64_u32 v[0:1], s[0:1], v10, s12, 0
	v_mov_b32_e32 v2, v1
	v_mad_u64_u32 v[2:3], s[0:1], v10, s13, v[2:3]
	v_or_b32_e32 v5, 16, v10
	v_mov_b32_e32 v1, v2
	v_mad_u64_u32 v[2:3], s[0:1], v5, s12, 0
	v_mov_b32_e32 v4, v3
	v_mad_u64_u32 v[4:5], s[0:1], v5, s13, v[4:5]
	v_lshlrev_b32_e32 v14, 5, v67
	v_mov_b32_e32 v3, v4
	v_or_b32_e32 v4, v14, v10
	v_mov_b32_e32 v15, 0x1000
	v_lshl_add_u32 v68, v4, 3, v15
	v_mad_u64_u32 v[4:5], s[0:1], v66, s10, 0
	v_mov_b32_e32 v6, v5
	v_mad_u64_u32 v[6:7], s[0:1], v66, s11, v[6:7]
	v_mov_b32_e32 v5, v6
	v_add_u32_e32 v69, 0x1800, v14
	v_lshl_add_u32 v70, v66, 3, v15
	v_pk_mov_b32 v[14:15], 0, 0
	s_add_i32 s21, s20, -1
	s_lshl_b64 s[12:13], s[10:11], 8
	s_mov_b32 s22, 0
	v_pk_mov_b32 v[28:29], s[24:25], s[24:25] op_sel:[0,1]
	v_lshlrev_b64 v[30:31], 3, v[0:1]
	v_lshlrev_b64 v[32:33], 3, v[2:3]
	;; [unrolled: 1-line block ×3, first 2 shown]
	v_pk_mov_b32 v[22:23], v[14:15], v[14:15] op_sel:[0,1]
	v_pk_mov_b32 v[20:21], v[14:15], v[14:15] op_sel:[0,1]
	;; [unrolled: 1-line block ×3, first 2 shown]
	s_waitcnt vmcnt(3)
	v_pk_mov_b32 v[38:39], v[18:19], v[18:19] op_sel:[0,1]
	s_waitcnt vmcnt(2)
	v_pk_mov_b32 v[40:41], v[24:25], v[24:25] op_sel:[0,1]
	;; [unrolled: 2-line block ×4, first 2 shown]
.LBB169_11:                             ; =>This Loop Header: Depth=1
                                        ;     Child Loop BB169_15 Depth 2
	s_add_u32 s14, s14, s8
	s_addc_u32 s15, s15, s9
	v_mov_b32_e32 v1, s15
	v_add_co_u32_e64 v0, s[0:1], s14, v30
	v_addc_co_u32_e64 v1, s[0:1], v1, v31, s[0:1]
	v_mov_b32_e32 v3, s15
	v_add_co_u32_e64 v2, s[0:1], s14, v32
	v_addc_co_u32_e64 v3, s[0:1], v3, v33, s[0:1]
	global_load_dwordx2 v[48:49], v[0:1], off
	global_load_dwordx2 v[46:47], v[2:3], off
	v_mov_b32_e32 v0, s19
	v_add_co_u32_e64 v58, s[0:1], s18, v12
	v_addc_co_u32_e64 v59, s[0:1], v0, v13, s[0:1]
	v_add_co_u32_e64 v60, s[0:1], s6, v58
	v_addc_co_u32_e64 v61, s[0:1], v59, v11, s[0:1]
	;; [unrolled: 2-line block ×3, first 2 shown]
	v_add_co_u32_e64 v64, s[2:3], s6, v62
	global_load_dwordx2 v[50:51], v[58:59], off offset:128
	global_load_dwordx2 v[52:53], v[60:61], off offset:128
	v_addc_co_u32_e64 v65, s[4:5], v63, v11, s[2:3]
	global_load_dwordx2 v[54:55], v[62:63], off offset:128
	global_load_dwordx2 v[56:57], v[64:65], off offset:128
	ds_read_b128 v[4:7], v69
	ds_read_b128 v[0:3], v69 offset:16
	s_cmp_eq_u32 s22, s21
	s_cbranch_scc1 .LBB169_13
; %bb.12:                               ;   in Loop: Header=BB169_11 Depth=1
	v_mov_b32_e32 v38, s7
	v_addc_co_u32_e64 v63, s[0:1], v61, v38, s[0:1]
	v_addc_co_u32_e64 v65, s[0:1], v63, v38, s[2:3]
	global_load_dwordx2 v[38:39], v[58:59], off offset:256
	global_load_dwordx2 v[40:41], v[60:61], off offset:256
	;; [unrolled: 1-line block ×4, first 2 shown]
.LBB169_13:                             ;   in Loop: Header=BB169_11 Depth=1
	s_waitcnt lgkmcnt(1)
	v_fma_f64 v[58:59], v[18:19], v[4:5], 0
	s_waitcnt vmcnt(3)
	v_fma_f64 v[4:5], v[50:51], v[4:5], 0
	v_fmac_f64_e32 v[58:59], v[24:25], v[6:7]
	s_waitcnt vmcnt(2)
	v_fmac_f64_e32 v[4:5], v[52:53], v[6:7]
	s_waitcnt lgkmcnt(0)
	v_fmac_f64_e32 v[58:59], v[26:27], v[0:1]
	s_waitcnt vmcnt(1)
	v_fmac_f64_e32 v[4:5], v[54:55], v[0:1]
	v_fmac_f64_e32 v[58:59], v[36:37], v[2:3]
	s_waitcnt vmcnt(0)
	v_fmac_f64_e32 v[4:5], v[56:57], v[2:3]
	s_barrier
	ds_write2_b64 v68, v[58:59], v[4:5] offset1:16
	s_waitcnt lgkmcnt(0)
	s_barrier
	s_and_saveexec_b64 s[2:3], vcc
	s_cbranch_execz .LBB169_17
; %bb.14:                               ;   in Loop: Header=BB169_11 Depth=1
	v_mov_b32_e32 v0, s13
	v_add_co_u32_e64 v28, s[0:1], s12, v28
	v_addc_co_u32_e64 v29, s[0:1], v29, v0, s[0:1]
	v_add_co_u32_e64 v4, s[0:1], v28, v34
	v_addc_co_u32_e64 v5, s[0:1], v29, v35, s[0:1]
	global_load_dwordx2 v[2:3], v[4:5], off
	ds_read2_b64 v[58:61], v70 offset1:32
	ds_read2_b64 v[62:65], v70 offset0:64 offset1:96
	ds_read2_b64 v[72:75], v70 offset0:128 offset1:160
	s_mov_b64 s[4:5], 0
	s_waitcnt lgkmcnt(2)
	v_add_f64 v[0:1], v[58:59], 0
	v_add_f64 v[0:1], v[0:1], v[60:61]
	ds_read2_b64 v[58:61], v70 offset0:192 offset1:224
	s_waitcnt lgkmcnt(2)
	v_add_f64 v[0:1], v[0:1], v[62:63]
	v_add_f64 v[0:1], v[0:1], v[64:65]
	s_waitcnt lgkmcnt(1)
	v_add_f64 v[0:1], v[0:1], v[72:73]
	v_add_f64 v[0:1], v[0:1], v[74:75]
	;; [unrolled: 3-line block ×3, first 2 shown]
	v_mul_f64 v[6:7], v[8:9], v[0:1]
.LBB169_15:                             ;   Parent Loop BB169_11 Depth=1
                                        ; =>  This Inner Loop Header: Depth=2
	s_waitcnt vmcnt(0)
	v_add_f64 v[0:1], v[2:3], v[6:7]
	global_atomic_cmpswap_x2 v[0:1], v[4:5], v[0:3], off glc
	s_waitcnt vmcnt(0)
	v_cmp_eq_u64_e64 s[0:1], v[0:1], v[2:3]
	s_or_b64 s[4:5], s[0:1], s[4:5]
	v_pk_mov_b32 v[2:3], v[0:1], v[0:1] op_sel:[0,1]
	s_andn2_b64 exec, exec, s[4:5]
	s_cbranch_execnz .LBB169_15
; %bb.16:                               ;   in Loop: Header=BB169_11 Depth=1
	s_or_b64 exec, exec, s[4:5]
.LBB169_17:                             ;   in Loop: Header=BB169_11 Depth=1
	s_or_b64 exec, exec, s[2:3]
	s_add_u32 s18, s18, 0x100
	v_fmac_f64_e32 v[14:15], v[48:49], v[18:19]
	v_fmac_f64_e32 v[22:23], v[48:49], v[24:25]
	;; [unrolled: 1-line block ×4, first 2 shown]
	s_addc_u32 s19, s19, 0
	s_add_i32 s22, s22, 1
	v_fmac_f64_e32 v[14:15], v[46:47], v[50:51]
	v_fmac_f64_e32 v[22:23], v[46:47], v[52:53]
	;; [unrolled: 1-line block ×4, first 2 shown]
	s_cmp_eq_u32 s22, s20
	s_cbranch_scc1 .LBB169_19
; %bb.18:                               ;   in Loop: Header=BB169_11 Depth=1
	v_pk_mov_b32 v[18:19], v[38:39], v[38:39] op_sel:[0,1]
	v_pk_mov_b32 v[24:25], v[40:41], v[40:41] op_sel:[0,1]
	;; [unrolled: 1-line block ×4, first 2 shown]
	s_branch .LBB169_11
.LBB169_19:
	v_lshlrev_b32_e32 v0, 3, v10
	v_lshl_or_b32 v0, v67, 9, v0
	ds_write2_b64 v0, v[14:15], v[22:23] offset1:16
	ds_write2_b64 v0, v[20:21], v[16:17] offset0:32 offset1:48
	s_waitcnt lgkmcnt(0)
	s_barrier
	s_and_b64 exec, exec, vcc
	s_cbranch_execz .LBB169_22
; %bb.20:
	v_mad_u64_u32 v[0:1], s[0:1], v66, s10, 0
	v_mov_b32_e32 v2, v1
	v_mad_u64_u32 v[2:3], s[0:1], v66, s11, v[2:3]
	v_mov_b32_e32 v1, v2
	v_lshlrev_b64 v[0:1], 3, v[0:1]
	v_mov_b32_e32 v2, s17
	v_add_co_u32_e32 v4, vcc, s16, v0
	v_addc_co_u32_e32 v5, vcc, v2, v1, vcc
	global_load_dwordx2 v[2:3], v[4:5], off
	v_lshlrev_b32_e32 v18, 4, v66
	v_add_u32_e32 v1, 1, v66
	v_and_or_b32 v1, v1, 15, v18
	v_lshlrev_b32_e32 v6, 3, v1
	v_add_u32_e32 v1, 2, v66
	v_or_b32_e32 v19, v10, v18
	v_and_or_b32 v1, v1, 15, v18
	v_lshlrev_b32_e32 v0, 3, v19
	v_lshlrev_b32_e32 v10, 3, v1
	v_add_u32_e32 v1, 3, v66
	v_and_or_b32 v12, v1, 15, v18
	ds_read_b64 v[0:1], v0
	ds_read_b64 v[6:7], v6
	;; [unrolled: 1-line block ×3, first 2 shown]
	v_lshlrev_b32_e32 v12, 3, v12
	ds_read_b64 v[12:13], v12
	s_waitcnt lgkmcnt(3)
	v_add_f64 v[0:1], v[0:1], 0
	s_waitcnt lgkmcnt(2)
	v_add_f64 v[0:1], v[0:1], v[6:7]
	v_add_u32_e32 v7, 5, v66
	v_and_or_b32 v7, v7, 15, v18
	s_waitcnt lgkmcnt(1)
	v_add_f64 v[0:1], v[0:1], v[10:11]
	v_lshlrev_b32_e32 v10, 3, v7
	v_add_u32_e32 v7, 6, v66
	v_and_or_b32 v7, v7, 15, v18
	v_add_u32_e32 v6, 4, v66
	v_lshlrev_b32_e32 v14, 3, v7
	v_add_u32_e32 v7, 7, v66
	v_and_or_b32 v6, v6, 15, v18
	v_and_or_b32 v7, v7, 15, v18
	v_lshlrev_b32_e32 v6, 3, v6
	v_lshlrev_b32_e32 v16, 3, v7
	ds_read_b64 v[6:7], v6
	ds_read_b64 v[10:11], v10
	;; [unrolled: 1-line block ×4, first 2 shown]
	s_waitcnt lgkmcnt(4)
	v_add_f64 v[0:1], v[0:1], v[12:13]
	s_waitcnt lgkmcnt(3)
	v_add_f64 v[0:1], v[0:1], v[6:7]
	v_add_u32_e32 v7, 9, v66
	v_and_or_b32 v7, v7, 15, v18
	s_waitcnt lgkmcnt(2)
	v_add_f64 v[0:1], v[0:1], v[10:11]
	v_lshlrev_b32_e32 v10, 3, v7
	v_add_u32_e32 v7, 10, v66
	v_xor_b32_e32 v6, 8, v19
	v_and_or_b32 v7, v7, 15, v18
	v_lshlrev_b32_e32 v6, 3, v6
	v_lshlrev_b32_e32 v12, 3, v7
	v_add_u32_e32 v7, 11, v66
	s_waitcnt lgkmcnt(1)
	v_add_f64 v[0:1], v[0:1], v[14:15]
	v_and_or_b32 v14, v7, 15, v18
	ds_read_b64 v[6:7], v6
	ds_read_b64 v[10:11], v10
	ds_read_b64 v[12:13], v12
	s_waitcnt lgkmcnt(3)
	v_add_f64 v[0:1], v[0:1], v[16:17]
	v_lshlrev_b32_e32 v14, 3, v14
	s_waitcnt lgkmcnt(2)
	v_add_f64 v[0:1], v[0:1], v[6:7]
	v_add_u32_e32 v7, 13, v66
	v_and_or_b32 v7, v7, 15, v18
	s_waitcnt lgkmcnt(1)
	v_add_f64 v[0:1], v[0:1], v[10:11]
	v_lshlrev_b32_e32 v10, 3, v7
	v_add_u32_e32 v7, 14, v66
	ds_read_b64 v[14:15], v14
	v_and_or_b32 v7, v7, 15, v18
	s_waitcnt lgkmcnt(1)
	v_add_f64 v[0:1], v[0:1], v[12:13]
	v_add_u32_e32 v6, 12, v66
	v_lshlrev_b32_e32 v12, 3, v7
	v_add_u32_e32 v7, -1, v66
	v_and_or_b32 v6, v6, 15, v18
	v_and_or_b32 v7, v7, 15, v18
	v_lshlrev_b32_e32 v6, 3, v6
	v_lshlrev_b32_e32 v16, 3, v7
	ds_read_b64 v[6:7], v6
	ds_read_b64 v[10:11], v10
	;; [unrolled: 1-line block ×4, first 2 shown]
	s_waitcnt lgkmcnt(4)
	v_add_f64 v[0:1], v[0:1], v[14:15]
	s_waitcnt lgkmcnt(3)
	v_add_f64 v[0:1], v[0:1], v[6:7]
	;; [unrolled: 2-line block ×5, first 2 shown]
	s_mov_b64 s[0:1], 0
	v_mul_f64 v[6:7], v[8:9], v[0:1]
.LBB169_21:                             ; =>This Inner Loop Header: Depth=1
	s_waitcnt vmcnt(0)
	v_add_f64 v[0:1], v[2:3], v[6:7]
	global_atomic_cmpswap_x2 v[0:1], v[4:5], v[0:3], off glc
	s_waitcnt vmcnt(0)
	v_cmp_eq_u64_e32 vcc, v[0:1], v[2:3]
	s_or_b64 s[0:1], vcc, s[0:1]
	v_pk_mov_b32 v[2:3], v[0:1], v[0:1] op_sel:[0,1]
	s_andn2_b64 exec, exec, s[0:1]
	s_cbranch_execnz .LBB169_21
.LBB169_22:
	s_endpgm
	.section	.rodata,"a",@progbits
	.p2align	6, 0x0
	.amdhsa_kernel _ZL54rocblas_symv_kernel_lower_double_buffered_non_diagonalILi32ELi4ELi4E24rocblas_internal_val_ptrIdEPKPKdPKPdEvbiT2_lT3_lllSA_lllT4_llli
		.amdhsa_group_segment_fixed_size 6400
		.amdhsa_private_segment_fixed_size 0
		.amdhsa_kernarg_size 384
		.amdhsa_user_sgpr_count 6
		.amdhsa_user_sgpr_private_segment_buffer 1
		.amdhsa_user_sgpr_dispatch_ptr 0
		.amdhsa_user_sgpr_queue_ptr 0
		.amdhsa_user_sgpr_kernarg_segment_ptr 1
		.amdhsa_user_sgpr_dispatch_id 0
		.amdhsa_user_sgpr_flat_scratch_init 0
		.amdhsa_user_sgpr_kernarg_preload_length 0
		.amdhsa_user_sgpr_kernarg_preload_offset 0
		.amdhsa_user_sgpr_private_segment_size 0
		.amdhsa_uses_dynamic_stack 0
		.amdhsa_system_sgpr_private_segment_wavefront_offset 0
		.amdhsa_system_sgpr_workgroup_id_x 1
		.amdhsa_system_sgpr_workgroup_id_y 1
		.amdhsa_system_sgpr_workgroup_id_z 1
		.amdhsa_system_sgpr_workgroup_info 0
		.amdhsa_system_vgpr_workitem_id 1
		.amdhsa_next_free_vgpr 76
		.amdhsa_next_free_sgpr 28
		.amdhsa_accum_offset 76
		.amdhsa_reserve_vcc 1
		.amdhsa_reserve_flat_scratch 0
		.amdhsa_float_round_mode_32 0
		.amdhsa_float_round_mode_16_64 0
		.amdhsa_float_denorm_mode_32 3
		.amdhsa_float_denorm_mode_16_64 3
		.amdhsa_dx10_clamp 1
		.amdhsa_ieee_mode 1
		.amdhsa_fp16_overflow 0
		.amdhsa_tg_split 0
		.amdhsa_exception_fp_ieee_invalid_op 0
		.amdhsa_exception_fp_denorm_src 0
		.amdhsa_exception_fp_ieee_div_zero 0
		.amdhsa_exception_fp_ieee_overflow 0
		.amdhsa_exception_fp_ieee_underflow 0
		.amdhsa_exception_fp_ieee_inexact 0
		.amdhsa_exception_int_div_zero 0
	.end_amdhsa_kernel
	.section	.text._ZL54rocblas_symv_kernel_lower_double_buffered_non_diagonalILi32ELi4ELi4E24rocblas_internal_val_ptrIdEPKPKdPKPdEvbiT2_lT3_lllSA_lllT4_llli,"axG",@progbits,_ZL54rocblas_symv_kernel_lower_double_buffered_non_diagonalILi32ELi4ELi4E24rocblas_internal_val_ptrIdEPKPKdPKPdEvbiT2_lT3_lllSA_lllT4_llli,comdat
.Lfunc_end169:
	.size	_ZL54rocblas_symv_kernel_lower_double_buffered_non_diagonalILi32ELi4ELi4E24rocblas_internal_val_ptrIdEPKPKdPKPdEvbiT2_lT3_lllSA_lllT4_llli, .Lfunc_end169-_ZL54rocblas_symv_kernel_lower_double_buffered_non_diagonalILi32ELi4ELi4E24rocblas_internal_val_ptrIdEPKPKdPKPdEvbiT2_lT3_lllSA_lllT4_llli
                                        ; -- End function
	.section	.AMDGPU.csdata,"",@progbits
; Kernel info:
; codeLenInByte = 2572
; NumSgprs: 32
; NumVgprs: 76
; NumAgprs: 0
; TotalNumVgprs: 76
; ScratchSize: 0
; MemoryBound: 0
; FloatMode: 240
; IeeeMode: 1
; LDSByteSize: 6400 bytes/workgroup (compile time only)
; SGPRBlocks: 3
; VGPRBlocks: 9
; NumSGPRsForWavesPerEU: 32
; NumVGPRsForWavesPerEU: 76
; AccumOffset: 76
; Occupancy: 5
; WaveLimiterHint : 1
; COMPUTE_PGM_RSRC2:SCRATCH_EN: 0
; COMPUTE_PGM_RSRC2:USER_SGPR: 6
; COMPUTE_PGM_RSRC2:TRAP_HANDLER: 0
; COMPUTE_PGM_RSRC2:TGID_X_EN: 1
; COMPUTE_PGM_RSRC2:TGID_Y_EN: 1
; COMPUTE_PGM_RSRC2:TGID_Z_EN: 1
; COMPUTE_PGM_RSRC2:TIDIG_COMP_CNT: 1
; COMPUTE_PGM_RSRC3_GFX90A:ACCUM_OFFSET: 18
; COMPUTE_PGM_RSRC3_GFX90A:TG_SPLIT: 0
	.section	.text._ZL58rocblas_symv_kernel_lower_double_buffered_diagonal_genericILi32ELi4E24rocblas_internal_val_ptrIdEPKPKdPKPdEvbiT1_lT2_lllSA_lllS9_lT3_lllii,"axG",@progbits,_ZL58rocblas_symv_kernel_lower_double_buffered_diagonal_genericILi32ELi4E24rocblas_internal_val_ptrIdEPKPKdPKPdEvbiT1_lT2_lllSA_lllS9_lT3_lllii,comdat
	.globl	_ZL58rocblas_symv_kernel_lower_double_buffered_diagonal_genericILi32ELi4E24rocblas_internal_val_ptrIdEPKPKdPKPdEvbiT1_lT2_lllSA_lllS9_lT3_lllii ; -- Begin function _ZL58rocblas_symv_kernel_lower_double_buffered_diagonal_genericILi32ELi4E24rocblas_internal_val_ptrIdEPKPKdPKPdEvbiT1_lT2_lllSA_lllS9_lT3_lllii
	.p2align	8
	.type	_ZL58rocblas_symv_kernel_lower_double_buffered_diagonal_genericILi32ELi4E24rocblas_internal_val_ptrIdEPKPKdPKPdEvbiT1_lT2_lllSA_lllS9_lT3_lllii,@function
_ZL58rocblas_symv_kernel_lower_double_buffered_diagonal_genericILi32ELi4E24rocblas_internal_val_ptrIdEPKPKdPKPdEvbiT1_lT2_lllSA_lllS9_lT3_lllii: ; @_ZL58rocblas_symv_kernel_lower_double_buffered_diagonal_genericILi32ELi4E24rocblas_internal_val_ptrIdEPKPKdPKPdEvbiT1_lT2_lllSA_lllS9_lT3_lllii
; %bb.0:
	s_load_dword s0, s[4:5], 0x0
	s_load_dwordx8 s[8:15], s[4:5], 0x8
	s_mov_b32 s18, s7
	s_waitcnt lgkmcnt(0)
	s_bitcmp1_b32 s0, 0
	s_load_dwordx2 s[16:17], s[4:5], 0x28
	s_load_dwordx4 s[0:3], s[4:5], 0x58
	s_cselect_b64 s[22:23], -1, 0
	s_xor_b64 s[20:21], s[22:23], -1
	s_and_b64 vcc, exec, s[22:23]
	v_pk_mov_b32 v[4:5], s[8:9], s[8:9] op_sel:[0,1]
	s_cbranch_vccnz .LBB170_2
; %bb.1:
	s_mul_i32 s7, s18, s11
	s_mul_hi_u32 s11, s18, s10
	s_add_i32 s11, s11, s7
	s_mul_i32 s10, s18, s10
	s_lshl_b64 s[10:11], s[10:11], 3
	s_add_u32 s8, s8, s10
	s_addc_u32 s9, s9, s11
	v_pk_mov_b32 v[2:3], s[8:9], s[8:9] op_sel:[0,1]
	flat_load_dwordx2 v[4:5], v[2:3]
.LBB170_2:
	s_andn2_b64 vcc, exec, s[20:21]
	s_waitcnt lgkmcnt(0)
	v_pk_mov_b32 v[2:3], s[0:1], s[0:1] op_sel:[0,1]
	s_cbranch_vccnz .LBB170_4
; %bb.3:
	s_mul_i32 s3, s18, s3
	s_mul_hi_u32 s7, s18, s2
	s_add_i32 s3, s7, s3
	s_mul_i32 s2, s18, s2
	s_lshl_b64 s[2:3], s[2:3], 3
	s_add_u32 s0, s0, s2
	s_addc_u32 s1, s1, s3
	v_pk_mov_b32 v[2:3], s[0:1], s[0:1] op_sel:[0,1]
	flat_load_dwordx2 v[2:3], v[2:3]
.LBB170_4:
	s_waitcnt vmcnt(0)
	v_cmp_neq_f64_e32 vcc, 0, v[4:5]
	s_waitcnt lgkmcnt(0)
	v_cmp_neq_f64_e64 s[0:1], 1.0, v[2:3]
	s_or_b64 s[0:1], vcc, s[0:1]
	s_and_saveexec_b64 s[2:3], s[0:1]
	s_cbranch_execz .LBB170_74
; %bb.5:
	v_cmp_neq_f64_e64 s[0:1], 0, v[4:5]
	v_cmp_eq_f64_e32 vcc, 0, v[4:5]
                                        ; implicit-def: $sgpr10_sgpr11
	s_and_saveexec_b64 s[2:3], vcc
	s_xor_b64 s[2:3], exec, s[2:3]
; %bb.6:
	s_mov_b32 s19, 0
	s_mov_b64 s[10:11], 0
; %bb.7:
	s_or_saveexec_b64 s[8:9], s[2:3]
	s_load_dwordx2 s[2:3], s[4:5], 0x68
	v_pk_mov_b32 v[10:11], s[18:19], s[18:19] op_sel:[0,1]
	v_pk_mov_b32 v[6:7], s[10:11], s[10:11] op_sel:[0,1]
	s_xor_b64 exec, exec, s[8:9]
	s_cbranch_execz .LBB170_9
; %bb.8:
	s_mov_b32 s19, 0
	s_lshl_b64 s[10:11], s[18:19], 3
	s_add_u32 s10, s12, s10
	s_addc_u32 s11, s13, s11
	s_load_dwordx2 s[10:11], s[10:11], 0x0
	s_lshl_b64 s[12:13], s[14:15], 3
	v_pk_mov_b32 v[10:11], s[18:19], s[18:19] op_sel:[0,1]
	s_waitcnt lgkmcnt(0)
	s_add_u32 s10, s10, s12
	s_addc_u32 s11, s11, s13
	v_pk_mov_b32 v[6:7], s[10:11], s[10:11] op_sel:[0,1]
.LBB170_9:
	s_or_b64 exec, exec, s[8:9]
	s_load_dwordx4 s[8:11], s[4:5], 0x38
	s_load_dwordx2 s[12:13], s[4:5], 0x48
	v_pk_mov_b32 v[8:9], 0, 0
	v_lshlrev_b64 v[10:11], 3, v[10:11]
	s_and_saveexec_b64 s[14:15], s[0:1]
	s_cbranch_execz .LBB170_11
; %bb.10:
	s_waitcnt lgkmcnt(0)
	v_mov_b32_e32 v1, s9
	v_add_co_u32_e64 v8, s[0:1], s8, v10
	v_addc_co_u32_e64 v9, s[0:1], v1, v11, s[0:1]
	global_load_dwordx2 v[8:9], v[8:9], off
	s_lshl_b64 s[0:1], s[10:11], 3
	v_mov_b32_e32 v1, s1
	s_waitcnt vmcnt(0)
	v_add_co_u32_e64 v8, s[0:1], s0, v8
	v_addc_co_u32_e64 v9, s[0:1], v9, v1, s[0:1]
.LBB170_11:
	s_or_b64 exec, exec, s[14:15]
	s_waitcnt lgkmcnt(0)
	v_mov_b32_e32 v1, s3
	v_add_co_u32_e64 v10, s[0:1], s2, v10
	v_addc_co_u32_e64 v11, s[0:1], v1, v11, s[0:1]
	global_load_dwordx2 v[10:11], v[10:11], off
	s_load_dwordx4 s[0:3], s[4:5], 0x70
	s_load_dword s18, s[4:5], 0x88
	s_lshl_b32 s19, s6, 5
	s_ashr_i32 s20, s19, 31
	v_and_b32_e32 v19, 0x3ff, v0
	s_waitcnt lgkmcnt(0)
	s_mul_i32 s7, s19, s3
	s_mul_hi_u32 s9, s19, s2
	s_mul_i32 s10, s20, s2
	s_add_i32 s7, s9, s7
	s_mul_i32 s8, s19, s2
	s_add_i32 s9, s7, s10
	s_lshl_b64 s[0:1], s[0:1], 3
	s_lshl_b64 s[8:9], s[8:9], 3
	s_add_u32 s0, s8, s0
	s_addc_u32 s1, s9, s1
	v_bfe_u32 v22, v0, 10, 10
	v_mov_b32_e32 v0, s1
	s_waitcnt vmcnt(0)
	v_add_co_u32_e64 v20, s[0:1], s0, v10
	v_addc_co_u32_e64 v21, s[0:1], v0, v11, s[0:1]
	s_and_saveexec_b64 s[0:1], vcc
	s_xor_b64 s[0:1], exec, s[0:1]
	s_cbranch_execz .LBB170_18
; %bb.12:
	v_cmp_eq_u32_e32 vcc, 0, v22
	s_and_saveexec_b64 s[8:9], vcc
	s_cbranch_execz .LBB170_17
; %bb.13:
	v_cmp_gt_i32_e64 s[10:11], s18, v19
	v_cmp_le_i32_e32 vcc, s18, v19
	s_and_saveexec_b64 s[14:15], vcc
	s_cbranch_execz .LBB170_15
; %bb.14:
	s_load_dword s7, s[4:5], 0x90
	s_waitcnt lgkmcnt(0)
	s_add_i32 s7, s7, -1
	s_cmp_lt_u32 s6, s7
	s_cselect_b64 s[22:23], -1, 0
	s_andn2_b64 s[10:11], s[10:11], exec
	s_and_b64 s[22:23], s[22:23], exec
	s_or_b64 s[10:11], s[10:11], s[22:23]
.LBB170_15:
	s_or_b64 exec, exec, s[14:15]
	s_and_b64 exec, exec, s[10:11]
	s_cbranch_execz .LBB170_17
; %bb.16:
	v_mad_u64_u32 v[0:1], s[10:11], v19, s2, 0
	v_mov_b32_e32 v4, v1
	v_mad_u64_u32 v[4:5], s[10:11], v19, s3, v[4:5]
	v_mov_b32_e32 v1, v4
	v_lshlrev_b64 v[0:1], 3, v[0:1]
	v_add_co_u32_e32 v0, vcc, v20, v0
	v_addc_co_u32_e32 v1, vcc, v21, v1, vcc
	global_load_dwordx2 v[4:5], v[0:1], off
	s_waitcnt vmcnt(0)
	v_mul_f64 v[2:3], v[2:3], v[4:5]
	global_store_dwordx2 v[0:1], v[2:3], off
.LBB170_17:
	s_or_b64 exec, exec, s[8:9]
                                        ; implicit-def: $vgpr22
                                        ; implicit-def: $vgpr19
                                        ; implicit-def: $vgpr4_vgpr5
                                        ; implicit-def: $vgpr2_vgpr3
                                        ; implicit-def: $vgpr20
                                        ; implicit-def: $vgpr21
                                        ; implicit-def: $vgpr6_vgpr7
                                        ; implicit-def: $vgpr8_vgpr9
.LBB170_18:
	s_andn2_saveexec_b64 s[0:1], s[0:1]
	s_cbranch_execz .LBB170_74
; %bb.19:
	s_mul_i32 s0, s19, s13
	s_mul_hi_u32 s1, s19, s12
	s_add_i32 s0, s1, s0
	s_mul_i32 s1, s20, s12
	s_add_i32 s1, s0, s1
	s_mul_i32 s0, s19, s12
	s_lshl_b64 s[0:1], s[0:1], 3
	v_mov_b32_e32 v0, s1
	s_load_dword s1, s[4:5], 0x90
	v_add_co_u32_e32 v8, vcc, s0, v8
	v_addc_co_u32_e32 v9, vcc, v9, v0, vcc
	s_waitcnt lgkmcnt(0)
	s_add_i32 s1, s1, -1
	s_cmp_lg_u32 s6, s1
	s_cselect_b64 s[4:5], -1, 0
	v_cmp_eq_u32_e64 s[0:1], 0, v22
	s_and_b64 vcc, exec, s[4:5]
	s_cbranch_vccz .LBB170_25
; %bb.20:
	v_pk_mov_b32 v[0:1], 0, 0
	s_and_saveexec_b64 s[6:7], s[0:1]
	s_cbranch_execz .LBB170_24
; %bb.21:
	v_mad_u64_u32 v[0:1], s[8:9], v19, s12, 0
	v_mov_b32_e32 v10, v1
	v_mad_u64_u32 v[10:11], s[8:9], v19, s13, v[10:11]
	v_mov_b32_e32 v1, v10
	v_lshlrev_b64 v[0:1], 3, v[0:1]
	v_add_co_u32_e32 v0, vcc, v8, v0
	v_addc_co_u32_e32 v1, vcc, v9, v1, vcc
	flat_load_dwordx2 v[0:1], v[0:1]
	v_lshlrev_b32_e32 v10, 3, v19
	v_cmp_neq_f64_e32 vcc, 0, v[2:3]
	s_waitcnt vmcnt(0) lgkmcnt(0)
	ds_write_b64 v10, v[0:1] offset:10240
	v_pk_mov_b32 v[0:1], 0, 0
	s_and_saveexec_b64 s[8:9], vcc
	s_cbranch_execz .LBB170_23
; %bb.22:
	v_mad_u64_u32 v[0:1], s[10:11], v19, s2, 0
	v_mov_b32_e32 v10, v1
	v_mad_u64_u32 v[10:11], s[10:11], v19, s3, v[10:11]
	v_mov_b32_e32 v1, v10
	v_lshlrev_b64 v[0:1], 3, v[0:1]
	v_add_co_u32_e32 v0, vcc, v20, v0
	v_addc_co_u32_e32 v1, vcc, v21, v1, vcc
	global_load_dwordx2 v[0:1], v[0:1], off
	s_waitcnt vmcnt(0)
	v_mul_f64 v[0:1], v[2:3], v[0:1]
.LBB170_23:
	s_or_b64 exec, exec, s[8:9]
.LBB170_24:
	s_or_b64 exec, exec, s[6:7]
	s_cbranch_execz .LBB170_26
	s_branch .LBB170_35
.LBB170_25:
                                        ; implicit-def: $vgpr0_vgpr1
.LBB170_26:
	v_pk_mov_b32 v[0:1], 0, 0
	s_and_saveexec_b64 s[6:7], s[0:1]
	s_cbranch_execz .LBB170_34
; %bb.27:
	v_cmp_le_i32_e32 vcc, s18, v19
                                        ; implicit-def: $sgpr10_sgpr11
	s_and_saveexec_b64 s[8:9], vcc
	s_xor_b64 s[8:9], exec, s[8:9]
	s_cbranch_execz .LBB170_29
; %bb.28:
	v_mov_b32_e32 v0, 0
	v_lshlrev_b32_e32 v8, 3, v19
	v_mov_b32_e32 v1, v0
	ds_write_b64 v8, v[0:1] offset:10240
	s_mov_b64 s[10:11], 0
                                        ; implicit-def: $vgpr8
                                        ; implicit-def: $vgpr9
.LBB170_29:
	s_or_saveexec_b64 s[8:9], s[8:9]
	v_pk_mov_b32 v[0:1], s[10:11], s[10:11] op_sel:[0,1]
	s_xor_b64 exec, exec, s[8:9]
	s_cbranch_execz .LBB170_33
; %bb.30:
	v_mad_u64_u32 v[0:1], s[10:11], v19, s12, 0
	v_mov_b32_e32 v10, v1
	v_mad_u64_u32 v[10:11], s[10:11], v19, s13, v[10:11]
	v_mov_b32_e32 v1, v10
	v_lshlrev_b64 v[0:1], 3, v[0:1]
	v_add_co_u32_e32 v0, vcc, v8, v0
	v_addc_co_u32_e32 v1, vcc, v9, v1, vcc
	flat_load_dwordx2 v[0:1], v[0:1]
	v_lshlrev_b32_e32 v8, 3, v19
	v_cmp_neq_f64_e32 vcc, 0, v[2:3]
	s_waitcnt vmcnt(0) lgkmcnt(0)
	ds_write_b64 v8, v[0:1] offset:10240
	v_pk_mov_b32 v[0:1], 0, 0
	s_and_saveexec_b64 s[10:11], vcc
	s_cbranch_execz .LBB170_32
; %bb.31:
	v_mad_u64_u32 v[0:1], s[12:13], v19, s2, 0
	v_mov_b32_e32 v8, v1
	v_mad_u64_u32 v[8:9], s[12:13], v19, s3, v[8:9]
	v_mov_b32_e32 v1, v8
	v_lshlrev_b64 v[0:1], 3, v[0:1]
	v_add_co_u32_e32 v0, vcc, v20, v0
	v_addc_co_u32_e32 v1, vcc, v21, v1, vcc
	global_load_dwordx2 v[0:1], v[0:1], off
	s_waitcnt vmcnt(0)
	v_mul_f64 v[0:1], v[2:3], v[0:1]
.LBB170_32:
	s_or_b64 exec, exec, s[10:11]
.LBB170_33:
	s_or_b64 exec, exec, s[8:9]
.LBB170_34:
	s_or_b64 exec, exec, s[6:7]
.LBB170_35:
	s_add_u32 s6, s16, 1
	s_addc_u32 s7, s17, 0
	s_mul_i32 s8, s6, s20
	s_mul_hi_u32 s9, s6, s19
	s_add_i32 s8, s9, s8
	s_mul_i32 s7, s7, s19
	s_add_i32 s7, s8, s7
	s_mul_i32 s6, s6, s19
	s_lshl_b64 s[8:9], s[6:7], 3
	v_mov_b32_e32 v8, s9
	v_add_co_u32_e32 v12, vcc, s8, v6
	v_addc_co_u32_e32 v13, vcc, v7, v8, vcc
	v_mad_u64_u32 v[8:9], s[6:7], v22, s16, 0
	v_mov_b32_e32 v10, v9
	v_mad_u64_u32 v[10:11], s[6:7], v22, s17, v[10:11]
	v_mov_b32_e32 v9, v10
	v_lshlrev_b64 v[8:9], 3, v[8:9]
	v_add_co_u32_e32 v12, vcc, v12, v8
	v_addc_co_u32_e32 v9, vcc, v13, v9, vcc
	v_lshlrev_b32_e32 v8, 3, v19
	v_add_co_u32_e32 v10, vcc, v12, v8
	v_addc_co_u32_e32 v11, vcc, 0, v9, vcc
	v_lshl_add_u32 v24, v22, 5, v19
	s_andn2_b64 vcc, exec, s[4:5]
	v_lshlrev_b32_e32 v23, 3, v24
	s_cbranch_vccnz .LBB170_37
; %bb.36:
	flat_load_dwordx2 v[14:15], v[10:11]
	s_lshl_b64 s[6:7], s[16:17], 5
	v_lshlrev_b32_e32 v18, 3, v24
	v_mov_b32_e32 v13, s7
	v_add_co_u32_e32 v16, vcc, s6, v10
	v_addc_co_u32_e32 v17, vcc, v11, v13, vcc
	s_mul_i32 s10, s17, 0x60
	s_mul_i32 s12, s17, 0xe0
	s_waitcnt vmcnt(0) lgkmcnt(0)
	ds_write_b64 v18, v[14:15]
	flat_load_dwordx2 v[14:15], v[16:17]
	v_add_co_u32_e32 v16, vcc, s6, v16
	v_addc_co_u32_e32 v17, vcc, v17, v13, vcc
	v_mov_b32_e32 v13, 0x60
	v_mad_u64_u32 v[26:27], s[6:7], s16, v13, v[10:11]
	v_add_u32_e32 v27, s10, v27
	s_lshl_b64 s[6:7], s[16:17], 6
	v_mov_b32_e32 v13, s7
	s_mul_i32 s10, s17, 0xa0
	s_waitcnt vmcnt(0) lgkmcnt(0)
	ds_write_b64 v18, v[14:15] offset:1024
	flat_load_dwordx2 v[14:15], v[16:17]
	v_add_co_u32_e32 v16, vcc, s6, v16
	v_addc_co_u32_e32 v17, vcc, v17, v13, vcc
	v_mov_b32_e32 v13, 0xa0
	s_waitcnt vmcnt(0) lgkmcnt(0)
	ds_write_b64 v18, v[14:15] offset:2048
	flat_load_dwordx2 v[14:15], v[26:27]
	s_waitcnt vmcnt(0) lgkmcnt(0)
	ds_write_b64 v18, v[14:15] offset:3072
	flat_load_dwordx2 v[14:15], v[16:17]
	v_mad_u64_u32 v[16:17], s[6:7], s16, v13, v[10:11]
	v_add_u32_e32 v17, s10, v17
	v_mov_b32_e32 v13, 0xc0
	s_mul_i32 s10, s17, 0xc0
	s_waitcnt vmcnt(0) lgkmcnt(0)
	ds_write_b64 v18, v[14:15] offset:4096
	flat_load_dwordx2 v[14:15], v[16:17]
	v_mad_u64_u32 v[16:17], s[6:7], s16, v13, v[10:11]
	v_add_u32_e32 v17, s10, v17
	v_add_u32_e32 v13, 0x380, v24
	s_waitcnt vmcnt(0) lgkmcnt(0)
	ds_write_b64 v18, v[14:15] offset:5120
	flat_load_dwordx2 v[16:17], v[16:17]
	v_mov_b32_e32 v14, 0xe0
	v_mad_u64_u32 v[14:15], s[6:7], s16, v14, v[10:11]
	v_add_u32_e32 v15, s12, v15
	s_mov_b64 s[6:7], -1
	s_waitcnt vmcnt(0) lgkmcnt(0)
	ds_write_b64 v18, v[16:17] offset:6144
	s_cbranch_execz .LBB170_38
	s_branch .LBB170_50
.LBB170_37:
	s_mov_b64 s[6:7], 0
                                        ; implicit-def: $vgpr14_vgpr15
                                        ; implicit-def: $vgpr13
.LBB170_38:
	s_mov_b32 s12, 0
	s_mov_b32 s13, s12
	v_pk_mov_b32 v[14:15], s[12:13], s[12:13] op_sel:[0,1]
	v_cmp_gt_i32_e32 vcc, s18, v19
	ds_write2st64_b64 v23, v[14:15], v[14:15] offset1:2
	ds_write2st64_b64 v23, v[14:15], v[14:15] offset0:4 offset1:6
	ds_write2st64_b64 v23, v[14:15], v[14:15] offset0:8 offset1:10
	ds_write2st64_b64 v23, v[14:15], v[14:15] offset0:12 offset1:14
                                        ; implicit-def: $vgpr14_vgpr15
                                        ; implicit-def: $vgpr13
	s_and_saveexec_b64 s[10:11], vcc
	s_cbranch_execz .LBB170_49
; %bb.39:
	s_cmp_lt_u32 s18, 4
	s_cbranch_scc1 .LBB170_46
; %bb.40:
	s_lshr_b32 s12, s18, 2
	s_add_i32 s13, s12, -1
	s_cmp_lt_u32 s13, 3
	s_mov_b32 s13, 0
	s_cbranch_scc1 .LBB170_43
; %bb.41:
	v_lshlrev_b32_e32 v25, 3, v22
	v_add_u32_e32 v13, 0x60, v25
	v_pk_mov_b32 v[26:27], s[8:9], s[8:9] op_sel:[0,1]
	v_mad_u64_u32 v[14:15], s[14:15], s16, v13, v[26:27]
	v_mov_b32_e32 v16, v15
	v_mad_u64_u32 v[16:17], s[14:15], s17, v13, v[16:17]
	v_add_u32_e32 v15, 64, v25
	v_mov_b32_e32 v13, v16
	v_mad_u64_u32 v[16:17], s[20:21], s16, v15, v[26:27]
	v_add_co_u32_e32 v14, vcc, v6, v14
	v_mov_b32_e32 v18, v17
	v_add_u32_e32 v17, 32, v25
	v_addc_co_u32_e32 v13, vcc, v7, v13, vcc
	v_mad_u64_u32 v[28:29], s[20:21], s17, v15, v[18:19]
	v_mad_u64_u32 v[26:27], s[20:21], s16, v17, v[26:27]
	v_mov_b32_e32 v15, v28
	v_add_co_u32_e32 v16, vcc, v6, v16
	v_mov_b32_e32 v18, v27
	v_addc_co_u32_e32 v15, vcc, v7, v15, vcc
	v_mad_u64_u32 v[28:29], s[20:21], s17, v17, v[18:19]
	s_lshl_b64 s[14:15], s[16:17], 7
	v_mov_b32_e32 v17, v28
	v_add_co_u32_e32 v18, vcc, v6, v26
	s_and_b32 s13, s12, 0x3ffffffc
	v_addc_co_u32_e32 v17, vcc, v7, v17, vcc
	s_mov_b32 s19, 0
	v_mov_b32_e32 v25, s15
	v_mov_b32_e32 v26, v23
.LBB170_42:                             ; =>This Inner Loop Header: Depth=1
	v_add_co_u32_e32 v28, vcc, v12, v8
	v_addc_co_u32_e32 v29, vcc, 0, v9, vcc
	flat_load_dwordx2 v[28:29], v[28:29]
	v_add_co_u32_e32 v30, vcc, v18, v8
	v_addc_co_u32_e32 v31, vcc, 0, v17, vcc
	s_add_i32 s19, s19, 4
	s_cmp_lg_u32 s13, s19
	s_waitcnt vmcnt(0) lgkmcnt(0)
	ds_write_b64 v26, v[28:29]
	flat_load_dwordx2 v[28:29], v[30:31]
	v_add_co_u32_e32 v30, vcc, v16, v8
	v_addc_co_u32_e32 v31, vcc, 0, v15, vcc
	s_waitcnt vmcnt(0) lgkmcnt(0)
	ds_write_b64 v26, v[28:29] offset:1024
	flat_load_dwordx2 v[28:29], v[30:31]
	v_add_co_u32_e32 v30, vcc, v14, v8
	v_addc_co_u32_e32 v31, vcc, 0, v13, vcc
	v_add_co_u32_e32 v14, vcc, s14, v14
	v_addc_co_u32_e32 v13, vcc, v13, v25, vcc
	;; [unrolled: 2-line block ×5, first 2 shown]
	s_waitcnt vmcnt(0) lgkmcnt(0)
	ds_write_b64 v26, v[28:29] offset:2048
	flat_load_dwordx2 v[28:29], v[30:31]
	s_waitcnt vmcnt(0) lgkmcnt(0)
	ds_write_b64 v26, v[28:29] offset:3072
	v_add_u32_e32 v26, 0x1000, v26
	s_cbranch_scc1 .LBB170_42
.LBB170_43:
	s_bfe_u32 s19, s18, 0x20002
	s_cmp_eq_u32 s19, 0
	s_mov_b32 s15, 0
	s_cbranch_scc1 .LBB170_46
; %bb.44:
	s_lshl_b32 s14, s13, 10
	v_lshlrev_b32_e32 v9, 8, v22
	v_add3_u32 v9, s14, v9, v8
	s_lshl_b32 s14, s13, 2
	v_lshlrev_b32_e32 v12, 3, v22
	s_lshl_b64 s[14:15], s[14:15], 3
	v_mov_b32_e32 v13, s15
	v_add_co_u32_e32 v14, vcc, s14, v12
	v_addc_co_u32_e32 v12, vcc, 0, v13, vcc
	v_mul_lo_u32 v15, s16, v12
	v_pk_mov_b32 v[12:13], s[8:9], s[8:9] op_sel:[0,1]
	v_mul_lo_u32 v16, s17, v14
	v_mad_u64_u32 v[12:13], s[8:9], s16, v14, v[12:13]
	v_add3_u32 v13, v16, v13, v15
	v_add_co_u32_e32 v12, vcc, v12, v8
	v_addc_co_u32_e32 v13, vcc, 0, v13, vcc
	v_add_co_u32_e32 v6, vcc, v6, v12
	s_lshl_b64 s[8:9], s[16:17], 5
	v_addc_co_u32_e32 v7, vcc, v7, v13, vcc
	v_mov_b32_e32 v12, s9
.LBB170_45:                             ; =>This Inner Loop Header: Depth=1
	flat_load_dwordx2 v[14:15], v[6:7]
	v_add_co_u32_e32 v6, vcc, s8, v6
	s_add_i32 s19, s19, -1
	v_addc_co_u32_e32 v7, vcc, v7, v12, vcc
	s_cmp_lg_u32 s19, 0
	s_waitcnt vmcnt(0) lgkmcnt(0)
	ds_write_b64 v9, v[14:15]
	v_add_u32_e32 v9, 0x400, v9
	s_cbranch_scc1 .LBB170_45
.LBB170_46:
	s_and_b32 s8, s18, 3
	v_cmp_gt_u32_e32 vcc, s8, v22
	s_mov_b64 s[14:15], s[6:7]
                                        ; implicit-def: $vgpr14_vgpr15
                                        ; implicit-def: $vgpr13
	s_and_saveexec_b64 s[8:9], vcc
; %bb.47:
	s_lshl_b32 s13, s12, 2
	s_mul_i32 s14, s13, s17
	s_mul_hi_u32 s15, s13, s16
	s_add_i32 s15, s15, s14
	s_mul_i32 s14, s13, s16
	s_lshl_b64 s[14:15], s[14:15], 3
	v_mov_b32_e32 v6, s15
	v_add_co_u32_e32 v14, vcc, s14, v10
	v_addc_co_u32_e32 v15, vcc, v11, v6, vcc
	v_lshl_add_u32 v13, s12, 7, v24
	s_or_b64 s[14:15], s[6:7], exec
; %bb.48:
	s_or_b64 exec, exec, s[8:9]
	s_andn2_b64 s[6:7], s[6:7], exec
	s_and_b64 s[8:9], s[14:15], exec
	s_or_b64 s[6:7], s[6:7], s[8:9]
.LBB170_49:
	s_or_b64 exec, exec, s[10:11]
.LBB170_50:
	s_and_saveexec_b64 s[8:9], s[6:7]
	s_cbranch_execz .LBB170_52
; %bb.51:
	flat_load_dwordx2 v[6:7], v[14:15]
	v_lshlrev_b32_e32 v9, 3, v13
	s_waitcnt vmcnt(0) lgkmcnt(0)
	ds_write_b64 v9, v[6:7]
.LBB170_52:
	s_or_b64 exec, exec, s[8:9]
	v_cmp_ge_u32_e32 vcc, v19, v22
	v_lshlrev_b32_e32 v7, 5, v19
	s_waitcnt lgkmcnt(0)
	s_barrier
	s_and_saveexec_b64 s[6:7], vcc
	s_xor_b64 s[6:7], exec, s[6:7]
; %bb.53:
	v_lshlrev_b32_e32 v7, 5, v19
; %bb.54:
	s_andn2_saveexec_b64 s[6:7], s[6:7]
	s_cbranch_execz .LBB170_56
; %bb.55:
	v_add_lshl_u32 v6, v7, v22, 3
	ds_read_b64 v[10:11], v6
	s_waitcnt lgkmcnt(0)
	ds_write_b64 v23, v[10:11]
.LBB170_56:
	s_or_b64 exec, exec, s[6:7]
	v_sub_u32_e32 v6, v19, v22
	v_sub_u32_e32 v9, 0, v6
	v_max_i32_e32 v10, v6, v9
	v_cmp_gt_u32_e32 vcc, 4, v10
	v_lshlrev_b32_e32 v6, 5, v22
	v_add_lshl_u32 v9, v7, v22, 3
	s_and_saveexec_b64 s[6:7], vcc
	s_cbranch_execnz .LBB170_75
; %bb.57:
	s_or_b64 exec, exec, s[6:7]
	v_cmp_gt_u32_e32 vcc, 8, v10
	s_and_saveexec_b64 s[6:7], vcc
	s_cbranch_execnz .LBB170_76
.LBB170_58:
	s_or_b64 exec, exec, s[6:7]
	v_cmp_gt_u32_e32 vcc, 12, v10
	s_and_saveexec_b64 s[6:7], vcc
	s_cbranch_execz .LBB170_60
.LBB170_59:
	ds_read_b64 v[12:13], v9 offset:96
	v_add_lshl_u32 v7, v6, v19, 3
	s_waitcnt lgkmcnt(0)
	ds_write_b64 v7, v[12:13] offset:3072
.LBB170_60:
	s_or_b64 exec, exec, s[6:7]
	v_add_u32_e32 v7, 16, v22
	v_cmp_gt_u32_e32 vcc, 16, v10
	v_lshlrev_b32_e32 v7, 5, v7
	s_and_saveexec_b64 s[6:7], vcc
	s_cbranch_execnz .LBB170_77
; %bb.61:
	s_or_b64 exec, exec, s[6:7]
	v_cmp_gt_u32_e32 vcc, 20, v10
	s_and_saveexec_b64 s[6:7], vcc
	s_cbranch_execnz .LBB170_78
.LBB170_62:
	s_or_b64 exec, exec, s[6:7]
	v_cmp_gt_u32_e32 vcc, 24, v10
	s_and_saveexec_b64 s[6:7], vcc
	s_cbranch_execz .LBB170_64
.LBB170_63:
	ds_read_b64 v[12:13], v9 offset:192
	s_waitcnt lgkmcnt(0)
	ds_write_b64 v23, v[12:13] offset:6144
.LBB170_64:
	s_or_b64 exec, exec, s[6:7]
	v_cmp_lt_u32_e32 vcc, 27, v10
	v_add_u32_e32 v11, 28, v22
                                        ; implicit-def: $vgpr10
	s_and_saveexec_b64 s[6:7], vcc
	s_xor_b64 s[6:7], exec, s[6:7]
; %bb.65:
	v_add_u32_e32 v11, 28, v22
	v_lshl_add_u32 v10, v11, 5, v19
                                        ; implicit-def: $vgpr9
; %bb.66:
	s_andn2_saveexec_b64 s[6:7], s[6:7]
	s_cbranch_execz .LBB170_68
; %bb.67:
	ds_read_b64 v[12:13], v9 offset:224
	v_lshl_add_u32 v10, v11, 5, v19
	v_lshlrev_b32_e32 v9, 3, v10
	s_waitcnt lgkmcnt(0)
	ds_write_b64 v9, v[12:13]
.LBB170_68:
	s_or_b64 exec, exec, s[6:7]
	v_lshlrev_b32_e32 v9, 3, v22
	v_add_u32_e32 v18, 0x2800, v9
	s_waitcnt lgkmcnt(0)
	s_barrier
	ds_read2_b64 v[12:15], v18 offset1:4
	v_add_lshl_u32 v22, v6, v19, 3
	ds_read_b64 v[16:17], v23
	ds_read2st64_b64 v[24:27], v22 offset0:2 offset1:4
	v_lshlrev_b32_e32 v6, 3, v11
	ds_read_b64 v[36:37], v6 offset:10240
	v_add_lshl_u32 v11, v7, v19, 3
	s_waitcnt lgkmcnt(2)
	v_fma_f64 v[16:17], v[16:17], v[12:13], 0
	s_waitcnt lgkmcnt(1)
	v_fmac_f64_e32 v[16:17], v[24:25], v[14:15]
	ds_read2_b64 v[12:15], v18 offset0:8 offset1:12
	ds_read2st64_b64 v[28:31], v22 offset0:6 offset1:10
	ds_read2_b64 v[32:35], v18 offset0:16 offset1:20
	v_lshlrev_b32_e32 v6, 3, v10
	ds_read_b64 v[6:7], v6
	ds_read_b64 v[10:11], v11
	ds_read_b64 v[24:25], v22 offset:6144
	ds_read_b64 v[38:39], v9 offset:10432
	s_waitcnt lgkmcnt(6)
	v_fmac_f64_e32 v[16:17], v[26:27], v[12:13]
	s_waitcnt lgkmcnt(5)
	v_fmac_f64_e32 v[16:17], v[28:29], v[14:15]
	s_waitcnt lgkmcnt(2)
	v_fmac_f64_e32 v[16:17], v[10:11], v[32:33]
	v_fmac_f64_e32 v[16:17], v[30:31], v[34:35]
	s_waitcnt lgkmcnt(0)
	v_fmac_f64_e32 v[16:17], v[24:25], v[38:39]
	v_fmac_f64_e32 v[16:17], v[6:7], v[36:37]
	ds_write_b64 v23, v[16:17] offset:8192
	s_waitcnt lgkmcnt(0)
	s_barrier
	s_and_saveexec_b64 s[6:7], s[0:1]
	s_cbranch_execz .LBB170_74
; %bb.69:
	v_add_u32_e32 v10, 0x2000, v8
	ds_read2_b64 v[6:9], v10 offset1:32
	ds_read2_b64 v[10:13], v10 offset0:64 offset1:96
	v_cmp_neq_f64_e32 vcc, 0, v[2:3]
	s_mov_b64 s[0:1], -1
	s_waitcnt lgkmcnt(1)
	v_add_f64 v[6:7], v[6:7], 0
	v_add_f64 v[6:7], v[6:7], v[8:9]
	s_waitcnt lgkmcnt(0)
	v_add_f64 v[6:7], v[6:7], v[10:11]
	v_add_f64 v[6:7], v[6:7], v[12:13]
	v_mul_f64 v[8:9], v[4:5], v[6:7]
	v_fmac_f64_e32 v[0:1], v[4:5], v[6:7]
	v_cndmask_b32_e32 v1, v9, v1, vcc
	v_cndmask_b32_e32 v0, v8, v0, vcc
	s_and_b64 vcc, exec, s[4:5]
	s_cbranch_vccz .LBB170_71
; %bb.70:
	v_mad_u64_u32 v[2:3], s[0:1], v19, s2, 0
	v_mov_b32_e32 v4, v3
	v_mad_u64_u32 v[4:5], s[0:1], v19, s3, v[4:5]
	v_mov_b32_e32 v3, v4
	v_lshlrev_b64 v[2:3], 3, v[2:3]
	v_add_co_u32_e32 v2, vcc, v20, v2
	v_addc_co_u32_e32 v3, vcc, v21, v3, vcc
	global_store_dwordx2 v[2:3], v[0:1], off
	s_mov_b64 s[0:1], 0
.LBB170_71:
	s_andn2_b64 vcc, exec, s[0:1]
	s_cbranch_vccnz .LBB170_74
; %bb.72:
	v_cmp_gt_i32_e32 vcc, s18, v19
	s_and_b64 exec, exec, vcc
	s_cbranch_execz .LBB170_74
; %bb.73:
	v_mad_u64_u32 v[2:3], s[0:1], v19, s2, 0
	v_mov_b32_e32 v4, v3
	v_mad_u64_u32 v[4:5], s[0:1], v19, s3, v[4:5]
	v_mov_b32_e32 v3, v4
	v_lshlrev_b64 v[2:3], 3, v[2:3]
	v_add_co_u32_e32 v2, vcc, v20, v2
	v_addc_co_u32_e32 v3, vcc, v21, v3, vcc
	global_store_dwordx2 v[2:3], v[0:1], off
.LBB170_74:
	s_endpgm
.LBB170_75:
	ds_read_b64 v[12:13], v9 offset:32
	v_add_lshl_u32 v7, v6, v19, 3
	s_waitcnt lgkmcnt(0)
	ds_write_b64 v7, v[12:13] offset:1024
	s_or_b64 exec, exec, s[6:7]
	v_cmp_gt_u32_e32 vcc, 8, v10
	s_and_saveexec_b64 s[6:7], vcc
	s_cbranch_execz .LBB170_58
.LBB170_76:
	ds_read_b64 v[12:13], v9 offset:64
	v_add_lshl_u32 v7, v6, v19, 3
	s_waitcnt lgkmcnt(0)
	ds_write_b64 v7, v[12:13] offset:2048
	s_or_b64 exec, exec, s[6:7]
	v_cmp_gt_u32_e32 vcc, 12, v10
	s_and_saveexec_b64 s[6:7], vcc
	s_cbranch_execnz .LBB170_59
	s_branch .LBB170_60
.LBB170_77:
	ds_read_b64 v[12:13], v9 offset:128
	v_add_lshl_u32 v11, v7, v19, 3
	s_waitcnt lgkmcnt(0)
	ds_write_b64 v11, v[12:13]
	s_or_b64 exec, exec, s[6:7]
	v_cmp_gt_u32_e32 vcc, 20, v10
	s_and_saveexec_b64 s[6:7], vcc
	s_cbranch_execz .LBB170_62
.LBB170_78:
	ds_read_b64 v[12:13], v9 offset:160
	s_waitcnt lgkmcnt(0)
	ds_write_b64 v23, v[12:13] offset:5120
	s_or_b64 exec, exec, s[6:7]
	v_cmp_gt_u32_e32 vcc, 24, v10
	s_and_saveexec_b64 s[6:7], vcc
	s_cbranch_execnz .LBB170_63
	s_branch .LBB170_64
	.section	.rodata,"a",@progbits
	.p2align	6, 0x0
	.amdhsa_kernel _ZL58rocblas_symv_kernel_lower_double_buffered_diagonal_genericILi32ELi4E24rocblas_internal_val_ptrIdEPKPKdPKPdEvbiT1_lT2_lllSA_lllS9_lT3_lllii
		.amdhsa_group_segment_fixed_size 10496
		.amdhsa_private_segment_fixed_size 0
		.amdhsa_kernarg_size 400
		.amdhsa_user_sgpr_count 6
		.amdhsa_user_sgpr_private_segment_buffer 1
		.amdhsa_user_sgpr_dispatch_ptr 0
		.amdhsa_user_sgpr_queue_ptr 0
		.amdhsa_user_sgpr_kernarg_segment_ptr 1
		.amdhsa_user_sgpr_dispatch_id 0
		.amdhsa_user_sgpr_flat_scratch_init 0
		.amdhsa_user_sgpr_kernarg_preload_length 0
		.amdhsa_user_sgpr_kernarg_preload_offset 0
		.amdhsa_user_sgpr_private_segment_size 0
		.amdhsa_uses_dynamic_stack 0
		.amdhsa_system_sgpr_private_segment_wavefront_offset 0
		.amdhsa_system_sgpr_workgroup_id_x 1
		.amdhsa_system_sgpr_workgroup_id_y 0
		.amdhsa_system_sgpr_workgroup_id_z 1
		.amdhsa_system_sgpr_workgroup_info 0
		.amdhsa_system_vgpr_workitem_id 1
		.amdhsa_next_free_vgpr 40
		.amdhsa_next_free_sgpr 24
		.amdhsa_accum_offset 40
		.amdhsa_reserve_vcc 1
		.amdhsa_reserve_flat_scratch 0
		.amdhsa_float_round_mode_32 0
		.amdhsa_float_round_mode_16_64 0
		.amdhsa_float_denorm_mode_32 3
		.amdhsa_float_denorm_mode_16_64 3
		.amdhsa_dx10_clamp 1
		.amdhsa_ieee_mode 1
		.amdhsa_fp16_overflow 0
		.amdhsa_tg_split 0
		.amdhsa_exception_fp_ieee_invalid_op 0
		.amdhsa_exception_fp_denorm_src 0
		.amdhsa_exception_fp_ieee_div_zero 0
		.amdhsa_exception_fp_ieee_overflow 0
		.amdhsa_exception_fp_ieee_underflow 0
		.amdhsa_exception_fp_ieee_inexact 0
		.amdhsa_exception_int_div_zero 0
	.end_amdhsa_kernel
	.section	.text._ZL58rocblas_symv_kernel_lower_double_buffered_diagonal_genericILi32ELi4E24rocblas_internal_val_ptrIdEPKPKdPKPdEvbiT1_lT2_lllSA_lllS9_lT3_lllii,"axG",@progbits,_ZL58rocblas_symv_kernel_lower_double_buffered_diagonal_genericILi32ELi4E24rocblas_internal_val_ptrIdEPKPKdPKPdEvbiT1_lT2_lllSA_lllS9_lT3_lllii,comdat
.Lfunc_end170:
	.size	_ZL58rocblas_symv_kernel_lower_double_buffered_diagonal_genericILi32ELi4E24rocblas_internal_val_ptrIdEPKPKdPKPdEvbiT1_lT2_lllSA_lllS9_lT3_lllii, .Lfunc_end170-_ZL58rocblas_symv_kernel_lower_double_buffered_diagonal_genericILi32ELi4E24rocblas_internal_val_ptrIdEPKPKdPKPdEvbiT1_lT2_lllSA_lllS9_lT3_lllii
                                        ; -- End function
	.section	.AMDGPU.csdata,"",@progbits
; Kernel info:
; codeLenInByte = 3300
; NumSgprs: 28
; NumVgprs: 40
; NumAgprs: 0
; TotalNumVgprs: 40
; ScratchSize: 0
; MemoryBound: 0
; FloatMode: 240
; IeeeMode: 1
; LDSByteSize: 10496 bytes/workgroup (compile time only)
; SGPRBlocks: 3
; VGPRBlocks: 4
; NumSGPRsForWavesPerEU: 28
; NumVGPRsForWavesPerEU: 40
; AccumOffset: 40
; Occupancy: 3
; WaveLimiterHint : 1
; COMPUTE_PGM_RSRC2:SCRATCH_EN: 0
; COMPUTE_PGM_RSRC2:USER_SGPR: 6
; COMPUTE_PGM_RSRC2:TRAP_HANDLER: 0
; COMPUTE_PGM_RSRC2:TGID_X_EN: 1
; COMPUTE_PGM_RSRC2:TGID_Y_EN: 0
; COMPUTE_PGM_RSRC2:TGID_Z_EN: 1
; COMPUTE_PGM_RSRC2:TIDIG_COMP_CNT: 1
; COMPUTE_PGM_RSRC3_GFX90A:ACCUM_OFFSET: 9
; COMPUTE_PGM_RSRC3_GFX90A:TG_SPLIT: 0
	.section	.text._ZL62rocblas_symv_kernel_lower_double_buffered_non_diagonal_genericILi32ELi4ELi4E24rocblas_internal_val_ptrIdEPKPKdPKPdEvbiT2_lT3_lllSA_lllT4_lllii,"axG",@progbits,_ZL62rocblas_symv_kernel_lower_double_buffered_non_diagonal_genericILi32ELi4ELi4E24rocblas_internal_val_ptrIdEPKPKdPKPdEvbiT2_lT3_lllSA_lllT4_lllii,comdat
	.globl	_ZL62rocblas_symv_kernel_lower_double_buffered_non_diagonal_genericILi32ELi4ELi4E24rocblas_internal_val_ptrIdEPKPKdPKPdEvbiT2_lT3_lllSA_lllT4_lllii ; -- Begin function _ZL62rocblas_symv_kernel_lower_double_buffered_non_diagonal_genericILi32ELi4ELi4E24rocblas_internal_val_ptrIdEPKPKdPKPdEvbiT2_lT3_lllSA_lllT4_lllii
	.p2align	8
	.type	_ZL62rocblas_symv_kernel_lower_double_buffered_non_diagonal_genericILi32ELi4ELi4E24rocblas_internal_val_ptrIdEPKPKdPKPdEvbiT2_lT3_lllSA_lllT4_lllii,@function
_ZL62rocblas_symv_kernel_lower_double_buffered_non_diagonal_genericILi32ELi4ELi4E24rocblas_internal_val_ptrIdEPKPKdPKPdEvbiT2_lT3_lllSA_lllT4_lllii: ; @_ZL62rocblas_symv_kernel_lower_double_buffered_non_diagonal_genericILi32ELi4ELi4E24rocblas_internal_val_ptrIdEPKPKdPKPdEvbiT2_lT3_lllSA_lllT4_lllii
; %bb.0:
	s_load_dword s0, s[4:5], 0x0
	s_load_dwordx8 s[12:19], s[4:5], 0x8
	s_load_dwordx2 s[2:3], s[4:5], 0x28
	s_waitcnt lgkmcnt(0)
	s_bitcmp1_b32 s0, 0
	s_cselect_b64 s[0:1], -1, 0
	s_and_b64 vcc, exec, s[0:1]
	v_pk_mov_b32 v[8:9], s[12:13], s[12:13] op_sel:[0,1]
	s_cbranch_vccnz .LBB171_2
; %bb.1:
	s_mul_i32 s0, s8, s15
	s_mul_hi_u32 s1, s8, s14
	s_add_i32 s1, s1, s0
	s_mul_i32 s0, s8, s14
	s_lshl_b64 s[0:1], s[0:1], 3
	s_add_u32 s0, s12, s0
	s_addc_u32 s1, s13, s1
	v_pk_mov_b32 v[2:3], s[0:1], s[0:1] op_sel:[0,1]
	flat_load_dwordx2 v[8:9], v[2:3]
.LBB171_2:
	s_waitcnt vmcnt(0) lgkmcnt(0)
	v_cmp_neq_f64_e32 vcc, 0, v[8:9]
	s_and_saveexec_b64 s[0:1], vcc
	s_cbranch_execz .LBB171_35
; %bb.3:
	s_load_dwordx2 s[10:11], s[4:5], 0x80
	s_waitcnt lgkmcnt(0)
	v_cvt_f32_u32_e32 v1, s11
	s_add_i32 s20, s10, -1
	s_cmp_eq_u32 s6, s20
	v_rcp_iflag_f32_e32 v1, v1
	v_mul_f32_e32 v1, 0x4f7ffffe, v1
	v_cvt_u32_f32_e32 v1, v1
	v_readfirstlane_b32 s0, v1
	s_cbranch_scc1 .LBB171_35
; %bb.4:
	s_not_b32 s1, s6
	s_add_i32 s20, s20, s1
	s_sub_i32 s1, 0, s11
	s_mul_i32 s1, s1, s0
	s_mul_hi_u32 s1, s0, s1
	s_mov_b32 s9, 0
	s_add_i32 s0, s0, s1
	s_load_dwordx4 s[24:27], s[4:5], 0x38
	s_load_dwordx2 s[12:13], s[4:5], 0x48
	s_mul_hi_u32 s21, s20, s0
	s_lshl_b64 s[0:1], s[8:9], 3
	s_add_u32 s8, s16, s0
	s_addc_u32 s9, s17, s1
	s_load_dwordx2 s[14:15], s[4:5], 0x58
	s_waitcnt lgkmcnt(0)
	s_add_u32 s16, s24, s0
	s_addc_u32 s17, s25, s1
	s_load_dwordx2 s[22:23], s[16:17], 0x0
	v_and_b32_e32 v66, 0x3ff, v0
	s_add_u32 s16, s14, s0
	s_addc_u32 s17, s15, s1
	s_lshl_b64 s[0:1], s[26:27], 3
	s_waitcnt lgkmcnt(0)
	s_add_u32 s14, s22, s0
	s_addc_u32 s15, s23, s1
	s_lshl_b32 s24, s6, 5
	s_ashr_i32 s25, s24, 31
	s_mul_i32 s0, s24, s13
	s_mul_hi_u32 s1, s24, s12
	s_add_i32 s0, s1, s0
	s_mul_i32 s1, s25, s12
	s_add_i32 s1, s0, s1
	s_mul_i32 s0, s24, s12
	s_lshl_b64 s[0:1], s[0:1], 3
	v_bfe_u32 v0, v0, 10, 10
	s_add_u32 s29, s14, s0
	s_addc_u32 s30, s15, s1
	v_cmp_eq_u32_e64 s[0:1], 0, v0
	s_and_saveexec_b64 s[14:15], s[0:1]
	s_cbranch_execz .LBB171_6
; %bb.5:
	v_mad_u64_u32 v[2:3], s[22:23], v66, s12, 0
	v_mov_b32_e32 v4, v3
	v_mad_u64_u32 v[4:5], s[22:23], v66, s13, v[4:5]
	v_mov_b32_e32 v3, v4
	v_lshlrev_b64 v[2:3], 3, v[2:3]
	v_mov_b32_e32 v1, s30
	v_add_co_u32_e32 v2, vcc, s29, v2
	v_addc_co_u32_e32 v3, vcc, v1, v3, vcc
	global_load_dwordx2 v[2:3], v[2:3], off
	v_lshlrev_b32_e32 v1, 3, v66
	s_waitcnt vmcnt(0)
	ds_write_b64 v1, v[2:3] offset:6144
.LBB171_6:
	s_or_b64 exec, exec, s[14:15]
	s_mul_i32 s14, s21, s11
	s_sub_i32 s14, s20, s14
	s_add_i32 s15, s21, 1
	s_sub_i32 s22, s14, s11
	s_cmp_ge_u32 s14, s11
	s_cselect_b32 s15, s15, s21
	s_cselect_b32 s14, s22, s14
	s_add_i32 s21, s15, 1
	s_cmp_ge_u32 s14, s11
	s_cselect_b32 s21, s21, s15
	s_add_i32 s22, s11, -1
	s_cmp_eq_u32 s7, s22
	s_cselect_b64 s[14:15], -1, 0
	s_cmp_lg_u32 s7, s22
	s_mov_b32 s28, s21
	s_cbranch_scc1 .LBB171_8
; %bb.7:
	s_mul_i32 s11, s21, s11
	s_sub_i32 s11, s20, s11
	s_add_i32 s28, s11, s21
.LBB171_8:
	s_cmp_lg_u32 s7, s22
	s_cselect_b64 s[22:23], -1, 0
	s_cmp_eq_u32 s28, 0
	s_cselect_b64 s[26:27], -1, 0
	s_and_b64 s[22:23], s[22:23], s[26:27]
	s_and_b64 vcc, exec, s[22:23]
	s_cbranch_vccnz .LBB171_35
; %bb.9:
	s_load_dwordx2 s[26:27], s[8:9], 0x0
	s_load_dwordx2 s[22:23], s[16:17], 0x0
	s_mul_i32 s7, s7, s21
	s_lshl_b32 s20, s7, 5
	s_ashr_i32 s21, s20, 31
	s_lshl_b64 s[8:9], s[18:19], 3
	s_waitcnt lgkmcnt(0)
	s_add_u32 s7, s26, s8
	s_addc_u32 s11, s27, s9
	s_add_u32 s8, s2, 1
	s_addc_u32 s9, s3, 0
	s_mul_i32 s16, s8, s25
	s_mul_hi_u32 s17, s8, s24
	s_add_i32 s16, s17, s16
	s_mul_i32 s9, s9, s24
	s_add_i32 s9, s16, s9
	s_mul_i32 s8, s8, s24
	s_lshl_b64 s[8:9], s[8:9], 3
	s_add_u32 s7, s7, s8
	s_addc_u32 s11, s11, s9
	s_lshl_b64 s[8:9], s[20:21], 3
	s_add_u32 s26, s7, s8
	s_mul_i32 s7, s20, s13
	s_mul_hi_u32 s8, s20, s12
	s_addc_u32 s27, s11, s9
	s_add_i32 s7, s8, s7
	s_mul_i32 s8, s21, s12
	s_add_i32 s9, s7, s8
	s_mul_i32 s8, s20, s12
	v_lshl_add_u32 v0, v0, 5, v66
	s_lshl_b64 s[8:9], s[8:9], 3
	v_lshrrev_b32_e32 v67, 4, v0
	s_add_u32 s29, s29, s8
	v_and_b32_e32 v10, 15, v66
	v_lshlrev_b32_e32 v68, 2, v67
	v_mov_b32_e32 v11, 0
	s_addc_u32 s30, s30, s9
	v_mad_u64_u32 v[20:21], s[8:9], v68, s2, v[10:11]
	v_mov_b32_e32 v0, v21
	v_mad_u64_u32 v[0:1], s[8:9], v68, s3, v[0:1]
	s_lshl_b64 s[16:17], s[12:13], 5
	s_add_i32 s7, s10, -2
	v_mov_b32_e32 v21, v0
	s_cmp_ge_u32 s6, s7
	s_barrier
	s_cbranch_scc1 .LBB171_11
; %bb.10:
	s_lshl_b64 s[6:7], s[16:17], 3
	v_lshlrev_b64 v[0:1], 3, v[20:21]
	s_add_u32 s8, s29, s6
	v_mov_b32_e32 v2, s27
	v_add_co_u32_e32 v0, vcc, s26, v0
	s_addc_u32 s9, s30, s7
	v_addc_co_u32_e32 v1, vcc, v2, v1, vcc
	s_lshl_b64 s[6:7], s[2:3], 3
	v_mov_b32_e32 v3, s7
	v_add_co_u32_e32 v2, vcc, s6, v0
	v_addc_co_u32_e32 v3, vcc, v1, v3, vcc
	s_lshl_b64 s[6:7], s[2:3], 4
	v_mov_b32_e32 v5, s7
	v_add_co_u32_e32 v4, vcc, s6, v0
	global_load_dwordx2 v[28:29], v[0:1], off offset:256
	v_addc_co_u32_e32 v5, vcc, v1, v5, vcc
	v_mad_u64_u32 v[0:1], s[6:7], s2, 24, v[0:1]
	global_load_dwordx2 v[30:31], v[2:3], off offset:256
	global_load_dwordx2 v[34:35], v[4:5], off offset:256
	v_mov_b32_e32 v2, v1
	v_mad_u64_u32 v[2:3], s[6:7], s3, 24, v[2:3]
	v_mov_b32_e32 v1, v2
	global_load_dwordx2 v[36:37], v[0:1], off offset:256
	v_mad_u64_u32 v[0:1], s[6:7], v10, s12, 0
	v_mov_b32_e32 v2, v1
	v_mad_u64_u32 v[2:3], s[6:7], v10, s13, v[2:3]
	v_mov_b32_e32 v1, v2
	v_lshlrev_b64 v[0:1], 3, v[0:1]
	v_mov_b32_e32 v2, s9
	v_add_co_u32_e32 v0, vcc, s8, v0
	v_addc_co_u32_e32 v1, vcc, v2, v1, vcc
	global_load_dwordx2 v[32:33], v[0:1], off
	s_branch .LBB171_12
.LBB171_11:
	v_pk_mov_b32 v[32:33], 0, 0
                                        ; implicit-def: $vgpr28_vgpr29
                                        ; implicit-def: $vgpr30_vgpr31
                                        ; implicit-def: $vgpr34_vgpr35
                                        ; implicit-def: $vgpr36_vgpr37
.LBB171_12:
	s_load_dwordx4 s[8:11], s[4:5], 0x60
	v_pk_mov_b32 v[14:15], 0, 0
	v_or_b32_e32 v69, 16, v10
	v_lshlrev_b32_e32 v11, 3, v10
	s_waitcnt lgkmcnt(0)
	s_lshl_b64 s[6:7], s[8:9], 3
	s_mul_i32 s8, s24, s11
	s_mul_hi_u32 s9, s24, s10
	s_add_u32 s19, s22, s6
	s_mul_i32 s18, s25, s10
	s_addc_u32 s22, s23, s7
	s_add_i32 s6, s9, s8
	s_add_i32 s7, s6, s18
	s_mul_i32 s6, s24, s10
	s_lshl_b64 s[6:7], s[6:7], 3
	s_add_u32 s24, s19, s6
	s_addc_u32 s25, s22, s7
	s_mul_i32 s6, s20, s11
	s_mul_hi_u32 s7, s20, s10
	s_add_i32 s6, s7, s6
	s_mul_i32 s7, s21, s10
	s_add_i32 s7, s6, s7
	s_mul_i32 s6, s20, s10
	s_lshl_b64 s[6:7], s[6:7], 3
	s_add_u32 s18, s24, s6
	s_addc_u32 s19, s25, s7
	s_cmp_lt_i32 s28, 1
	s_cbranch_scc1 .LBB171_22
; %bb.13:
	v_mad_u64_u32 v[0:1], s[6:7], v69, s12, 0
	v_mov_b32_e32 v2, v1
	v_mad_u64_u32 v[2:3], s[6:7], v69, s13, v[2:3]
	v_mov_b32_e32 v1, v2
	;; [unrolled: 2-line block ×4, first 2 shown]
	v_lshl_or_b32 v4, v67, 8, v11
	v_add_u32_e32 v70, 0x1000, v4
	v_mad_u64_u32 v[4:5], s[8:9], v66, s10, 0
	v_mov_b32_e32 v6, v5
	v_mad_u64_u32 v[6:7], s[8:9], v66, s11, v[6:7]
	s_add_i32 s31, s28, -1
	s_lshl_b64 s[6:7], s[10:11], 8
	v_mov_b32_e32 v5, v6
	v_mov_b32_e32 v6, 0x1800
	s_lshl_b64 s[8:9], s[2:3], 3
	s_lshl_b64 s[20:21], s[2:3], 4
	v_lshl_add_u32 v71, v68, 3, v6
	v_mov_b32_e32 v6, 0x1000
	s_sub_u32 s33, 0, s20
	v_pk_mov_b32 v[12:13], 0, 0
	v_lshl_add_u32 v72, v66, 3, v6
	s_subb_u32 s34, 0, s21
	s_mov_b32 s35, 0
	v_pk_mov_b32 v[22:23], s[18:19], s[18:19] op_sel:[0,1]
	s_lshl_b64 s[18:19], s[16:17], 3
	v_lshlrev_b64 v[38:39], 3, v[0:1]
	v_lshlrev_b64 v[40:41], 3, v[20:21]
	v_mov_b32_e32 v73, s9
	v_lshlrev_b64 v[42:43], 3, v[2:3]
	v_lshlrev_b64 v[44:45], 3, v[4:5]
	v_pk_mov_b32 v[18:19], v[12:13], v[12:13] op_sel:[0,1]
	v_pk_mov_b32 v[16:17], v[12:13], v[12:13] op_sel:[0,1]
	v_pk_mov_b32 v[14:15], v[12:13], v[12:13] op_sel:[0,1]
	s_waitcnt vmcnt(0)
	v_pk_mov_b32 v[26:27], v[32:33], v[32:33] op_sel:[0,1]
	v_pk_mov_b32 v[46:47], v[28:29], v[28:29] op_sel:[0,1]
	;; [unrolled: 1-line block ×5, first 2 shown]
.LBB171_14:                             ; =>This Loop Header: Depth=1
                                        ;     Child Loop BB171_18 Depth 2
	s_add_u32 s29, s29, s18
	s_addc_u32 s30, s30, s19
	v_mov_b32_e32 v1, s30
	v_add_co_u32_e32 v0, vcc, s29, v38
	v_addc_co_u32_e32 v1, vcc, v1, v39, vcc
	global_load_dwordx2 v[24:25], v[0:1], off
	v_mov_b32_e32 v0, s27
	v_add_co_u32_e32 v62, vcc, s26, v40
	v_addc_co_u32_e32 v63, vcc, v0, v41, vcc
	v_add_co_u32_e32 v0, vcc, s8, v62
	v_addc_co_u32_e32 v1, vcc, v63, v73, vcc
	;; [unrolled: 2-line block ×3, first 2 shown]
	v_add_co_u32_e32 v64, vcc, s8, v2
	global_load_dwordx2 v[54:55], v[0:1], off offset:384
	global_load_dwordx2 v[56:57], v[2:3], off offset:384
	v_addc_co_u32_e32 v65, vcc, v3, v73, vcc
	global_load_dwordx2 v[60:61], v[62:63], off offset:384
	global_load_dwordx2 v[58:59], v[64:65], off offset:384
	ds_read_b128 v[4:7], v71
	ds_read_b128 v[0:3], v71 offset:16
	s_cmp_eq_u32 s35, s31
	s_cbranch_scc1 .LBB171_16
; %bb.15:                               ;   in Loop: Header=BB171_14 Depth=1
	v_mov_b32_e32 v27, s34
	v_add_co_u32_e32 v26, vcc, s33, v64
	v_addc_co_u32_e32 v27, vcc, v65, v27, vcc
	global_load_dwordx2 v[46:47], v[62:63], off offset:512
	global_load_dwordx2 v[48:49], v[26:27], off offset:512
	v_mov_b32_e32 v52, s9
	v_add_co_u32_e32 v26, vcc, s8, v26
	v_addc_co_u32_e32 v27, vcc, v27, v52, vcc
	s_add_u32 s20, s29, s18
	global_load_dwordx2 v[50:51], v[26:27], off offset:512
	v_add_co_u32_e32 v26, vcc, s8, v26
	s_addc_u32 s21, s30, s19
	v_addc_co_u32_e32 v27, vcc, v27, v52, vcc
	global_load_dwordx2 v[52:53], v[26:27], off offset:512
	v_mov_b32_e32 v27, s21
	v_add_co_u32_e32 v26, vcc, s20, v42
	v_addc_co_u32_e32 v27, vcc, v27, v43, vcc
	global_load_dwordx2 v[26:27], v[26:27], off
.LBB171_16:                             ;   in Loop: Header=BB171_14 Depth=1
	s_waitcnt lgkmcnt(1)
	v_fma_f64 v[62:63], v[28:29], v[4:5], 0
	s_waitcnt vmcnt(1)
	v_fma_f64 v[4:5], v[60:61], v[4:5], 0
	v_fmac_f64_e32 v[62:63], v[30:31], v[6:7]
	v_fmac_f64_e32 v[4:5], v[54:55], v[6:7]
	s_waitcnt lgkmcnt(0)
	v_fmac_f64_e32 v[62:63], v[34:35], v[0:1]
	v_fmac_f64_e32 v[4:5], v[56:57], v[0:1]
	;; [unrolled: 1-line block ×3, first 2 shown]
	s_waitcnt vmcnt(0)
	v_fmac_f64_e32 v[4:5], v[58:59], v[2:3]
	s_barrier
	ds_write2_b64 v70, v[62:63], v[4:5] offset1:16
	s_waitcnt lgkmcnt(0)
	s_barrier
	s_and_saveexec_b64 s[20:21], s[0:1]
	s_cbranch_execz .LBB171_20
; %bb.17:                               ;   in Loop: Header=BB171_14 Depth=1
	v_mov_b32_e32 v0, s7
	v_add_co_u32_e32 v22, vcc, s6, v22
	v_addc_co_u32_e32 v23, vcc, v23, v0, vcc
	v_add_co_u32_e32 v4, vcc, v22, v44
	v_addc_co_u32_e32 v5, vcc, v23, v45, vcc
	global_load_dwordx2 v[2:3], v[4:5], off
	ds_read2_b64 v[62:65], v72 offset1:32
	ds_read2_b64 v[74:77], v72 offset0:64 offset1:96
	ds_read2_b64 v[78:81], v72 offset0:128 offset1:160
	s_mov_b64 s[22:23], 0
	s_waitcnt lgkmcnt(2)
	v_add_f64 v[0:1], v[62:63], 0
	v_add_f64 v[0:1], v[0:1], v[64:65]
	ds_read2_b64 v[62:65], v72 offset0:192 offset1:224
	s_waitcnt lgkmcnt(2)
	v_add_f64 v[0:1], v[0:1], v[74:75]
	v_add_f64 v[0:1], v[0:1], v[76:77]
	s_waitcnt lgkmcnt(1)
	v_add_f64 v[0:1], v[0:1], v[78:79]
	v_add_f64 v[0:1], v[0:1], v[80:81]
	;; [unrolled: 3-line block ×3, first 2 shown]
	v_mul_f64 v[6:7], v[8:9], v[0:1]
.LBB171_18:                             ;   Parent Loop BB171_14 Depth=1
                                        ; =>  This Inner Loop Header: Depth=2
	s_waitcnt vmcnt(0)
	v_add_f64 v[0:1], v[2:3], v[6:7]
	global_atomic_cmpswap_x2 v[0:1], v[4:5], v[0:3], off glc
	s_waitcnt vmcnt(0)
	v_cmp_eq_u64_e32 vcc, v[0:1], v[2:3]
	s_or_b64 s[22:23], vcc, s[22:23]
	v_pk_mov_b32 v[2:3], v[0:1], v[0:1] op_sel:[0,1]
	s_andn2_b64 exec, exec, s[22:23]
	s_cbranch_execnz .LBB171_18
; %bb.19:                               ;   in Loop: Header=BB171_14 Depth=1
	s_or_b64 exec, exec, s[22:23]
.LBB171_20:                             ;   in Loop: Header=BB171_14 Depth=1
	s_or_b64 exec, exec, s[20:21]
	s_add_u32 s26, s26, 0x100
	v_fmac_f64_e32 v[12:13], v[32:33], v[28:29]
	v_fmac_f64_e32 v[18:19], v[32:33], v[30:31]
	v_fmac_f64_e32 v[16:17], v[32:33], v[34:35]
	v_fmac_f64_e32 v[14:15], v[32:33], v[36:37]
	s_addc_u32 s27, s27, 0
	s_add_i32 s35, s35, 1
	v_fmac_f64_e32 v[12:13], v[24:25], v[60:61]
	v_fmac_f64_e32 v[18:19], v[24:25], v[54:55]
	;; [unrolled: 1-line block ×4, first 2 shown]
	s_cmp_eq_u32 s35, s28
	s_cbranch_scc1 .LBB171_23
; %bb.21:                               ;   in Loop: Header=BB171_14 Depth=1
	v_pk_mov_b32 v[32:33], v[26:27], v[26:27] op_sel:[0,1]
	v_pk_mov_b32 v[28:29], v[46:47], v[46:47] op_sel:[0,1]
	;; [unrolled: 1-line block ×5, first 2 shown]
	s_branch .LBB171_14
.LBB171_22:
	v_pk_mov_b32 v[22:23], s[18:19], s[18:19] op_sel:[0,1]
	v_pk_mov_b32 v[16:17], v[14:15], v[14:15] op_sel:[0,1]
	;; [unrolled: 1-line block ×5, first 2 shown]
	s_waitcnt vmcnt(0)
	v_pk_mov_b32 v[26:27], v[32:33], v[32:33] op_sel:[0,1]
.LBB171_23:
	s_and_b64 vcc, exec, s[14:15]
	s_cbranch_vccz .LBB171_32
; %bb.24:
	s_load_dword s6, s[4:5], 0x78
	s_lshl_b64 s[4:5], s[16:17], 3
	v_pk_mov_b32 v[4:5], 0, 0
	s_add_u32 s7, s29, s4
	s_addc_u32 s8, s30, s5
	s_waitcnt lgkmcnt(0)
	v_cmp_gt_i32_e32 vcc, s6, v10
	v_pk_mov_b32 v[0:1], v[4:5], v[4:5] op_sel:[0,1]
	v_pk_mov_b32 v[2:3], v[4:5], v[4:5] op_sel:[0,1]
	;; [unrolled: 1-line block ×4, first 2 shown]
	s_and_saveexec_b64 s[4:5], vcc
	s_cbranch_execz .LBB171_26
; %bb.25:
	v_lshlrev_b64 v[0:1], 3, v[20:21]
	v_mov_b32_e32 v2, s27
	v_add_co_u32_e32 v6, vcc, s26, v0
	v_addc_co_u32_e32 v7, vcc, v2, v1, vcc
	s_lshl_b64 s[14:15], s[2:3], 3
	v_mov_b32_e32 v0, s15
	v_add_co_u32_e32 v26, vcc, s14, v6
	v_addc_co_u32_e32 v27, vcc, v7, v0, vcc
	s_lshl_b64 s[14:15], s[2:3], 4
	v_mov_b32_e32 v0, s15
	v_add_co_u32_e32 v28, vcc, s14, v6
	v_addc_co_u32_e32 v29, vcc, v7, v0, vcc
	global_load_dwordx2 v[0:1], v[6:7], off offset:256
	global_load_dwordx2 v[2:3], v[26:27], off offset:256
	;; [unrolled: 1-line block ×3, first 2 shown]
	v_mad_u64_u32 v[6:7], s[14:15], s2, 24, v[6:7]
	v_mov_b32_e32 v26, v7
	v_mad_u64_u32 v[26:27], s[14:15], s3, 24, v[26:27]
	v_mov_b32_e32 v7, v26
	global_load_dwordx2 v[34:35], v[6:7], off offset:256
	v_mad_u64_u32 v[6:7], s[14:15], v10, s12, 0
	v_mov_b32_e32 v26, v7
	v_mad_u64_u32 v[26:27], s[14:15], v10, s13, v[26:27]
	v_mov_b32_e32 v7, v26
	v_lshlrev_b64 v[6:7], 3, v[6:7]
	v_mov_b32_e32 v26, s8
	v_add_co_u32_e32 v6, vcc, s7, v6
	v_addc_co_u32_e32 v7, vcc, v26, v7, vcc
	global_load_dwordx2 v[26:27], v[6:7], off
.LBB171_26:
	s_or_b64 exec, exec, s[4:5]
	v_cmp_gt_i32_e32 vcc, s6, v69
	v_pk_mov_b32 v[6:7], v[4:5], v[4:5] op_sel:[0,1]
	v_pk_mov_b32 v[28:29], v[4:5], v[4:5] op_sel:[0,1]
	;; [unrolled: 1-line block ×3, first 2 shown]
	s_and_saveexec_b64 s[4:5], vcc
	s_cbranch_execz .LBB171_28
; %bb.27:
	v_lshlrev_b64 v[4:5], 3, v[20:21]
	v_mov_b32_e32 v6, s27
	v_add_co_u32_e32 v20, vcc, s26, v4
	v_addc_co_u32_e32 v21, vcc, v6, v5, vcc
	v_add_co_u32_e32 v24, vcc, 0x100, v20
	v_addc_co_u32_e32 v25, vcc, 0, v21, vcc
	s_lshl_b64 s[14:15], s[2:3], 3
	v_mov_b32_e32 v4, s15
	v_add_co_u32_e32 v30, vcc, s14, v24
	v_addc_co_u32_e32 v31, vcc, v25, v4, vcc
	s_lshl_b64 s[14:15], s[2:3], 4
	v_mov_b32_e32 v4, s15
	v_add_co_u32_e32 v36, vcc, s14, v24
	v_addc_co_u32_e32 v37, vcc, v25, v4, vcc
	global_load_dwordx2 v[4:5], v[20:21], off offset:384
	global_load_dwordx2 v[6:7], v[30:31], off offset:128
	;; [unrolled: 1-line block ×3, first 2 shown]
	v_mad_u64_u32 v[20:21], s[14:15], s2, 24, v[24:25]
	v_mov_b32_e32 v24, v21
	v_mad_u64_u32 v[24:25], s[2:3], s3, 24, v[24:25]
	v_mov_b32_e32 v21, v24
	global_load_dwordx2 v[30:31], v[20:21], off offset:128
	v_mad_u64_u32 v[20:21], s[2:3], v69, s12, 0
	v_mov_b32_e32 v24, v21
	v_mad_u64_u32 v[24:25], s[2:3], v69, s13, v[24:25]
	v_mov_b32_e32 v21, v24
	v_lshlrev_b64 v[20:21], 3, v[20:21]
	v_mov_b32_e32 v24, s8
	v_add_co_u32_e32 v20, vcc, s7, v20
	v_addc_co_u32_e32 v21, vcc, v24, v21, vcc
	global_load_dwordx2 v[24:25], v[20:21], off
.LBB171_28:
	s_or_b64 exec, exec, s[4:5]
	v_lshlrev_b32_e32 v20, 3, v68
	ds_read_b128 v[36:39], v20 offset:6144
	ds_read_b128 v[40:43], v20 offset:6160
	s_waitcnt vmcnt(0)
	v_fmac_f64_e32 v[12:13], v[26:27], v[0:1]
	v_fmac_f64_e32 v[18:19], v[26:27], v[2:3]
	v_cmp_gt_i32_e32 vcc, s6, v66
	s_waitcnt lgkmcnt(1)
	v_fma_f64 v[20:21], v[4:5], v[36:37], 0
	v_fma_f64 v[0:1], v[0:1], v[36:37], 0
	v_fmac_f64_e32 v[20:21], v[6:7], v[38:39]
	v_fmac_f64_e32 v[0:1], v[2:3], v[38:39]
	s_waitcnt lgkmcnt(0)
	v_fmac_f64_e32 v[20:21], v[28:29], v[40:41]
	v_fmac_f64_e32 v[0:1], v[32:33], v[40:41]
	v_lshl_or_b32 v2, v67, 8, v11
	v_fmac_f64_e32 v[16:17], v[26:27], v[32:33]
	v_fmac_f64_e32 v[14:15], v[26:27], v[34:35]
	;; [unrolled: 1-line block ×4, first 2 shown]
	v_add_u32_e32 v2, 0x1000, v2
	s_and_b64 s[4:5], s[0:1], vcc
	s_barrier
	ds_write2_b64 v2, v[0:1], v[20:21] offset1:16
	s_waitcnt lgkmcnt(0)
	s_barrier
	s_and_saveexec_b64 s[2:3], s[4:5]
	s_cbranch_execz .LBB171_31
; %bb.29:
	s_lshl_b64 s[4:5], s[10:11], 8
	v_mov_b32_e32 v0, s5
	v_add_co_u32_e32 v20, vcc, s4, v22
	v_addc_co_u32_e32 v21, vcc, v23, v0, vcc
	v_mad_u64_u32 v[0:1], s[4:5], v66, s10, 0
	v_mov_b32_e32 v2, v1
	v_mad_u64_u32 v[2:3], s[4:5], v66, s11, v[2:3]
	v_mov_b32_e32 v1, v2
	v_lshlrev_b64 v[0:1], 3, v[0:1]
	v_add_co_u32_e32 v20, vcc, v20, v0
	v_addc_co_u32_e32 v21, vcc, v21, v1, vcc
	global_load_dwordx2 v[2:3], v[20:21], off
	v_lshlrev_b32_e32 v0, 3, v66
	v_add_u32_e32 v22, 0x1000, v0
	ds_read2_b64 v[32:35], v22 offset1:32
	ds_read2_b64 v[36:39], v22 offset0:64 offset1:96
	ds_read2_b64 v[40:43], v22 offset0:128 offset1:160
	s_mov_b64 s[4:5], 0
	s_waitcnt lgkmcnt(2)
	v_add_f64 v[0:1], v[32:33], 0
	v_add_f64 v[0:1], v[0:1], v[34:35]
	ds_read2_b64 v[32:35], v22 offset0:192 offset1:224
	s_waitcnt lgkmcnt(2)
	v_add_f64 v[0:1], v[0:1], v[36:37]
	v_add_f64 v[0:1], v[0:1], v[38:39]
	s_waitcnt lgkmcnt(1)
	v_add_f64 v[0:1], v[0:1], v[40:41]
	v_add_f64 v[0:1], v[0:1], v[42:43]
	;; [unrolled: 3-line block ×3, first 2 shown]
	v_mul_f64 v[22:23], v[8:9], v[0:1]
.LBB171_30:                             ; =>This Inner Loop Header: Depth=1
	s_waitcnt vmcnt(0)
	v_add_f64 v[0:1], v[2:3], v[22:23]
	global_atomic_cmpswap_x2 v[0:1], v[20:21], v[0:3], off glc
	s_waitcnt vmcnt(0)
	v_cmp_eq_u64_e32 vcc, v[0:1], v[2:3]
	s_or_b64 s[4:5], vcc, s[4:5]
	v_pk_mov_b32 v[2:3], v[0:1], v[0:1] op_sel:[0,1]
	s_andn2_b64 exec, exec, s[4:5]
	s_cbranch_execnz .LBB171_30
.LBB171_31:
	s_or_b64 exec, exec, s[2:3]
	v_fmac_f64_e32 v[12:13], v[24:25], v[4:5]
	v_fmac_f64_e32 v[18:19], v[24:25], v[6:7]
	v_fmac_f64_e32 v[16:17], v[24:25], v[28:29]
	v_fmac_f64_e32 v[14:15], v[24:25], v[30:31]
.LBB171_32:
	v_lshl_or_b32 v0, v67, 9, v11
	ds_write2_b64 v0, v[12:13], v[18:19] offset1:16
	ds_write2_b64 v0, v[16:17], v[14:15] offset0:32 offset1:48
	s_waitcnt lgkmcnt(0)
	s_barrier
	s_and_b64 exec, exec, s[0:1]
	s_cbranch_execz .LBB171_35
; %bb.33:
	v_mad_u64_u32 v[0:1], s[0:1], v66, s10, 0
	v_mov_b32_e32 v2, v1
	v_mad_u64_u32 v[2:3], s[0:1], v66, s11, v[2:3]
	v_mov_b32_e32 v1, v2
	v_lshlrev_b64 v[0:1], 3, v[0:1]
	v_mov_b32_e32 v2, s25
	v_add_co_u32_e32 v4, vcc, s24, v0
	v_addc_co_u32_e32 v5, vcc, v2, v1, vcc
	global_load_dwordx2 v[2:3], v[4:5], off
	v_lshlrev_b32_e32 v18, 4, v66
	v_add_u32_e32 v1, 1, v66
	v_and_or_b32 v1, v1, 15, v18
	v_lshlrev_b32_e32 v6, 3, v1
	v_add_u32_e32 v1, 2, v66
	v_or_b32_e32 v19, v10, v18
	v_and_or_b32 v1, v1, 15, v18
	v_lshlrev_b32_e32 v0, 3, v19
	v_lshlrev_b32_e32 v10, 3, v1
	v_add_u32_e32 v1, 3, v66
	v_and_or_b32 v12, v1, 15, v18
	ds_read_b64 v[0:1], v0
	ds_read_b64 v[6:7], v6
	;; [unrolled: 1-line block ×3, first 2 shown]
	v_lshlrev_b32_e32 v12, 3, v12
	ds_read_b64 v[12:13], v12
	s_waitcnt lgkmcnt(3)
	v_add_f64 v[0:1], v[0:1], 0
	s_waitcnt lgkmcnt(2)
	v_add_f64 v[0:1], v[0:1], v[6:7]
	v_add_u32_e32 v7, 5, v66
	v_and_or_b32 v7, v7, 15, v18
	s_waitcnt lgkmcnt(1)
	v_add_f64 v[0:1], v[0:1], v[10:11]
	v_lshlrev_b32_e32 v10, 3, v7
	v_add_u32_e32 v7, 6, v66
	v_and_or_b32 v7, v7, 15, v18
	v_add_u32_e32 v6, 4, v66
	v_lshlrev_b32_e32 v14, 3, v7
	v_add_u32_e32 v7, 7, v66
	v_and_or_b32 v6, v6, 15, v18
	v_and_or_b32 v7, v7, 15, v18
	v_lshlrev_b32_e32 v6, 3, v6
	v_lshlrev_b32_e32 v16, 3, v7
	ds_read_b64 v[6:7], v6
	ds_read_b64 v[10:11], v10
	;; [unrolled: 1-line block ×4, first 2 shown]
	s_waitcnt lgkmcnt(4)
	v_add_f64 v[0:1], v[0:1], v[12:13]
	s_waitcnt lgkmcnt(3)
	v_add_f64 v[0:1], v[0:1], v[6:7]
	v_add_u32_e32 v7, 9, v66
	v_and_or_b32 v7, v7, 15, v18
	s_waitcnt lgkmcnt(2)
	v_add_f64 v[0:1], v[0:1], v[10:11]
	v_lshlrev_b32_e32 v10, 3, v7
	v_add_u32_e32 v7, 10, v66
	v_xor_b32_e32 v6, 8, v19
	v_and_or_b32 v7, v7, 15, v18
	v_lshlrev_b32_e32 v6, 3, v6
	v_lshlrev_b32_e32 v12, 3, v7
	v_add_u32_e32 v7, 11, v66
	s_waitcnt lgkmcnt(1)
	v_add_f64 v[0:1], v[0:1], v[14:15]
	v_and_or_b32 v14, v7, 15, v18
	ds_read_b64 v[6:7], v6
	ds_read_b64 v[10:11], v10
	;; [unrolled: 1-line block ×3, first 2 shown]
	s_waitcnt lgkmcnt(3)
	v_add_f64 v[0:1], v[0:1], v[16:17]
	v_lshlrev_b32_e32 v14, 3, v14
	s_waitcnt lgkmcnt(2)
	v_add_f64 v[0:1], v[0:1], v[6:7]
	v_add_u32_e32 v7, 13, v66
	v_and_or_b32 v7, v7, 15, v18
	s_waitcnt lgkmcnt(1)
	v_add_f64 v[0:1], v[0:1], v[10:11]
	v_lshlrev_b32_e32 v10, 3, v7
	v_add_u32_e32 v7, 14, v66
	ds_read_b64 v[14:15], v14
	v_and_or_b32 v7, v7, 15, v18
	s_waitcnt lgkmcnt(1)
	v_add_f64 v[0:1], v[0:1], v[12:13]
	v_add_u32_e32 v6, 12, v66
	v_lshlrev_b32_e32 v12, 3, v7
	v_add_u32_e32 v7, -1, v66
	v_and_or_b32 v6, v6, 15, v18
	v_and_or_b32 v7, v7, 15, v18
	v_lshlrev_b32_e32 v6, 3, v6
	v_lshlrev_b32_e32 v16, 3, v7
	ds_read_b64 v[6:7], v6
	ds_read_b64 v[10:11], v10
	;; [unrolled: 1-line block ×4, first 2 shown]
	s_waitcnt lgkmcnt(4)
	v_add_f64 v[0:1], v[0:1], v[14:15]
	s_waitcnt lgkmcnt(3)
	v_add_f64 v[0:1], v[0:1], v[6:7]
	;; [unrolled: 2-line block ×5, first 2 shown]
	s_mov_b64 s[0:1], 0
	v_mul_f64 v[6:7], v[8:9], v[0:1]
.LBB171_34:                             ; =>This Inner Loop Header: Depth=1
	s_waitcnt vmcnt(0)
	v_add_f64 v[0:1], v[2:3], v[6:7]
	global_atomic_cmpswap_x2 v[0:1], v[4:5], v[0:3], off glc
	s_waitcnt vmcnt(0)
	v_cmp_eq_u64_e32 vcc, v[0:1], v[2:3]
	s_or_b64 s[0:1], vcc, s[0:1]
	v_pk_mov_b32 v[2:3], v[0:1], v[0:1] op_sel:[0,1]
	s_andn2_b64 exec, exec, s[0:1]
	s_cbranch_execnz .LBB171_34
.LBB171_35:
	s_endpgm
	.section	.rodata,"a",@progbits
	.p2align	6, 0x0
	.amdhsa_kernel _ZL62rocblas_symv_kernel_lower_double_buffered_non_diagonal_genericILi32ELi4ELi4E24rocblas_internal_val_ptrIdEPKPKdPKPdEvbiT2_lT3_lllSA_lllT4_lllii
		.amdhsa_group_segment_fixed_size 6400
		.amdhsa_private_segment_fixed_size 0
		.amdhsa_kernarg_size 384
		.amdhsa_user_sgpr_count 6
		.amdhsa_user_sgpr_private_segment_buffer 1
		.amdhsa_user_sgpr_dispatch_ptr 0
		.amdhsa_user_sgpr_queue_ptr 0
		.amdhsa_user_sgpr_kernarg_segment_ptr 1
		.amdhsa_user_sgpr_dispatch_id 0
		.amdhsa_user_sgpr_flat_scratch_init 0
		.amdhsa_user_sgpr_kernarg_preload_length 0
		.amdhsa_user_sgpr_kernarg_preload_offset 0
		.amdhsa_user_sgpr_private_segment_size 0
		.amdhsa_uses_dynamic_stack 0
		.amdhsa_system_sgpr_private_segment_wavefront_offset 0
		.amdhsa_system_sgpr_workgroup_id_x 1
		.amdhsa_system_sgpr_workgroup_id_y 1
		.amdhsa_system_sgpr_workgroup_id_z 1
		.amdhsa_system_sgpr_workgroup_info 0
		.amdhsa_system_vgpr_workitem_id 1
		.amdhsa_next_free_vgpr 82
		.amdhsa_next_free_sgpr 36
		.amdhsa_accum_offset 84
		.amdhsa_reserve_vcc 1
		.amdhsa_reserve_flat_scratch 0
		.amdhsa_float_round_mode_32 0
		.amdhsa_float_round_mode_16_64 0
		.amdhsa_float_denorm_mode_32 3
		.amdhsa_float_denorm_mode_16_64 3
		.amdhsa_dx10_clamp 1
		.amdhsa_ieee_mode 1
		.amdhsa_fp16_overflow 0
		.amdhsa_tg_split 0
		.amdhsa_exception_fp_ieee_invalid_op 0
		.amdhsa_exception_fp_denorm_src 0
		.amdhsa_exception_fp_ieee_div_zero 0
		.amdhsa_exception_fp_ieee_overflow 0
		.amdhsa_exception_fp_ieee_underflow 0
		.amdhsa_exception_fp_ieee_inexact 0
		.amdhsa_exception_int_div_zero 0
	.end_amdhsa_kernel
	.section	.text._ZL62rocblas_symv_kernel_lower_double_buffered_non_diagonal_genericILi32ELi4ELi4E24rocblas_internal_val_ptrIdEPKPKdPKPdEvbiT2_lT3_lllSA_lllT4_lllii,"axG",@progbits,_ZL62rocblas_symv_kernel_lower_double_buffered_non_diagonal_genericILi32ELi4ELi4E24rocblas_internal_val_ptrIdEPKPKdPKPdEvbiT2_lT3_lllSA_lllT4_lllii,comdat
.Lfunc_end171:
	.size	_ZL62rocblas_symv_kernel_lower_double_buffered_non_diagonal_genericILi32ELi4ELi4E24rocblas_internal_val_ptrIdEPKPKdPKPdEvbiT2_lT3_lllSA_lllT4_lllii, .Lfunc_end171-_ZL62rocblas_symv_kernel_lower_double_buffered_non_diagonal_genericILi32ELi4ELi4E24rocblas_internal_val_ptrIdEPKPKdPKPdEvbiT2_lT3_lllSA_lllT4_lllii
                                        ; -- End function
	.section	.AMDGPU.csdata,"",@progbits
; Kernel info:
; codeLenInByte = 3548
; NumSgprs: 40
; NumVgprs: 82
; NumAgprs: 0
; TotalNumVgprs: 82
; ScratchSize: 0
; MemoryBound: 0
; FloatMode: 240
; IeeeMode: 1
; LDSByteSize: 6400 bytes/workgroup (compile time only)
; SGPRBlocks: 4
; VGPRBlocks: 10
; NumSGPRsForWavesPerEU: 40
; NumVGPRsForWavesPerEU: 82
; AccumOffset: 84
; Occupancy: 5
; WaveLimiterHint : 1
; COMPUTE_PGM_RSRC2:SCRATCH_EN: 0
; COMPUTE_PGM_RSRC2:USER_SGPR: 6
; COMPUTE_PGM_RSRC2:TRAP_HANDLER: 0
; COMPUTE_PGM_RSRC2:TGID_X_EN: 1
; COMPUTE_PGM_RSRC2:TGID_Y_EN: 1
; COMPUTE_PGM_RSRC2:TGID_Z_EN: 1
; COMPUTE_PGM_RSRC2:TIDIG_COMP_CNT: 1
; COMPUTE_PGM_RSRC3_GFX90A:ACCUM_OFFSET: 20
; COMPUTE_PGM_RSRC3_GFX90A:TG_SPLIT: 0
	.section	.text._ZL26rocblas_hemvn_kernel_lowerILb0ELi64ELi4ELi33ELi32ELi16ElPKdPKS1_PdEviT6_lT7_lT5_lS6_lS7_lS5_lT8_i,"axG",@progbits,_ZL26rocblas_hemvn_kernel_lowerILb0ELi64ELi4ELi33ELi32ELi16ElPKdPKS1_PdEviT6_lT7_lT5_lS6_lS7_lS5_lT8_i,comdat
	.globl	_ZL26rocblas_hemvn_kernel_lowerILb0ELi64ELi4ELi33ELi32ELi16ElPKdPKS1_PdEviT6_lT7_lT5_lS6_lS7_lS5_lT8_i ; -- Begin function _ZL26rocblas_hemvn_kernel_lowerILb0ELi64ELi4ELi33ELi32ELi16ElPKdPKS1_PdEviT6_lT7_lT5_lS6_lS7_lS5_lT8_i
	.p2align	8
	.type	_ZL26rocblas_hemvn_kernel_lowerILb0ELi64ELi4ELi33ELi32ELi16ElPKdPKS1_PdEviT6_lT7_lT5_lS6_lS7_lS5_lT8_i,@function
_ZL26rocblas_hemvn_kernel_lowerILb0ELi64ELi4ELi33ELi32ELi16ElPKdPKS1_PdEviT6_lT7_lT5_lS6_lS7_lS5_lT8_i: ; @_ZL26rocblas_hemvn_kernel_lowerILb0ELi64ELi4ELi33ELi32ELi16ElPKdPKS1_PdEviT6_lT7_lT5_lS6_lS7_lS5_lT8_i
; %bb.0:
	s_load_dwordx2 s[0:1], s[4:5], 0x84
	s_add_u32 s2, s4, 0x78
	s_mov_b32 s26, s7
	s_addc_u32 s3, s5, 0
	s_waitcnt lgkmcnt(0)
	s_lshr_b32 s7, s0, 16
	s_and_b32 s0, s0, 0xffff
	s_and_b32 s1, s1, 0xffff
	s_mul_i32 s0, s7, s0
	s_mul_i32 s0, s0, s1
	s_cmpk_lg_i32 s0, 0x100
	s_cbranch_scc1 .LBB172_80
; %bb.1:
	s_load_dwordx8 s[8:15], s[4:5], 0x8
	s_load_dwordx4 s[16:19], s[4:5], 0x58
	s_waitcnt lgkmcnt(0)
	s_mul_i32 s1, s26, s11
	s_mul_hi_u32 s7, s26, s10
	s_mul_i32 s0, s26, s10
	s_add_i32 s1, s7, s1
	s_lshl_b64 s[0:1], s[0:1], 3
	s_mul_i32 s10, s26, s19
	s_add_u32 s0, s8, s0
	s_mul_hi_u32 s7, s26, s18
	s_addc_u32 s1, s9, s1
	s_add_i32 s9, s7, s10
	s_mul_i32 s8, s26, s18
	s_lshl_b64 s[8:9], s[8:9], 3
	s_add_u32 s8, s16, s8
	s_addc_u32 s9, s17, s9
	s_load_dwordx2 s[0:1], s[0:1], 0x0
	s_nop 0
	s_load_dwordx2 s[10:11], s[8:9], 0x0
	s_waitcnt lgkmcnt(0)
	v_cmp_eq_f64_e64 s[8:9], s[0:1], 0
	v_cmp_eq_f64_e64 s[10:11], s[10:11], 1.0
	s_and_b64 s[10:11], s[8:9], s[10:11]
	s_and_b64 vcc, exec, s[10:11]
	s_cbranch_vccnz .LBB172_80
; %bb.2:
	s_load_dwordx2 s[24:25], s[4:5], 0x28
	s_mov_b32 s27, 0
	s_mov_b64 s[18:19], 0
	v_cmp_neq_f64_e64 s[22:23], s[0:1], 0
	s_and_b64 vcc, exec, s[8:9]
	s_mov_b64 s[16:17], 0
	s_cbranch_vccnz .LBB172_4
; %bb.3:
	s_lshl_b64 s[0:1], s[26:27], 3
	s_add_u32 s0, s12, s0
	s_addc_u32 s1, s13, s1
	s_load_dwordx2 s[0:1], s[0:1], 0x0
	s_lshl_b64 s[8:9], s[14:15], 3
	s_waitcnt lgkmcnt(0)
	s_add_u32 s16, s0, s8
	s_addc_u32 s17, s1, s9
.LBB172_4:
	s_load_dwordx4 s[8:11], s[4:5], 0x38
	s_load_dwordx2 s[20:21], s[4:5], 0x48
	v_cndmask_b32_e64 v1, 0, 1, s[22:23]
	v_cmp_ne_u32_e64 s[0:1], 1, v1
	s_andn2_b64 vcc, exec, s[22:23]
	s_cbranch_vccnz .LBB172_6
; %bb.5:
	s_lshl_b64 s[12:13], s[26:27], 3
	s_waitcnt lgkmcnt(0)
	s_add_u32 s8, s8, s12
	s_addc_u32 s9, s9, s13
	s_load_dwordx2 s[8:9], s[8:9], 0x0
	s_lshl_b64 s[10:11], s[10:11], 3
	s_waitcnt lgkmcnt(0)
	s_add_u32 s18, s8, s10
	s_addc_u32 s19, s9, s11
.LBB172_6:
	s_and_b64 vcc, exec, s[0:1]
	s_cbranch_vccnz .LBB172_80
; %bb.7:
	s_load_dword s27, s[2:3], 0x0
	s_load_dwordx2 s[34:35], s[4:5], 0x68
	s_load_dword s7, s[4:5], 0x0
	v_and_b32_e32 v26, 0x3ff, v0
	s_lshl_b32 s30, s6, 6
	s_waitcnt lgkmcnt(0)
	s_add_i32 s0, s27, -1
	v_add_u32_e32 v16, s30, v26
	s_ashr_i32 s33, s7, 31
	s_lshr_b32 s1, s33, 26
	s_add_i32 s1, s7, s1
	s_andn2_b32 s1, s1, 63
	s_sub_i32 s1, s7, s1
	s_cmp_eq_u32 s6, s0
	v_ashrrev_i32_e32 v17, 31, v16
	v_bfe_u32 v72, v0, 10, 10
	s_cselect_b32 s28, s1, 0
	v_mul_lo_u32 v2, v17, s20
	v_mul_lo_u32 v3, v16, s21
	v_mad_u64_u32 v[0:1], s[0:1], v16, s20, 0
	v_add3_u32 v1, v1, v3, v2
	v_lshlrev_b64 v[0:1], 3, v[0:1]
	v_mov_b32_e32 v2, s19
	v_add_co_u32_e32 v20, vcc, s18, v0
	v_addc_co_u32_e32 v21, vcc, v2, v1, vcc
	v_cmp_ne_u32_e64 s[0:1], 0, v72
	v_cmp_eq_u32_e64 s[2:3], 0, v72
	s_and_saveexec_b64 s[4:5], s[2:3]
	s_cbranch_execz .LBB172_11
; %bb.8:
	s_cmp_eq_u32 s28, 0
	s_cselect_b64 s[8:9], -1, 0
	v_cmp_gt_i32_e32 vcc, s28, v26
	s_or_b64 s[10:11], s[8:9], vcc
	v_pk_mov_b32 v[0:1], 0, 0
	s_and_saveexec_b64 s[8:9], s[10:11]
	s_cbranch_execz .LBB172_10
; %bb.9:
	flat_load_dwordx2 v[0:1], v[20:21]
.LBB172_10:
	s_or_b64 exec, exec, s[8:9]
	v_lshlrev_b32_e32 v2, 3, v26
	s_waitcnt vmcnt(0) lgkmcnt(0)
	ds_write_b64 v2, v[0:1] offset:9088
.LBB172_11:
	s_or_b64 exec, exec, s[4:5]
	s_ashr_i32 s31, s30, 31
	v_lshl_add_u32 v27, v72, 6, v26
	s_lshl_b64 s[4:5], s[30:31], 3
	v_and_b32_e32 v0, 31, v26
	v_lshrrev_b32_e32 v10, 5, v27
	s_add_u32 s8, s16, s4
	v_mov_b32_e32 v1, 0
	s_addc_u32 s9, s17, s5
	v_mad_u64_u32 v[2:3], s[4:5], v10, s24, v[0:1]
	v_mov_b32_e32 v4, v3
	v_mad_u64_u32 v[4:5], s[4:5], v10, s25, v[4:5]
	s_mul_i32 s4, s30, s25
	s_mul_hi_u32 s5, s30, s24
	s_add_i32 s4, s5, s4
	s_mul_i32 s5, s31, s24
	s_add_i32 s5, s4, s5
	s_mul_i32 s4, s30, s24
	s_lshl_b64 s[36:37], s[4:5], 3
	v_mov_b32_e32 v3, v4
	s_add_u32 s4, s36, s8
	v_lshlrev_b64 v[22:23], 3, v[2:3]
	s_addc_u32 s5, s37, s9
	v_mov_b32_e32 v1, s5
	v_add_co_u32_e32 v2, vcc, s4, v22
	s_cmp_lg_u32 s28, 0
	v_addc_co_u32_e32 v3, vcc, v1, v23, vcc
	s_cselect_b64 s[38:39], -1, 0
	s_cmp_eq_u32 s28, 0
	s_cselect_b64 s[40:41], -1, 0
	s_and_b64 vcc, exec, s[38:39]
	s_cbranch_vccnz .LBB172_13
; %bb.12:
	flat_load_dwordx2 v[4:5], v[2:3]
	v_mul_u32_u24_e32 v1, 33, v10
	s_lshl_b64 s[4:5], s[24:25], 6
	v_add_lshl_u32 v1, v1, v0, 3
	v_mov_b32_e32 v8, s5
	v_add_co_u32_e32 v6, vcc, s4, v2
	v_addc_co_u32_e32 v7, vcc, v3, v8, vcc
	s_mul_i32 s8, s25, 0xc0
	s_waitcnt vmcnt(0) lgkmcnt(0)
	ds_write_b64 v1, v[4:5]
	flat_load_dwordx2 v[4:5], v[6:7]
	v_add_co_u32_e32 v6, vcc, s4, v6
	v_addc_co_u32_e32 v7, vcc, v7, v8, vcc
	s_waitcnt vmcnt(0) lgkmcnt(0)
	ds_write_b64 v1, v[4:5] offset:2112
	flat_load_dwordx2 v[4:5], v[6:7]
	v_mov_b32_e32 v6, 0xc0
	v_mad_u64_u32 v[6:7], s[4:5], s24, v6, v[2:3]
	v_add_u32_e32 v7, s8, v7
	s_waitcnt vmcnt(0) lgkmcnt(0)
	ds_write_b64 v1, v[4:5] offset:4224
	flat_load_dwordx2 v[4:5], v[6:7]
	s_waitcnt vmcnt(0) lgkmcnt(0)
	ds_write_b64 v1, v[4:5] offset:6336
	s_cbranch_execz .LBB172_14
	s_branch .LBB172_23
.LBB172_13:
.LBB172_14:
	v_lshlrev_b32_e32 v1, 3, v0
	v_sub_co_u32_e32 v4, vcc, v2, v1
	s_ashr_i32 s29, s28, 31
	v_subbrev_co_u32_e32 v5, vcc, 0, v3, vcc
	s_lshl_b64 s[8:9], s[28:29], 3
	v_mov_b32_e32 v6, s9
	v_add_co_u32_e32 v4, vcc, s8, v4
	v_addc_co_u32_e32 v5, vcc, v5, v6, vcc
	v_add_co_u32_e32 v4, vcc, -8, v4
	v_addc_co_u32_e32 v5, vcc, -1, v5, vcc
	v_cmp_gt_i32_e32 vcc, s28, v0
	v_pk_mov_b32 v[6:7], 0, 0
	v_cndmask_b32_e32 v5, v5, v3, vcc
	v_cndmask_b32_e32 v4, v4, v2, vcc
	v_cmp_gt_i32_e64 s[4:5], s28, v10
	v_pk_mov_b32 v[8:9], v[6:7], v[6:7] op_sel:[0,1]
	s_and_saveexec_b64 s[10:11], s[4:5]
	s_cbranch_execz .LBB172_16
; %bb.15:
	flat_load_dwordx2 v[8:9], v[4:5]
.LBB172_16:
	s_or_b64 exec, exec, s[10:11]
	v_mul_u32_u24_e32 v11, 33, v10
	v_add_lshl_u32 v11, v11, v0, 3
	s_waitcnt vmcnt(0) lgkmcnt(0)
	ds_write_b64 v11, v[8:9]
	v_add_u32_e32 v8, 8, v10
	v_cmp_gt_i32_e64 s[4:5], s28, v8
	s_and_saveexec_b64 s[10:11], s[4:5]
	s_cbranch_execz .LBB172_18
; %bb.17:
	s_lshl_b64 s[4:5], s[24:25], 6
	v_mov_b32_e32 v7, s5
	v_add_co_u32_e64 v6, s[4:5], s4, v4
	v_addc_co_u32_e64 v7, s[4:5], v5, v7, s[4:5]
	flat_load_dwordx2 v[6:7], v[6:7]
.LBB172_18:
	s_or_b64 exec, exec, s[10:11]
	s_waitcnt vmcnt(0) lgkmcnt(0)
	ds_write_b64 v11, v[6:7] offset:2112
	v_add_u32_e32 v6, 16, v10
	v_cmp_gt_i32_e64 s[4:5], s28, v6
	v_pk_mov_b32 v[6:7], 0, 0
	v_pk_mov_b32 v[8:9], v[6:7], v[6:7] op_sel:[0,1]
	s_and_saveexec_b64 s[10:11], s[4:5]
	s_cbranch_execz .LBB172_20
; %bb.19:
	s_lshl_b64 s[4:5], s[24:25], 7
	v_mov_b32_e32 v9, s5
	v_add_co_u32_e64 v8, s[4:5], s4, v4
	v_addc_co_u32_e64 v9, s[4:5], v5, v9, s[4:5]
	flat_load_dwordx2 v[8:9], v[8:9]
.LBB172_20:
	s_or_b64 exec, exec, s[10:11]
	s_waitcnt vmcnt(0) lgkmcnt(0)
	ds_write_b64 v11, v[8:9] offset:4224
	v_add_u32_e32 v8, 24, v10
	v_cmp_gt_i32_e64 s[4:5], s28, v8
	s_and_saveexec_b64 s[10:11], s[4:5]
	s_cbranch_execz .LBB172_22
; %bb.21:
	v_mov_b32_e32 v6, 0xc0
	v_mad_u64_u32 v[6:7], s[4:5], s24, v6, v[4:5]
	s_mul_i32 s4, s25, 0xc0
	v_add_u32_e32 v7, s4, v7
	flat_load_dwordx2 v[6:7], v[6:7]
.LBB172_22:
	s_or_b64 exec, exec, s[10:11]
	v_add_co_u32_e64 v1, s[4:5], v4, v1
	v_addc_co_u32_e64 v4, s[4:5], 0, v5, s[4:5]
	v_mov_b32_e32 v5, s9
	v_subrev_co_u32_e64 v1, s[4:5], s8, v1
	v_subb_co_u32_e64 v4, s[4:5], v4, v5, s[4:5]
	v_add_co_u32_e64 v1, s[4:5], 8, v1
	v_addc_co_u32_e64 v4, s[4:5], 0, v4, s[4:5]
	v_cndmask_b32_e32 v3, v4, v3, vcc
	v_cndmask_b32_e32 v2, v1, v2, vcc
	s_waitcnt vmcnt(0) lgkmcnt(0)
	ds_write_b64 v11, v[6:7] offset:6336
.LBB172_23:
	v_lshlrev_b32_e32 v1, 2, v10
	v_mul_u32_u24_e32 v28, 33, v0
	v_cmp_lt_u32_e64 s[18:19], v1, v0
	v_add_lshl_u32 v30, v1, v28, 3
	s_waitcnt lgkmcnt(0)
	s_barrier
	s_and_saveexec_b64 s[4:5], s[18:19]
	s_cbranch_execz .LBB172_25
; %bb.24:
	v_mul_u32_u24_e32 v4, 0x84, v10
	v_add_lshl_u32 v4, v4, v0, 3
	ds_read_b64 v[4:5], v4
	s_waitcnt lgkmcnt(0)
	ds_write_b64 v30, v[4:5]
.LBB172_25:
	s_or_b64 exec, exec, s[4:5]
	v_or_b32_e32 v4, 1, v1
	v_cmp_lt_u32_e64 s[8:9], v4, v0
	s_and_saveexec_b64 s[4:5], s[8:9]
	s_cbranch_execz .LBB172_27
; %bb.26:
	v_mul_u32_u24_e32 v4, 33, v4
	v_add_lshl_u32 v4, v4, v0, 3
	ds_read_b64 v[4:5], v4
	s_waitcnt lgkmcnt(0)
	ds_write_b64 v30, v[4:5] offset:8
.LBB172_27:
	s_or_b64 exec, exec, s[4:5]
	v_or_b32_e32 v4, 2, v1
	v_cmp_lt_u32_e64 s[10:11], v4, v0
	s_and_saveexec_b64 s[4:5], s[10:11]
	s_cbranch_execz .LBB172_29
; %bb.28:
	v_mul_u32_u24_e32 v4, 33, v4
	v_add_lshl_u32 v4, v4, v0, 3
	ds_read_b64 v[4:5], v4
	s_waitcnt lgkmcnt(0)
	ds_write_b64 v30, v[4:5] offset:16
.LBB172_29:
	s_or_b64 exec, exec, s[4:5]
	v_or_b32_e32 v4, 3, v1
	v_cmp_lt_u32_e64 s[12:13], v4, v0
	v_mad_u32_u24 v4, v4, 33, v0
	v_lshlrev_b32_e32 v11, 3, v4
	s_and_saveexec_b64 s[4:5], s[12:13]
	s_cbranch_execz .LBB172_31
; %bb.30:
	ds_read_b64 v[4:5], v11
	s_waitcnt lgkmcnt(0)
	ds_write_b64 v30, v[4:5] offset:24
.LBB172_31:
	s_or_b64 exec, exec, s[4:5]
	v_mul_u32_u24_e32 v4, 0x84, v10
	v_add_lshl_u32 v13, v4, v0, 3
	s_waitcnt lgkmcnt(0)
	s_barrier
	v_lshlrev_b32_e32 v12, 3, v1
	ds_read_b64 v[8:9], v13
	ds_read_b128 v[4:7], v12 offset:9088
	v_add_u32_e32 v14, 0xfffffdf0, v11
	ds_read2_b64 v[32:35], v14 offset1:33
	ds_read_b128 v[36:39], v12 offset:9104
	ds_read_b64 v[24:25], v11
	v_pk_mov_b32 v[18:19], 0, 0
	v_add_lshl_u32 v29, v10, v28, 3
	s_waitcnt lgkmcnt(3)
	v_fma_f64 v[4:5], v[8:9], v[4:5], 0
	s_waitcnt lgkmcnt(2)
	v_fmac_f64_e32 v[4:5], v[32:33], v[6:7]
	s_waitcnt lgkmcnt(1)
	v_fmac_f64_e32 v[4:5], v[34:35], v[36:37]
	;; [unrolled: 2-line block ×3, first 2 shown]
	v_cmp_gt_u32_e64 s[4:5], 32, v27
	s_barrier
	ds_write_b64 v29, v[4:5]
	s_waitcnt lgkmcnt(0)
	s_barrier
	s_and_saveexec_b64 s[14:15], s[4:5]
	s_cbranch_execz .LBB172_33
; %bb.32:
	v_lshlrev_b32_e32 v1, 3, v28
	ds_read2_b64 v[4:7], v1 offset1:1
	ds_read2_b64 v[32:35], v1 offset0:2 offset1:3
	ds_read2_b64 v[36:39], v1 offset0:4 offset1:5
	s_waitcnt lgkmcnt(2)
	v_add_f64 v[8:9], v[4:5], v[6:7]
	ds_read2_b64 v[4:7], v1 offset0:6 offset1:7
	s_waitcnt lgkmcnt(2)
	v_add_f64 v[8:9], v[8:9], v[32:33]
	v_add_f64 v[8:9], v[8:9], v[34:35]
	s_waitcnt lgkmcnt(1)
	v_add_f64 v[8:9], v[8:9], v[36:37]
	v_add_f64 v[8:9], v[8:9], v[38:39]
	s_waitcnt lgkmcnt(0)
	v_add_f64 v[4:5], v[8:9], v[4:5]
	v_add_f64 v[18:19], v[4:5], v[6:7]
.LBB172_33:
	s_or_b64 exec, exec, s[14:15]
	s_lshl_b64 s[22:23], s[24:25], 8
	v_mov_b32_e32 v1, s23
	v_add_co_u32_e32 v4, vcc, s22, v2
	v_addc_co_u32_e32 v5, vcc, v3, v1, vcc
	v_add_co_u32_e32 v2, vcc, 0x100, v4
	v_cndmask_b32_e64 v1, 0, 1, s[40:41]
	s_mov_b64 s[16:17], vcc
	v_cmp_ne_u32_e64 s[14:15], 1, v1
	s_andn2_b64 vcc, exec, s[40:41]
	v_addc_co_u32_e64 v1, s[16:17], 0, v5, s[16:17]
	s_barrier
	s_cbranch_vccnz .LBB172_35
; %bb.34:
	flat_load_dwordx2 v[6:7], v[4:5] offset:256
	v_mul_u32_u24_e32 v3, 33, v10
	s_lshl_b64 s[16:17], s[24:25], 6
	v_add_lshl_u32 v3, v3, v0, 3
	v_mov_b32_e32 v15, s17
	v_add_co_u32_e32 v8, vcc, s16, v4
	v_addc_co_u32_e32 v9, vcc, v5, v15, vcc
	s_mul_i32 s29, s25, 0xc0
	s_waitcnt vmcnt(0) lgkmcnt(0)
	ds_write_b64 v3, v[6:7]
	flat_load_dwordx2 v[6:7], v[8:9] offset:256
	v_add_co_u32_e32 v8, vcc, s16, v8
	v_addc_co_u32_e32 v9, vcc, v9, v15, vcc
	s_waitcnt vmcnt(0) lgkmcnt(0)
	ds_write_b64 v3, v[6:7] offset:2112
	flat_load_dwordx2 v[6:7], v[8:9] offset:256
	v_mov_b32_e32 v8, 0xc0
	v_mad_u64_u32 v[4:5], s[16:17], s24, v8, v[4:5]
	v_add_u32_e32 v5, s29, v5
	s_waitcnt vmcnt(0) lgkmcnt(0)
	ds_write_b64 v3, v[6:7] offset:4224
	flat_load_dwordx2 v[4:5], v[4:5] offset:256
	s_waitcnt vmcnt(0) lgkmcnt(0)
	ds_write_b64 v3, v[4:5] offset:6336
	s_cbranch_execz .LBB172_36
	s_branch .LBB172_45
.LBB172_35:
.LBB172_36:
	v_or_b32_e32 v3, 32, v0
	v_lshlrev_b32_e32 v4, 3, v3
	v_sub_co_u32_e32 v4, vcc, v2, v4
	s_ashr_i32 s29, s28, 31
	v_subbrev_co_u32_e32 v5, vcc, 0, v1, vcc
	s_lshl_b64 s[40:41], s[28:29], 3
	v_mov_b32_e32 v6, s41
	v_add_co_u32_e32 v4, vcc, s40, v4
	v_addc_co_u32_e32 v5, vcc, v5, v6, vcc
	v_add_co_u32_e32 v4, vcc, -8, v4
	v_addc_co_u32_e32 v5, vcc, -1, v5, vcc
	v_cmp_gt_i32_e64 s[16:17], s28, v3
	s_sub_i32 s29, s28, 32
	v_pk_mov_b32 v[6:7], 0, 0
	v_cndmask_b32_e64 v5, v5, v1, s[16:17]
	v_cndmask_b32_e64 v4, v4, v2, s[16:17]
	v_cmp_gt_i32_e32 vcc, s29, v10
	v_pk_mov_b32 v[8:9], v[6:7], v[6:7] op_sel:[0,1]
	s_and_saveexec_b64 s[42:43], vcc
	s_cbranch_execz .LBB172_38
; %bb.37:
	flat_load_dwordx2 v[8:9], v[4:5]
.LBB172_38:
	s_or_b64 exec, exec, s[42:43]
	v_mul_u32_u24_e32 v3, 33, v10
	v_add_lshl_u32 v3, v3, v0, 3
	s_waitcnt vmcnt(0) lgkmcnt(0)
	ds_write_b64 v3, v[8:9]
	v_add_u32_e32 v8, 8, v10
	v_cmp_gt_i32_e32 vcc, s29, v8
	s_and_saveexec_b64 s[42:43], vcc
	s_cbranch_execz .LBB172_40
; %bb.39:
	s_lshl_b64 s[44:45], s[24:25], 6
	v_mov_b32_e32 v7, s45
	v_add_co_u32_e32 v6, vcc, s44, v4
	v_addc_co_u32_e32 v7, vcc, v5, v7, vcc
	flat_load_dwordx2 v[6:7], v[6:7]
.LBB172_40:
	s_or_b64 exec, exec, s[42:43]
	s_waitcnt vmcnt(0) lgkmcnt(0)
	ds_write_b64 v3, v[6:7] offset:2112
	v_add_u32_e32 v6, 16, v10
	v_cmp_gt_i32_e32 vcc, s29, v6
	v_pk_mov_b32 v[6:7], 0, 0
	v_pk_mov_b32 v[8:9], v[6:7], v[6:7] op_sel:[0,1]
	s_and_saveexec_b64 s[42:43], vcc
	s_cbranch_execz .LBB172_42
; %bb.41:
	s_lshl_b64 s[44:45], s[24:25], 7
	v_mov_b32_e32 v9, s45
	v_add_co_u32_e32 v8, vcc, s44, v4
	v_addc_co_u32_e32 v9, vcc, v5, v9, vcc
	flat_load_dwordx2 v[8:9], v[8:9]
.LBB172_42:
	s_or_b64 exec, exec, s[42:43]
	s_waitcnt vmcnt(0) lgkmcnt(0)
	ds_write_b64 v3, v[8:9] offset:4224
	v_add_u32_e32 v8, 24, v10
	v_cmp_gt_i32_e32 vcc, s29, v8
	s_and_saveexec_b64 s[42:43], vcc
	s_cbranch_execz .LBB172_44
; %bb.43:
	v_mov_b32_e32 v6, 0xc0
	v_mad_u64_u32 v[6:7], s[44:45], s24, v6, v[4:5]
	s_mul_i32 s29, s25, 0xc0
	v_add_u32_e32 v7, s29, v7
	flat_load_dwordx2 v[6:7], v[6:7]
.LBB172_44:
	s_or_b64 exec, exec, s[42:43]
	s_waitcnt vmcnt(0) lgkmcnt(0)
	ds_write_b64 v3, v[6:7] offset:6336
	v_lshlrev_b32_e32 v3, 3, v0
	v_add_co_u32_e32 v3, vcc, v4, v3
	v_addc_co_u32_e32 v4, vcc, 0, v5, vcc
	v_mov_b32_e32 v5, s41
	v_subrev_co_u32_e32 v3, vcc, s40, v3
	v_subb_co_u32_e32 v4, vcc, v4, v5, vcc
	v_add_co_u32_e32 v3, vcc, 0x108, v3
	v_addc_co_u32_e32 v4, vcc, 0, v4, vcc
	v_cndmask_b32_e64 v1, v4, v1, s[16:17]
	v_cndmask_b32_e64 v2, v3, v2, s[16:17]
.LBB172_45:
	v_add_u32_e32 v12, 0x2380, v12
	s_lshl_b64 s[16:17], s[24:25], 5
	s_waitcnt lgkmcnt(0)
	s_barrier
	s_and_saveexec_b64 s[40:41], s[18:19]
	s_cbranch_execnz .LBB172_54
; %bb.46:
	s_or_b64 exec, exec, s[40:41]
	s_and_saveexec_b64 s[18:19], s[8:9]
	s_cbranch_execnz .LBB172_55
.LBB172_47:
	s_or_b64 exec, exec, s[18:19]
	s_and_saveexec_b64 s[8:9], s[10:11]
	s_cbranch_execnz .LBB172_56
.LBB172_48:
	s_or_b64 exec, exec, s[8:9]
	s_and_saveexec_b64 s[8:9], s[12:13]
	s_cbranch_execz .LBB172_50
.LBB172_49:
	ds_read_b64 v[4:5], v11
	s_waitcnt lgkmcnt(0)
	ds_write_b64 v30, v[4:5] offset:24
.LBB172_50:
	s_or_b64 exec, exec, s[8:9]
	s_waitcnt lgkmcnt(0)
	s_barrier
	ds_read_b64 v[8:9], v13
	ds_read_b128 v[4:7], v12 offset:256
	ds_read2_b64 v[32:35], v14 offset1:33
	ds_read_b128 v[36:39], v12 offset:272
	ds_read_b64 v[14:15], v11
	v_cmp_eq_u32_e64 s[10:11], 1, v10
	s_waitcnt lgkmcnt(3)
	v_fma_f64 v[4:5], v[8:9], v[4:5], 0
	s_waitcnt lgkmcnt(2)
	v_fmac_f64_e32 v[4:5], v[32:33], v[6:7]
	s_waitcnt lgkmcnt(1)
	v_fmac_f64_e32 v[4:5], v[34:35], v[36:37]
	;; [unrolled: 2-line block ×3, first 2 shown]
	s_barrier
	ds_write_b64 v29, v[4:5]
	s_waitcnt lgkmcnt(0)
	s_barrier
	s_and_saveexec_b64 s[8:9], s[10:11]
	s_cbranch_execz .LBB172_52
; %bb.51:
	v_lshlrev_b32_e32 v3, 3, v28
	ds_read2_b64 v[4:7], v3 offset1:1
	ds_read2_b64 v[32:35], v3 offset0:2 offset1:3
	ds_read2_b64 v[36:39], v3 offset0:4 offset1:5
	s_waitcnt lgkmcnt(2)
	v_add_f64 v[8:9], v[4:5], v[6:7]
	ds_read2_b64 v[4:7], v3 offset0:6 offset1:7
	s_waitcnt lgkmcnt(2)
	v_add_f64 v[8:9], v[8:9], v[32:33]
	v_add_f64 v[8:9], v[8:9], v[34:35]
	s_waitcnt lgkmcnt(1)
	v_add_f64 v[8:9], v[8:9], v[36:37]
	v_add_f64 v[8:9], v[8:9], v[38:39]
	;; [unrolled: 3-line block ×3, first 2 shown]
.LBB172_52:
	s_or_b64 exec, exec, s[8:9]
	s_lshl_b64 s[8:9], s[16:17], 3
	v_mov_b32_e32 v3, s9
	v_subrev_co_u32_e64 v24, s[8:9], s8, v2
	s_and_b64 vcc, exec, s[14:15]
	v_subb_co_u32_e64 v25, s[8:9], v1, v3, s[8:9]
	s_barrier
	s_cbranch_vccnz .LBB172_57
; %bb.53:
	flat_load_dwordx2 v[2:3], v[24:25]
	v_mad_u32_u24 v1, v10, 33, v0
	s_lshl_b64 s[8:9], s[24:25], 6
	v_lshlrev_b32_e32 v14, 3, v1
	v_mov_b32_e32 v6, s9
	v_add_co_u32_e32 v4, vcc, s8, v24
	v_addc_co_u32_e32 v5, vcc, v25, v6, vcc
	s_mul_i32 s12, s25, 0xc0
	v_add_u32_e32 v8, 8, v10
	v_add_u32_e32 v9, 16, v10
	;; [unrolled: 1-line block ×5, first 2 shown]
	s_waitcnt vmcnt(0) lgkmcnt(0)
	ds_write_b64 v14, v[2:3]
	flat_load_dwordx2 v[2:3], v[4:5]
	v_add_co_u32_e32 v4, vcc, s8, v4
	v_addc_co_u32_e32 v5, vcc, v5, v6, vcc
	v_add_u32_e32 v6, 24, v10
	s_waitcnt vmcnt(0) lgkmcnt(0)
	ds_write_b64 v14, v[2:3] offset:2112
	flat_load_dwordx2 v[2:3], v[4:5]
	v_mov_b32_e32 v4, 0xc0
	v_mad_u64_u32 v[4:5], s[8:9], s24, v4, v[24:25]
	v_add_u32_e32 v5, s12, v5
	s_waitcnt vmcnt(0) lgkmcnt(0)
	ds_write_b64 v14, v[2:3] offset:4224
	flat_load_dwordx2 v[2:3], v[4:5]
	s_waitcnt vmcnt(0) lgkmcnt(0)
	ds_write_b64 v14, v[2:3] offset:6336
	s_cbranch_execz .LBB172_58
	s_branch .LBB172_67
.LBB172_54:
	ds_read_b64 v[4:5], v13
	s_waitcnt lgkmcnt(0)
	ds_write_b64 v30, v[4:5]
	s_or_b64 exec, exec, s[40:41]
	s_and_saveexec_b64 s[18:19], s[8:9]
	s_cbranch_execz .LBB172_47
.LBB172_55:
	ds_read_b64 v[4:5], v14
	s_waitcnt lgkmcnt(0)
	ds_write_b64 v30, v[4:5] offset:8
	s_or_b64 exec, exec, s[18:19]
	s_and_saveexec_b64 s[8:9], s[10:11]
	s_cbranch_execz .LBB172_48
.LBB172_56:
	ds_read_b64 v[4:5], v14 offset:264
	s_waitcnt lgkmcnt(0)
	ds_write_b64 v30, v[4:5] offset:16
	s_or_b64 exec, exec, s[8:9]
	s_and_saveexec_b64 s[8:9], s[12:13]
	s_cbranch_execnz .LBB172_49
	s_branch .LBB172_50
.LBB172_57:
                                        ; implicit-def: $vgpr1
                                        ; implicit-def: $vgpr8
                                        ; implicit-def: $vgpr13
                                        ; implicit-def: $vgpr9
                                        ; implicit-def: $vgpr7
                                        ; implicit-def: $vgpr6
                                        ; implicit-def: $vgpr11
.LBB172_58:
	v_or_b32_e32 v1, 32, v0
	v_lshlrev_b32_e32 v2, 3, v1
	v_sub_co_u32_e32 v2, vcc, v24, v2
	s_ashr_i32 s29, s28, 31
	v_subbrev_co_u32_e32 v3, vcc, 0, v25, vcc
	s_lshl_b64 s[12:13], s[28:29], 3
	v_mov_b32_e32 v4, s13
	v_add_co_u32_e32 v2, vcc, s12, v2
	v_addc_co_u32_e32 v3, vcc, v3, v4, vcc
	v_add_co_u32_e32 v2, vcc, -8, v2
	v_addc_co_u32_e32 v3, vcc, -1, v3, vcc
	v_cmp_gt_i32_e64 s[8:9], s28, v1
	v_pk_mov_b32 v[4:5], 0, 0
	v_cndmask_b32_e64 v3, v3, v25, s[8:9]
	v_cndmask_b32_e64 v2, v2, v24, s[8:9]
	v_cmp_gt_i32_e32 vcc, s28, v10
	v_pk_mov_b32 v[6:7], v[4:5], v[4:5] op_sel:[0,1]
	s_and_saveexec_b64 s[14:15], vcc
	s_cbranch_execz .LBB172_60
; %bb.59:
	flat_load_dwordx2 v[6:7], v[2:3]
.LBB172_60:
	s_or_b64 exec, exec, s[14:15]
	v_mad_u32_u24 v1, v10, 33, v0
	v_add_u32_e32 v8, 8, v10
	v_lshlrev_b32_e32 v14, 3, v1
	v_cmp_gt_i32_e32 vcc, s28, v8
	s_waitcnt vmcnt(0) lgkmcnt(0)
	ds_write_b64 v14, v[6:7]
	s_and_saveexec_b64 s[14:15], vcc
	s_cbranch_execz .LBB172_62
; %bb.61:
	s_lshl_b64 s[16:17], s[24:25], 6
	v_mov_b32_e32 v5, s17
	v_add_co_u32_e32 v4, vcc, s16, v2
	v_addc_co_u32_e32 v5, vcc, v3, v5, vcc
	flat_load_dwordx2 v[4:5], v[4:5]
.LBB172_62:
	s_or_b64 exec, exec, s[14:15]
	s_waitcnt vmcnt(0) lgkmcnt(0)
	ds_write_b64 v14, v[4:5] offset:2112
	v_add_u32_e32 v9, 16, v10
	v_pk_mov_b32 v[4:5], 0, 0
	v_cmp_gt_i32_e32 vcc, s28, v9
	v_pk_mov_b32 v[6:7], v[4:5], v[4:5] op_sel:[0,1]
	s_and_saveexec_b64 s[14:15], vcc
	s_cbranch_execz .LBB172_64
; %bb.63:
	s_lshl_b64 s[16:17], s[24:25], 7
	v_mov_b32_e32 v7, s17
	v_add_co_u32_e32 v6, vcc, s16, v2
	v_addc_co_u32_e32 v7, vcc, v3, v7, vcc
	flat_load_dwordx2 v[6:7], v[6:7]
.LBB172_64:
	s_or_b64 exec, exec, s[14:15]
	s_waitcnt vmcnt(0) lgkmcnt(0)
	ds_write_b64 v14, v[6:7] offset:4224
	v_add_u32_e32 v6, 24, v10
	v_cmp_gt_i32_e32 vcc, s28, v6
	s_and_saveexec_b64 s[14:15], vcc
	s_cbranch_execz .LBB172_66
; %bb.65:
	v_mov_b32_e32 v4, 0xc0
	v_mad_u64_u32 v[4:5], s[16:17], s24, v4, v[2:3]
	s_mul_i32 s16, s25, 0xc0
	v_add_u32_e32 v5, s16, v5
	flat_load_dwordx2 v[4:5], v[4:5]
.LBB172_66:
	s_or_b64 exec, exec, s[14:15]
	v_lshlrev_b32_e32 v0, 3, v0
	v_add_co_u32_e32 v0, vcc, v2, v0
	v_addc_co_u32_e32 v2, vcc, 0, v3, vcc
	v_mov_b32_e32 v3, s13
	v_subrev_co_u32_e32 v0, vcc, s12, v0
	v_subb_co_u32_e32 v2, vcc, v2, v3, vcc
	v_add_co_u32_e32 v0, vcc, 0x108, v0
	v_addc_co_u32_e32 v2, vcc, 0, v2, vcc
	v_add_u32_e32 v13, 0x108, v1
	v_add_u32_e32 v7, 0x210, v1
	;; [unrolled: 1-line block ×3, first 2 shown]
	v_cndmask_b32_e64 v25, v2, v25, s[8:9]
	v_cndmask_b32_e64 v24, v0, v24, s[8:9]
	s_waitcnt vmcnt(0) lgkmcnt(0)
	ds_write_b64 v14, v[4:5] offset:6336
.LBB172_67:
	v_lshlrev_b32_e32 v0, 3, v1
	s_waitcnt lgkmcnt(0)
	s_barrier
	v_lshlrev_b32_e32 v1, 3, v10
	v_lshlrev_b32_e32 v2, 3, v13
	;; [unrolled: 1-line block ×3, first 2 shown]
	ds_read_b64 v[32:33], v0
	ds_read_b64 v[34:35], v1 offset:9088
	ds_read_b64 v[36:37], v2
	ds_read_b64 v[38:39], v3 offset:9088
	v_lshlrev_b32_e32 v0, 3, v7
	v_lshlrev_b32_e32 v1, 3, v9
	v_lshlrev_b32_e32 v2, 3, v11
	v_lshlrev_b32_e32 v3, 3, v6
	ds_read_b64 v[40:41], v0
	ds_read_b64 v[42:43], v1 offset:9088
	ds_read_b64 v[44:45], v2
	ds_read_b64 v[46:47], v3 offset:9088
	ds_read_b128 v[8:11], v12 offset:256
	ds_read_b128 v[0:3], v12 offset:272
	ds_read2_b64 v[12:15], v30 offset1:1
	ds_read2_b64 v[4:7], v30 offset0:2 offset1:3
	s_waitcnt lgkmcnt(10)
	v_fma_f64 v[30:31], v[32:33], v[34:35], 0
	s_waitcnt lgkmcnt(8)
	v_fmac_f64_e32 v[30:31], v[36:37], v[38:39]
	s_waitcnt lgkmcnt(6)
	v_fmac_f64_e32 v[30:31], v[40:41], v[42:43]
	;; [unrolled: 2-line block ×3, first 2 shown]
	s_waitcnt lgkmcnt(0)
	s_barrier
	ds_write_b64 v29, v[30:31]
	s_waitcnt lgkmcnt(0)
	s_barrier
	s_and_saveexec_b64 s[8:9], s[10:11]
	s_cbranch_execz .LBB172_69
; %bb.68:
	v_lshlrev_b32_e32 v42, 3, v28
	ds_read2_b64 v[30:33], v42 offset1:1
	ds_read2_b64 v[34:37], v42 offset0:2 offset1:3
	ds_read2_b64 v[38:41], v42 offset0:4 offset1:5
	s_waitcnt lgkmcnt(2)
	v_add_f64 v[18:19], v[18:19], v[30:31]
	v_add_f64 v[18:19], v[18:19], v[32:33]
	ds_read2_b64 v[30:33], v42 offset0:6 offset1:7
	s_waitcnt lgkmcnt(2)
	v_add_f64 v[18:19], v[18:19], v[34:35]
	v_add_f64 v[18:19], v[18:19], v[36:37]
	s_waitcnt lgkmcnt(1)
	v_add_f64 v[18:19], v[18:19], v[38:39]
	v_add_f64 v[18:19], v[18:19], v[40:41]
	s_waitcnt lgkmcnt(0)
	v_add_f64 v[18:19], v[18:19], v[30:31]
	v_add_f64 v[18:19], v[18:19], v[32:33]
.LBB172_69:
	s_or_b64 exec, exec, s[8:9]
	v_fma_f64 v[8:9], v[12:13], v[8:9], 0
	v_fmac_f64_e32 v[8:9], v[14:15], v[10:11]
	v_fmac_f64_e32 v[8:9], v[4:5], v[0:1]
	;; [unrolled: 1-line block ×3, first 2 shown]
	s_barrier
	ds_write_b64 v29, v[8:9]
	s_waitcnt lgkmcnt(0)
	s_barrier
	s_and_saveexec_b64 s[8:9], s[4:5]
	s_cbranch_execz .LBB172_71
; %bb.70:
	v_lshlrev_b32_e32 v14, 3, v28
	ds_read2_b64 v[0:3], v14 offset1:1
	ds_read2_b64 v[4:7], v14 offset0:2 offset1:3
	ds_read2_b64 v[8:11], v14 offset0:4 offset1:5
	s_waitcnt lgkmcnt(2)
	v_add_f64 v[0:1], v[18:19], v[0:1]
	v_add_f64 v[12:13], v[0:1], v[2:3]
	ds_read2_b64 v[0:3], v14 offset0:6 offset1:7
	s_waitcnt lgkmcnt(2)
	v_add_f64 v[4:5], v[12:13], v[4:5]
	v_add_f64 v[4:5], v[4:5], v[6:7]
	s_waitcnt lgkmcnt(1)
	v_add_f64 v[4:5], v[4:5], v[8:9]
	v_add_f64 v[4:5], v[4:5], v[10:11]
	;; [unrolled: 3-line block ×3, first 2 shown]
.LBB172_71:
	s_or_b64 exec, exec, s[8:9]
	s_mul_hi_u32 s4, s7, s26
	s_mul_i32 s33, s33, s26
	s_add_i32 s4, s4, s33
	s_mul_i32 s8, s7, s26
	s_mul_i32 s4, s4, s27
	s_mul_hi_u32 s5, s8, s27
	s_add_i32 s5, s5, s4
	s_mul_i32 s4, s8, s27
	s_lshl_b64 s[4:5], s[4:5], 3
	s_add_u32 s8, s34, s4
	s_mul_i32 s4, s6, s7
	s_addc_u32 s9, s35, s5
	s_ashr_i32 s5, s4, 31
	s_lshl_b64 s[4:5], s[4:5], 3
	s_add_u32 s7, s8, s4
	v_cmp_le_i32_e32 vcc, s28, v26
	s_addc_u32 s26, s9, s5
	s_and_b64 vcc, s[38:39], vcc
	s_cmp_lt_i32 s6, 1
	v_lshlrev_b32_e32 v73, 3, v26
	s_barrier
	s_cbranch_scc1 .LBB172_78
; %bb.72:
	s_mul_i32 s4, s30, s21
	s_mul_hi_u32 s5, s30, s20
	s_add_i32 s4, s5, s4
	s_mul_i32 s5, s31, s20
	s_add_i32 s5, s4, s5
	s_mul_i32 s4, s30, s20
	s_lshl_b64 s[4:5], s[4:5], 3
	v_mov_b32_e32 v0, s5
	v_subrev_co_u32_e64 v74, s[4:5], s4, v20
	v_subb_co_u32_e64 v75, s[4:5], v21, v0, s[4:5]
	v_mov_b32_e32 v0, s37
	v_subrev_co_u32_e64 v1, s[4:5], s36, v24
	v_subb_co_u32_e64 v0, s[4:5], v25, v0, s[4:5]
	v_lshlrev_b32_e32 v3, 2, v72
	v_sub_co_u32_e64 v6, s[4:5], v1, v22
	v_subb_co_u32_e64 v7, s[4:5], v0, v23, s[4:5]
	v_mad_u64_u32 v[0:1], s[4:5], v3, s24, 0
	v_mov_b32_e32 v2, v1
	v_mad_u64_u32 v[2:3], s[4:5], v3, s25, v[2:3]
	v_mov_b32_e32 v1, v2
	v_lshlrev_b64 v[0:1], 3, v[0:1]
	v_add_co_u32_e64 v0, s[4:5], v6, v0
	v_addc_co_u32_e64 v1, s[4:5], v7, v1, s[4:5]
	s_movk_i32 s4, 0xff00
	v_add_co_u32_e64 v0, s[4:5], s4, v0
	v_addc_co_u32_e64 v2, s[4:5], -1, v1, s[4:5]
	s_ashr_i32 s29, s28, 31
	s_lshl_b64 s[4:5], s[28:29], 3
	v_mov_b32_e32 v1, s5
	v_add_co_u32_e64 v3, s[4:5], s4, v0
	v_addc_co_u32_e64 v1, s[4:5], v2, v1, s[4:5]
	v_add_co_u32_e64 v6, s[4:5], -8, v3
	v_addc_co_u32_e64 v3, s[4:5], -1, v1, s[4:5]
	v_add_co_u32_e64 v0, s[4:5], v0, v73
	v_addc_co_u32_e64 v2, s[4:5], 0, v2, s[4:5]
	v_cndmask_b32_e32 v3, v2, v3, vcc
	v_cndmask_b32_e32 v2, v0, v6, vcc
	v_and_b32_e32 v0, 48, v26
	v_and_b32_e32 v4, 15, v26
	v_lshlrev_b32_e32 v6, 3, v0
	s_movk_i32 s8, 0x218
	v_lshrrev_b32_e32 v5, 4, v27
	v_mad_u32_u24 v78, v4, s8, v6
	v_or_b32_e32 v6, 0x78, v73
	s_mul_i32 s31, s25, 0x118
	s_mul_hi_u32 s33, s24, 0x118
	v_mad_u32_u24 v79, v4, s8, v6
	v_lshlrev_b32_e32 v6, 5, v5
	s_movk_i32 s9, 0x860
	v_lshlrev_b32_e32 v5, 3, v5
	s_add_i32 s38, s33, s31
	s_mul_i32 s33, s25, 0x180
	s_mul_hi_u32 s34, s24, 0x180
	v_mad_u32_u24 v80, v4, s8, v6
	v_mad_u32_u24 v82, v72, s9, v73
	;; [unrolled: 1-line block ×3, first 2 shown]
	s_mul_i32 s8, s25, 24
	s_mul_hi_u32 s9, s24, 24
	s_add_i32 s39, s34, s33
	s_mul_i32 s34, s25, 0x190
	s_mul_hi_u32 s35, s24, 0x190
	s_add_i32 s8, s9, s8
	;; [unrolled: 3-line block ×5, first 2 shown]
	s_mul_i32 s36, s25, 0x188
	s_mul_hi_u32 s37, s24, 0x188
	s_lshl_b64 s[10:11], s[24:25], 3
	s_lshl_b64 s[12:13], s[24:25], 4
	;; [unrolled: 1-line block ×4, first 2 shown]
	s_add_i32 s18, s19, s18
	s_mul_i32 s19, s25, 0x110
	s_mul_hi_u32 s30, s24, 0x110
	s_add_i32 s42, s37, s36
	s_mul_i32 s37, s25, 0x108
	s_mul_hi_u32 s43, s24, 0x108
	s_mulk_i32 s25, 0x88
	s_mul_hi_u32 s44, s24, 0x88
	v_mov_b32_e32 v6, 0x2180
	s_add_i32 s19, s30, s19
	s_add_i32 s43, s43, s37
	;; [unrolled: 1-line block ×3, first 2 shown]
	v_mov_b32_e32 v1, 0
	v_add_u32_e32 v76, 0x2180, v73
	v_add_u32_e32 v77, 0x2380, v73
	v_cmp_gt_u32_e64 s[4:5], 64, v27
	v_lshl_add_u32 v81, v72, 5, v6
	s_mul_i32 s27, s24, 24
	s_mul_i32 s28, s24, 0x90
	;; [unrolled: 1-line block ×10, first 2 shown]
	s_mulk_i32 s24, 0x88
	v_or_b32_e32 v84, v0, v4
	s_mov_b32 s25, 0
	v_mov_b32_e32 v85, s11
	v_mov_b32_e32 v86, s13
	;; [unrolled: 1-line block ×15, first 2 shown]
	s_branch .LBB172_74
.LBB172_73:                             ;   in Loop: Header=BB172_74 Depth=1
	s_or_b64 exec, exec, s[18:19]
	v_fmac_f64_e32 v[18:19], v[4:5], v[12:13]
	v_fmac_f64_e32 v[18:19], v[6:7], v[14:15]
	;; [unrolled: 1-line block ×15, first 2 shown]
	v_mov_b32_e32 v0, s15
	s_add_i32 s25, s25, 64
	s_add_i32 s6, s6, -1
	v_add_co_u32_e64 v2, s[8:9], s14, v2
	v_fmac_f64_e32 v[18:19], v[60:61], v[70:71]
	s_cmp_eq_u32 s6, 0
	v_addc_co_u32_e64 v3, s[8:9], v3, v0, s[8:9]
	s_barrier
	s_cbranch_scc1 .LBB172_78
.LBB172_74:                             ; =>This Inner Loop Header: Depth=1
	s_and_saveexec_b64 s[18:19], s[2:3]
	s_cbranch_execz .LBB172_76
; %bb.75:                               ;   in Loop: Header=BB172_74 Depth=1
	s_mul_i32 s8, s25, s21
	s_mul_hi_u32 s9, s25, s20
	s_add_i32 s9, s9, s8
	s_mul_i32 s8, s25, s20
	s_lshl_b64 s[8:9], s[8:9], 3
	v_mov_b32_e32 v0, s9
	v_add_co_u32_e64 v4, s[8:9], s8, v74
	v_addc_co_u32_e64 v5, s[8:9], v75, v0, s[8:9]
	flat_load_dwordx2 v[4:5], v[4:5]
	s_waitcnt vmcnt(0) lgkmcnt(0)
	ds_write_b64 v76, v[4:5]
.LBB172_76:                             ;   in Loop: Header=BB172_74 Depth=1
	s_or_b64 exec, exec, s[18:19]
	v_add_co_u32_e64 v10, s[8:9], s10, v2
	v_addc_co_u32_e64 v11, s[8:9], v3, v85, s[8:9]
	v_add_co_u32_e64 v12, s[8:9], s12, v2
	v_addc_co_u32_e64 v13, s[8:9], v3, v86, s[8:9]
	s_waitcnt lgkmcnt(0)
	s_barrier
	flat_load_dwordx2 v[4:5], v[2:3]
	flat_load_dwordx2 v[6:7], v[10:11]
	;; [unrolled: 1-line block ×3, first 2 shown]
	v_add_co_u32_e64 v10, s[8:9], s27, v2
	v_addc_co_u32_e64 v11, s[8:9], v3, v87, s[8:9]
	flat_load_dwordx2 v[10:11], v[10:11]
	ds_read_b64 v[14:15], v77
	ds_read_b64 v[12:13], v81
	v_add_co_u32_e64 v32, s[8:9], s16, v2
	v_addc_co_u32_e64 v33, s[8:9], v3, v88, s[8:9]
	v_add_co_u32_e64 v34, s[8:9], s24, v2
	v_addc_co_u32_e64 v35, s[8:9], v3, v89, s[8:9]
	;; [unrolled: 2-line block ×12, first 2 shown]
	s_waitcnt vmcnt(0) lgkmcnt(0)
	v_mul_f64 v[20:21], v[4:5], v[14:15]
	ds_write_b64 v82, v[20:21]
	v_mul_f64 v[20:21], v[6:7], v[14:15]
	v_mul_f64 v[22:23], v[8:9], v[14:15]
	;; [unrolled: 1-line block ×3, first 2 shown]
	ds_read_b64 v[14:15], v81 offset:8
	ds_write_b64 v82, v[20:21] offset:536
	ds_read_b64 v[20:21], v81 offset:16
	ds_write_b64 v82, v[22:23] offset:1072
	;; [unrolled: 2-line block ×3, first 2 shown]
	s_waitcnt lgkmcnt(0)
	s_barrier
	ds_read2_b64 v[64:67], v80 offset1:1
	ds_read2_b64 v[68:71], v80 offset0:2 offset1:3
	s_waitcnt lgkmcnt(0)
	s_barrier
	flat_load_dwordx2 v[30:31], v[32:33]
	flat_load_dwordx2 v[26:27], v[34:35]
	;; [unrolled: 1-line block ×4, first 2 shown]
	ds_read_b64 v[34:35], v77
	ds_read_b64 v[32:33], v81 offset:128
	v_add_f64 v[64:65], v[64:65], 0
	v_add_f64 v[64:65], v[64:65], v[66:67]
	;; [unrolled: 1-line block ×3, first 2 shown]
	s_waitcnt vmcnt(0) lgkmcnt(0)
	v_mul_f64 v[36:37], v[30:31], v[34:35]
	v_mul_f64 v[38:39], v[26:27], v[34:35]
	ds_write_b64 v82, v[36:37]
	v_mul_f64 v[40:41], v[24:25], v[34:35]
	v_mul_f64 v[42:43], v[28:29], v[34:35]
	ds_read_b64 v[34:35], v81 offset:136
	ds_write_b64 v82, v[38:39] offset:536
	ds_read_b64 v[36:37], v81 offset:144
	ds_write_b64 v82, v[40:41] offset:1072
	;; [unrolled: 2-line block ×3, first 2 shown]
	s_waitcnt lgkmcnt(0)
	s_barrier
	ds_read2_b64 v[100:103], v80 offset1:1
	ds_read2_b64 v[104:107], v80 offset0:2 offset1:3
	s_waitcnt lgkmcnt(0)
	s_barrier
	flat_load_dwordx2 v[46:47], v[48:49]
	flat_load_dwordx2 v[42:43], v[50:51]
	;; [unrolled: 1-line block ×4, first 2 shown]
	ds_read_b64 v[50:51], v77
	ds_read_b64 v[48:49], v81 offset:256
	s_waitcnt vmcnt(0) lgkmcnt(0)
	v_mul_f64 v[52:53], v[46:47], v[50:51]
	v_mul_f64 v[54:55], v[42:43], v[50:51]
	ds_write_b64 v82, v[52:53]
	v_mul_f64 v[56:57], v[40:41], v[50:51]
	v_mul_f64 v[58:59], v[44:45], v[50:51]
	ds_read_b64 v[50:51], v81 offset:264
	ds_write_b64 v82, v[54:55] offset:536
	ds_read_b64 v[52:53], v81 offset:272
	ds_write_b64 v82, v[56:57] offset:1072
	;; [unrolled: 2-line block ×3, first 2 shown]
	s_waitcnt lgkmcnt(0)
	s_barrier
	ds_read2_b64 v[108:111], v80 offset1:1
	ds_read2_b64 v[112:115], v80 offset0:2 offset1:3
	s_waitcnt lgkmcnt(0)
	s_barrier
	flat_load_dwordx2 v[62:63], v[116:117]
	flat_load_dwordx2 v[58:59], v[118:119]
	;; [unrolled: 1-line block ×4, first 2 shown]
	v_add_f64 v[116:117], v[64:65], v[70:71]
	v_add_f64 v[64:65], v[100:101], 0
	;; [unrolled: 1-line block ×5, first 2 shown]
	ds_read_b64 v[66:67], v77
	ds_read_b64 v[64:65], v81 offset:384
	v_add_f64 v[68:69], v[108:109], 0
	v_add_f64 v[68:69], v[68:69], v[110:111]
	;; [unrolled: 1-line block ×4, first 2 shown]
	s_waitcnt vmcnt(0) lgkmcnt(0)
	v_mul_f64 v[68:69], v[62:63], v[66:67]
	v_mul_f64 v[70:71], v[58:59], v[66:67]
	ds_write_b64 v82, v[68:69]
	v_mul_f64 v[100:101], v[56:57], v[66:67]
	v_mul_f64 v[102:103], v[60:61], v[66:67]
	ds_read_b64 v[66:67], v81 offset:392
	ds_write_b64 v82, v[70:71] offset:536
	ds_read_b64 v[68:69], v81 offset:400
	ds_write_b64 v82, v[100:101] offset:1072
	;; [unrolled: 2-line block ×3, first 2 shown]
	s_waitcnt lgkmcnt(0)
	s_barrier
	ds_read2_b64 v[100:103], v80 offset1:1
	ds_read2_b64 v[104:107], v80 offset0:2 offset1:3
	s_waitcnt lgkmcnt(0)
	s_barrier
	v_add_f64 v[100:101], v[100:101], 0
	v_add_f64 v[100:101], v[100:101], v[102:103]
	;; [unrolled: 1-line block ×4, first 2 shown]
	ds_write2_b64 v83, v[116:117], v[118:119] offset1:16
	ds_write2_b64 v83, v[108:109], v[100:101] offset0:32 offset1:48
	s_waitcnt lgkmcnt(0)
	s_barrier
	s_and_saveexec_b64 s[18:19], s[4:5]
	s_cbranch_execz .LBB172_73
; %bb.77:                               ;   in Loop: Header=BB172_74 Depth=1
	ds_read2_b64 v[100:103], v78 offset1:1
	ds_read2_b64 v[104:107], v78 offset0:2 offset1:3
	ds_read2_b64 v[108:111], v78 offset0:4 offset1:5
	;; [unrolled: 1-line block ×3, first 2 shown]
	v_add_u32_e32 v0, s25, v84
	s_waitcnt lgkmcnt(3)
	v_add_f64 v[100:101], v[100:101], v[102:103]
	s_waitcnt lgkmcnt(2)
	v_add_f64 v[100:101], v[100:101], v[104:105]
	v_add_f64 v[100:101], v[100:101], v[106:107]
	s_waitcnt lgkmcnt(1)
	v_add_f64 v[104:105], v[100:101], v[108:109]
	ds_read2_b64 v[100:103], v78 offset0:8 offset1:9
	v_add_f64 v[104:105], v[104:105], v[110:111]
	s_waitcnt lgkmcnt(1)
	v_add_f64 v[108:109], v[104:105], v[112:113]
	ds_read2_b64 v[104:107], v78 offset0:10 offset1:11
	v_add_f64 v[108:109], v[108:109], v[114:115]
	s_waitcnt lgkmcnt(1)
	v_add_f64 v[100:101], v[108:109], v[100:101]
	v_add_f64 v[108:109], v[100:101], v[102:103]
	ds_read2_b64 v[100:103], v78 offset0:12 offset1:13
	s_waitcnt lgkmcnt(1)
	v_add_f64 v[104:105], v[108:109], v[104:105]
	ds_read_b64 v[108:109], v78 offset:112
	ds_read_b64 v[110:111], v79
	v_add_f64 v[104:105], v[104:105], v[106:107]
	s_waitcnt lgkmcnt(2)
	v_add_f64 v[100:101], v[104:105], v[100:101]
	v_add_f64 v[100:101], v[100:101], v[102:103]
	v_lshlrev_b64 v[102:103], 3, v[0:1]
	s_waitcnt lgkmcnt(1)
	v_add_f64 v[100:101], v[100:101], v[108:109]
	v_mov_b32_e32 v0, s26
	v_add_co_u32_e64 v102, s[8:9], s7, v102
	s_waitcnt lgkmcnt(0)
	v_add_f64 v[100:101], v[100:101], v[110:111]
	v_addc_co_u32_e64 v103, s[8:9], v0, v103, s[8:9]
	global_store_dwordx2 v[102:103], v[100:101], off
	s_branch .LBB172_73
.LBB172_78:
	s_movk_i32 s2, 0x218
	s_or_b64 s[0:1], s[0:1], vcc
	v_mad_u32_u24 v0, v72, s2, v73
	s_xor_b64 s[0:1], s[0:1], -1
	ds_write_b64 v0, v[18:19]
	s_waitcnt lgkmcnt(0)
	s_barrier
	s_and_saveexec_b64 s[2:3], s[0:1]
	s_cbranch_execz .LBB172_80
; %bb.79:
	ds_read2_b64 v[0:3], v73 offset1:67
	ds_read2_b64 v[4:7], v73 offset0:134 offset1:201
	v_lshlrev_b64 v[8:9], 3, v[16:17]
	v_mov_b32_e32 v10, s26
	s_waitcnt lgkmcnt(1)
	v_add_f64 v[0:1], v[0:1], v[2:3]
	s_waitcnt lgkmcnt(0)
	v_add_f64 v[0:1], v[0:1], v[4:5]
	v_add_co_u32_e32 v2, vcc, s7, v8
	v_add_f64 v[0:1], v[0:1], v[6:7]
	v_addc_co_u32_e32 v3, vcc, v10, v9, vcc
	global_store_dwordx2 v[2:3], v[0:1], off
.LBB172_80:
	s_endpgm
	.section	.rodata,"a",@progbits
	.p2align	6, 0x0
	.amdhsa_kernel _ZL26rocblas_hemvn_kernel_lowerILb0ELi64ELi4ELi33ELi32ELi16ElPKdPKS1_PdEviT6_lT7_lT5_lS6_lS7_lS5_lT8_i
		.amdhsa_group_segment_fixed_size 9600
		.amdhsa_private_segment_fixed_size 0
		.amdhsa_kernarg_size 376
		.amdhsa_user_sgpr_count 6
		.amdhsa_user_sgpr_private_segment_buffer 1
		.amdhsa_user_sgpr_dispatch_ptr 0
		.amdhsa_user_sgpr_queue_ptr 0
		.amdhsa_user_sgpr_kernarg_segment_ptr 1
		.amdhsa_user_sgpr_dispatch_id 0
		.amdhsa_user_sgpr_flat_scratch_init 0
		.amdhsa_user_sgpr_kernarg_preload_length 0
		.amdhsa_user_sgpr_kernarg_preload_offset 0
		.amdhsa_user_sgpr_private_segment_size 0
		.amdhsa_uses_dynamic_stack 0
		.amdhsa_system_sgpr_private_segment_wavefront_offset 0
		.amdhsa_system_sgpr_workgroup_id_x 1
		.amdhsa_system_sgpr_workgroup_id_y 0
		.amdhsa_system_sgpr_workgroup_id_z 1
		.amdhsa_system_sgpr_workgroup_info 0
		.amdhsa_system_vgpr_workitem_id 1
		.amdhsa_next_free_vgpr 124
		.amdhsa_next_free_sgpr 46
		.amdhsa_accum_offset 124
		.amdhsa_reserve_vcc 1
		.amdhsa_reserve_flat_scratch 0
		.amdhsa_float_round_mode_32 0
		.amdhsa_float_round_mode_16_64 0
		.amdhsa_float_denorm_mode_32 3
		.amdhsa_float_denorm_mode_16_64 3
		.amdhsa_dx10_clamp 1
		.amdhsa_ieee_mode 1
		.amdhsa_fp16_overflow 0
		.amdhsa_tg_split 0
		.amdhsa_exception_fp_ieee_invalid_op 0
		.amdhsa_exception_fp_denorm_src 0
		.amdhsa_exception_fp_ieee_div_zero 0
		.amdhsa_exception_fp_ieee_overflow 0
		.amdhsa_exception_fp_ieee_underflow 0
		.amdhsa_exception_fp_ieee_inexact 0
		.amdhsa_exception_int_div_zero 0
	.end_amdhsa_kernel
	.section	.text._ZL26rocblas_hemvn_kernel_lowerILb0ELi64ELi4ELi33ELi32ELi16ElPKdPKS1_PdEviT6_lT7_lT5_lS6_lS7_lS5_lT8_i,"axG",@progbits,_ZL26rocblas_hemvn_kernel_lowerILb0ELi64ELi4ELi33ELi32ELi16ElPKdPKS1_PdEviT6_lT7_lT5_lS6_lS7_lS5_lT8_i,comdat
.Lfunc_end172:
	.size	_ZL26rocblas_hemvn_kernel_lowerILb0ELi64ELi4ELi33ELi32ELi16ElPKdPKS1_PdEviT6_lT7_lT5_lS6_lS7_lS5_lT8_i, .Lfunc_end172-_ZL26rocblas_hemvn_kernel_lowerILb0ELi64ELi4ELi33ELi32ELi16ElPKdPKS1_PdEviT6_lT7_lT5_lS6_lS7_lS5_lT8_i
                                        ; -- End function
	.section	.AMDGPU.csdata,"",@progbits
; Kernel info:
; codeLenInByte = 6424
; NumSgprs: 50
; NumVgprs: 124
; NumAgprs: 0
; TotalNumVgprs: 124
; ScratchSize: 0
; MemoryBound: 0
; FloatMode: 240
; IeeeMode: 1
; LDSByteSize: 9600 bytes/workgroup (compile time only)
; SGPRBlocks: 6
; VGPRBlocks: 15
; NumSGPRsForWavesPerEU: 50
; NumVGPRsForWavesPerEU: 124
; AccumOffset: 124
; Occupancy: 4
; WaveLimiterHint : 1
; COMPUTE_PGM_RSRC2:SCRATCH_EN: 0
; COMPUTE_PGM_RSRC2:USER_SGPR: 6
; COMPUTE_PGM_RSRC2:TRAP_HANDLER: 0
; COMPUTE_PGM_RSRC2:TGID_X_EN: 1
; COMPUTE_PGM_RSRC2:TGID_Y_EN: 0
; COMPUTE_PGM_RSRC2:TGID_Z_EN: 1
; COMPUTE_PGM_RSRC2:TIDIG_COMP_CNT: 1
; COMPUTE_PGM_RSRC3_GFX90A:ACCUM_OFFSET: 30
; COMPUTE_PGM_RSRC3_GFX90A:TG_SPLIT: 0
	.section	.text._ZL36rocblas_hemvn_kernel_lower_block_sumILi64ElPKdPKPddEviT1_lS5_lT2_lT0_lPT3_i,"axG",@progbits,_ZL36rocblas_hemvn_kernel_lower_block_sumILi64ElPKdPKPddEviT1_lS5_lT2_lT0_lPT3_i,comdat
	.globl	_ZL36rocblas_hemvn_kernel_lower_block_sumILi64ElPKdPKPddEviT1_lS5_lT2_lT0_lPT3_i ; -- Begin function _ZL36rocblas_hemvn_kernel_lower_block_sumILi64ElPKdPKPddEviT1_lS5_lT2_lT0_lPT3_i
	.p2align	8
	.type	_ZL36rocblas_hemvn_kernel_lower_block_sumILi64ElPKdPKPddEviT1_lS5_lT2_lT0_lPT3_i,@function
_ZL36rocblas_hemvn_kernel_lower_block_sumILi64ElPKdPKPddEviT1_lS5_lT2_lT0_lPT3_i: ; @_ZL36rocblas_hemvn_kernel_lower_block_sumILi64ElPKdPKPddEviT1_lS5_lT2_lT0_lPT3_i
; %bb.0:
	s_load_dwordx8 s[16:23], s[4:5], 0x8
	s_waitcnt lgkmcnt(0)
	s_mul_i32 s0, s7, s19
	s_mul_hi_u32 s1, s7, s18
	s_add_i32 s1, s1, s0
	s_mul_i32 s0, s7, s18
	s_lshl_b64 s[0:1], s[0:1], 3
	s_add_u32 s0, s16, s0
	s_addc_u32 s1, s17, s1
	s_load_dwordx2 s[8:9], s[0:1], 0x0
	s_mul_i32 s0, s7, s23
	s_mul_hi_u32 s1, s7, s22
	s_add_i32 s1, s1, s0
	s_mul_i32 s0, s7, s22
	s_lshl_b64 s[0:1], s[0:1], 3
	s_add_u32 s0, s20, s0
	s_addc_u32 s1, s21, s1
	s_load_dwordx2 s[10:11], s[0:1], 0x0
	s_waitcnt lgkmcnt(0)
	v_cmp_eq_f64_e64 s[0:1], s[8:9], 0
	v_cmp_eq_f64_e64 s[2:3], s[10:11], 1.0
	s_and_b64 s[0:1], s[0:1], s[2:3]
	s_and_b64 vcc, exec, s[0:1]
	s_cbranch_vccnz .LBB173_19
; %bb.1:
	s_load_dwordx2 s[12:13], s[4:5], 0x28
	s_mov_b32 s14, s7
	s_mov_b32 s15, 0
	s_lshl_b64 s[18:19], s[14:15], 3
	s_load_dword s16, s[4:5], 0x0
	s_load_dwordx4 s[0:3], s[4:5], 0x30
	s_waitcnt lgkmcnt(0)
	s_add_u32 s12, s12, s18
	s_addc_u32 s13, s13, s19
	s_load_dwordx2 s[18:19], s[12:13], 0x0
	v_lshl_or_b32 v6, s6, 6, v0
	s_lshl_b64 s[0:1], s[0:1], 3
	v_cmp_neq_f64_e64 s[20:21], s[8:9], 0
	s_mov_b64 s[12:13], 0
	s_waitcnt lgkmcnt(0)
	s_add_u32 s7, s18, s0
	s_addc_u32 s15, s19, s1
	s_and_b64 vcc, exec, s[20:21]
	v_cmp_gt_i32_e64 s[0:1], s16, v6
	s_cbranch_vccnz .LBB173_6
; %bb.2:
	s_mov_b64 s[18:19], 0
                                        ; implicit-def: $vgpr2_vgpr3
                                        ; implicit-def: $vgpr0_vgpr1
	s_and_saveexec_b64 s[20:21], s[0:1]
	s_cbranch_execz .LBB173_7
; %bb.3:
	v_ashrrev_i32_e32 v0, 31, v6
	v_cmp_eq_f64_e64 s[0:1], s[10:11], 0
	v_mul_lo_u32 v4, v6, s3
	v_mul_lo_u32 v5, v0, s2
	v_mad_u64_u32 v[0:1], s[12:13], v6, s2, 0
	v_pk_mov_b32 v[2:3], 0, 0
	v_add3_u32 v1, v1, v4, v5
	s_and_b64 vcc, exec, s[0:1]
	s_cbranch_vccnz .LBB173_5
; %bb.4:
	v_lshlrev_b64 v[2:3], 3, v[0:1]
	v_mov_b32_e32 v4, s15
	v_add_co_u32_e32 v2, vcc, s7, v2
	v_addc_co_u32_e32 v3, vcc, v4, v3, vcc
	global_load_dwordx2 v[2:3], v[2:3], off
	s_waitcnt vmcnt(0)
	v_mul_f64 v[2:3], s[10:11], v[2:3]
.LBB173_5:
	s_mov_b64 s[12:13], exec
	s_or_b64 exec, exec, s[20:21]
	s_and_b64 vcc, exec, s[18:19]
	s_cbranch_vccnz .LBB173_8
	s_branch .LBB173_17
.LBB173_6:
                                        ; implicit-def: $vgpr2_vgpr3
                                        ; implicit-def: $vgpr0_vgpr1
	s_cbranch_execnz .LBB173_8
	s_branch .LBB173_17
.LBB173_7:
	s_or_b64 exec, exec, s[20:21]
	s_and_b64 vcc, exec, s[18:19]
	s_cbranch_vccz .LBB173_17
.LBB173_8:
	v_cmp_gt_i32_e32 vcc, s16, v6
                                        ; implicit-def: $vgpr2_vgpr3
                                        ; implicit-def: $vgpr0_vgpr1
	s_and_saveexec_b64 s[0:1], vcc
	s_cbranch_execz .LBB173_16
; %bb.9:
	s_load_dword s18, s[4:5], 0x58
	v_pk_mov_b32 v[4:5], 0, 0
	s_waitcnt lgkmcnt(0)
	s_cmp_ge_i32 s6, s18
	s_cbranch_scc1 .LBB173_12
; %bb.10:
	s_ashr_i32 s17, s16, 31
	s_mul_i32 s19, s6, s16
	s_load_dwordx2 s[4:5], s[4:5], 0x48
	v_add_u32_e32 v0, s19, v6
	s_mul_hi_u32 s19, s16, s14
	s_mul_i32 s20, s17, s14
	s_add_i32 s19, s19, s20
	s_mul_i32 s14, s16, s14
	s_mul_i32 s19, s19, s18
	s_mul_hi_u32 s20, s14, s18
	s_add_i32 s21, s20, s19
	s_mul_i32 s20, s14, s18
	s_lshl_b64 s[20:21], s[20:21], 3
	v_ashrrev_i32_e32 v1, 31, v0
	s_waitcnt lgkmcnt(0)
	s_add_u32 s4, s4, s20
	v_lshlrev_b64 v[0:1], 3, v[0:1]
	s_addc_u32 s5, s5, s21
	v_mov_b32_e32 v2, s5
	v_add_co_u32_e32 v0, vcc, s4, v0
	s_lshl_b64 s[4:5], s[16:17], 3
	v_addc_co_u32_e32 v1, vcc, v2, v1, vcc
	v_pk_mov_b32 v[4:5], 0, 0
	v_mov_b32_e32 v2, s5
.LBB173_11:                             ; =>This Inner Loop Header: Depth=1
	global_load_dwordx2 v[8:9], v[0:1], off
	s_add_i32 s6, s6, 1
	v_add_co_u32_e32 v0, vcc, s4, v0
	v_addc_co_u32_e32 v1, vcc, v1, v2, vcc
	s_cmp_ge_i32 s6, s18
	s_waitcnt vmcnt(0)
	v_add_f64 v[4:5], v[4:5], v[8:9]
	s_cbranch_scc0 .LBB173_11
.LBB173_12:
	v_cmp_eq_f64_e64 s[16:17], s[10:11], 0
	v_ashrrev_i32_e32 v0, 31, v6
	s_mov_b64 s[4:5], 0
	s_and_b64 vcc, exec, s[16:17]
	v_mul_lo_u32 v7, v6, s3
	v_mul_lo_u32 v8, v0, s2
	s_cbranch_vccz .LBB173_20
; %bb.13:
	v_mad_u64_u32 v[0:1], s[16:17], v6, s2, 0
	v_mul_f64 v[2:3], s[8:9], v[4:5]
	v_add3_u32 v1, v1, v7, v8
	s_andn2_b64 vcc, exec, s[4:5]
	s_cbranch_vccnz .LBB173_15
.LBB173_14:
	v_mad_u64_u32 v[0:1], s[2:3], v6, s2, 0
	v_add3_u32 v1, v1, v7, v8
	v_lshlrev_b64 v[2:3], 3, v[0:1]
	v_mov_b32_e32 v6, s15
	v_add_co_u32_e32 v2, vcc, s7, v2
	v_addc_co_u32_e32 v3, vcc, v6, v3, vcc
	global_load_dwordx2 v[2:3], v[2:3], off
	s_waitcnt vmcnt(0)
	v_mul_f64 v[2:3], s[10:11], v[2:3]
	v_fmac_f64_e32 v[2:3], s[8:9], v[4:5]
.LBB173_15:
	s_or_b64 s[12:13], s[12:13], exec
.LBB173_16:
	s_or_b64 exec, exec, s[0:1]
.LBB173_17:
	s_and_saveexec_b64 s[0:1], s[12:13]
	s_cbranch_execz .LBB173_19
; %bb.18:
	v_lshlrev_b64 v[0:1], 3, v[0:1]
	v_mov_b32_e32 v4, s15
	v_add_co_u32_e32 v0, vcc, s7, v0
	v_addc_co_u32_e32 v1, vcc, v4, v1, vcc
	global_store_dwordx2 v[0:1], v[2:3], off
.LBB173_19:
	s_endpgm
.LBB173_20:
                                        ; implicit-def: $vgpr2_vgpr3
                                        ; implicit-def: $vgpr0_vgpr1
	s_branch .LBB173_14
	.section	.rodata,"a",@progbits
	.p2align	6, 0x0
	.amdhsa_kernel _ZL36rocblas_hemvn_kernel_lower_block_sumILi64ElPKdPKPddEviT1_lS5_lT2_lT0_lPT3_i
		.amdhsa_group_segment_fixed_size 0
		.amdhsa_private_segment_fixed_size 0
		.amdhsa_kernarg_size 344
		.amdhsa_user_sgpr_count 6
		.amdhsa_user_sgpr_private_segment_buffer 1
		.amdhsa_user_sgpr_dispatch_ptr 0
		.amdhsa_user_sgpr_queue_ptr 0
		.amdhsa_user_sgpr_kernarg_segment_ptr 1
		.amdhsa_user_sgpr_dispatch_id 0
		.amdhsa_user_sgpr_flat_scratch_init 0
		.amdhsa_user_sgpr_kernarg_preload_length 0
		.amdhsa_user_sgpr_kernarg_preload_offset 0
		.amdhsa_user_sgpr_private_segment_size 0
		.amdhsa_uses_dynamic_stack 0
		.amdhsa_system_sgpr_private_segment_wavefront_offset 0
		.amdhsa_system_sgpr_workgroup_id_x 1
		.amdhsa_system_sgpr_workgroup_id_y 0
		.amdhsa_system_sgpr_workgroup_id_z 1
		.amdhsa_system_sgpr_workgroup_info 0
		.amdhsa_system_vgpr_workitem_id 0
		.amdhsa_next_free_vgpr 10
		.amdhsa_next_free_sgpr 24
		.amdhsa_accum_offset 12
		.amdhsa_reserve_vcc 1
		.amdhsa_reserve_flat_scratch 0
		.amdhsa_float_round_mode_32 0
		.amdhsa_float_round_mode_16_64 0
		.amdhsa_float_denorm_mode_32 3
		.amdhsa_float_denorm_mode_16_64 3
		.amdhsa_dx10_clamp 1
		.amdhsa_ieee_mode 1
		.amdhsa_fp16_overflow 0
		.amdhsa_tg_split 0
		.amdhsa_exception_fp_ieee_invalid_op 0
		.amdhsa_exception_fp_denorm_src 0
		.amdhsa_exception_fp_ieee_div_zero 0
		.amdhsa_exception_fp_ieee_overflow 0
		.amdhsa_exception_fp_ieee_underflow 0
		.amdhsa_exception_fp_ieee_inexact 0
		.amdhsa_exception_int_div_zero 0
	.end_amdhsa_kernel
	.section	.text._ZL36rocblas_hemvn_kernel_lower_block_sumILi64ElPKdPKPddEviT1_lS5_lT2_lT0_lPT3_i,"axG",@progbits,_ZL36rocblas_hemvn_kernel_lower_block_sumILi64ElPKdPKPddEviT1_lS5_lT2_lT0_lPT3_i,comdat
.Lfunc_end173:
	.size	_ZL36rocblas_hemvn_kernel_lower_block_sumILi64ElPKdPKPddEviT1_lS5_lT2_lT0_lPT3_i, .Lfunc_end173-_ZL36rocblas_hemvn_kernel_lower_block_sumILi64ElPKdPKPddEviT1_lS5_lT2_lT0_lPT3_i
                                        ; -- End function
	.section	.AMDGPU.csdata,"",@progbits
; Kernel info:
; codeLenInByte = 748
; NumSgprs: 28
; NumVgprs: 10
; NumAgprs: 0
; TotalNumVgprs: 10
; ScratchSize: 0
; MemoryBound: 0
; FloatMode: 240
; IeeeMode: 1
; LDSByteSize: 0 bytes/workgroup (compile time only)
; SGPRBlocks: 3
; VGPRBlocks: 1
; NumSGPRsForWavesPerEU: 28
; NumVGPRsForWavesPerEU: 10
; AccumOffset: 12
; Occupancy: 8
; WaveLimiterHint : 1
; COMPUTE_PGM_RSRC2:SCRATCH_EN: 0
; COMPUTE_PGM_RSRC2:USER_SGPR: 6
; COMPUTE_PGM_RSRC2:TRAP_HANDLER: 0
; COMPUTE_PGM_RSRC2:TGID_X_EN: 1
; COMPUTE_PGM_RSRC2:TGID_Y_EN: 0
; COMPUTE_PGM_RSRC2:TGID_Z_EN: 1
; COMPUTE_PGM_RSRC2:TIDIG_COMP_CNT: 0
; COMPUTE_PGM_RSRC3_GFX90A:ACCUM_OFFSET: 2
; COMPUTE_PGM_RSRC3_GFX90A:TG_SPLIT: 0
	.section	.text._ZL26rocblas_hemvn_kernel_lowerILb0ELi64ELi4ELi33ELi32ELi16EiPKdPKS1_PdEviT6_lT7_lT5_lS6_lS7_lS5_lT8_i,"axG",@progbits,_ZL26rocblas_hemvn_kernel_lowerILb0ELi64ELi4ELi33ELi32ELi16EiPKdPKS1_PdEviT6_lT7_lT5_lS6_lS7_lS5_lT8_i,comdat
	.globl	_ZL26rocblas_hemvn_kernel_lowerILb0ELi64ELi4ELi33ELi32ELi16EiPKdPKS1_PdEviT6_lT7_lT5_lS6_lS7_lS5_lT8_i ; -- Begin function _ZL26rocblas_hemvn_kernel_lowerILb0ELi64ELi4ELi33ELi32ELi16EiPKdPKS1_PdEviT6_lT7_lT5_lS6_lS7_lS5_lT8_i
	.p2align	8
	.type	_ZL26rocblas_hemvn_kernel_lowerILb0ELi64ELi4ELi33ELi32ELi16EiPKdPKS1_PdEviT6_lT7_lT5_lS6_lS7_lS5_lT8_i,@function
_ZL26rocblas_hemvn_kernel_lowerILb0ELi64ELi4ELi33ELi32ELi16EiPKdPKS1_PdEviT6_lT7_lT5_lS6_lS7_lS5_lT8_i: ; @_ZL26rocblas_hemvn_kernel_lowerILb0ELi64ELi4ELi33ELi32ELi16EiPKdPKS1_PdEviT6_lT7_lT5_lS6_lS7_lS5_lT8_i
; %bb.0:
	s_load_dwordx2 s[0:1], s[4:5], 0x84
	s_add_u32 s2, s4, 0x78
	s_mov_b32 s20, s7
	s_addc_u32 s3, s5, 0
	s_waitcnt lgkmcnt(0)
	s_lshr_b32 s7, s0, 16
	s_and_b32 s0, s0, 0xffff
	s_and_b32 s1, s1, 0xffff
	s_mul_i32 s0, s7, s0
	s_mul_i32 s0, s0, s1
	s_cmpk_lg_i32 s0, 0x100
	s_cbranch_scc1 .LBB174_80
; %bb.1:
	s_load_dwordx8 s[8:15], s[4:5], 0x8
	s_load_dwordx4 s[16:19], s[4:5], 0x58
	s_waitcnt lgkmcnt(0)
	s_mul_i32 s1, s20, s11
	s_mul_hi_u32 s7, s20, s10
	s_mul_i32 s0, s20, s10
	s_add_i32 s1, s7, s1
	s_lshl_b64 s[0:1], s[0:1], 3
	s_mul_i32 s10, s20, s19
	s_add_u32 s0, s8, s0
	s_mul_hi_u32 s7, s20, s18
	s_addc_u32 s1, s9, s1
	s_add_i32 s9, s7, s10
	s_mul_i32 s8, s20, s18
	s_lshl_b64 s[8:9], s[8:9], 3
	s_add_u32 s8, s16, s8
	s_addc_u32 s9, s17, s9
	s_load_dwordx2 s[0:1], s[0:1], 0x0
	s_nop 0
	s_load_dwordx2 s[10:11], s[8:9], 0x0
	s_waitcnt lgkmcnt(0)
	v_cmp_eq_f64_e64 s[8:9], s[0:1], 0
	v_cmp_eq_f64_e64 s[10:11], s[10:11], 1.0
	s_and_b64 s[10:11], s[8:9], s[10:11]
	s_and_b64 vcc, exec, s[10:11]
	s_cbranch_vccnz .LBB174_80
; %bb.2:
	s_mov_b32 s21, 0
	s_mov_b64 s[10:11], 0
	v_cmp_neq_f64_e64 s[16:17], s[0:1], 0
	s_and_b64 vcc, exec, s[8:9]
	s_mov_b64 s[8:9], 0
	s_cbranch_vccnz .LBB174_4
; %bb.3:
	s_lshl_b64 s[0:1], s[20:21], 3
	s_add_u32 s0, s12, s0
	s_addc_u32 s1, s13, s1
	s_load_dwordx2 s[0:1], s[0:1], 0x0
	s_lshl_b64 s[8:9], s[14:15], 3
	s_waitcnt lgkmcnt(0)
	s_add_u32 s8, s0, s8
	s_addc_u32 s9, s1, s9
.LBB174_4:
	v_cndmask_b32_e64 v1, 0, 1, s[16:17]
	v_cmp_ne_u32_e64 s[0:1], 1, v1
	s_andn2_b64 vcc, exec, s[16:17]
	s_cbranch_vccnz .LBB174_6
; %bb.5:
	s_load_dwordx4 s[12:15], s[4:5], 0x38
	s_lshl_b64 s[10:11], s[20:21], 3
	s_waitcnt lgkmcnt(0)
	s_add_u32 s10, s12, s10
	s_addc_u32 s11, s13, s11
	s_load_dwordx2 s[10:11], s[10:11], 0x0
	s_lshl_b64 s[12:13], s[14:15], 3
	s_waitcnt lgkmcnt(0)
	s_add_u32 s10, s10, s12
	s_addc_u32 s11, s11, s13
.LBB174_6:
	s_and_b64 vcc, exec, s[0:1]
	s_cbranch_vccnz .LBB174_80
; %bb.7:
	s_load_dword s33, s[2:3], 0x0
	s_load_dword s21, s[4:5], 0x0
	s_load_dwordx2 s[28:29], s[4:5], 0x68
	s_load_dword s7, s[4:5], 0x48
	v_and_b32_e32 v26, 0x3ff, v0
	s_lshl_b32 s26, s6, 6
	s_waitcnt lgkmcnt(0)
	s_ashr_i32 s42, s21, 31
	s_lshr_b32 s1, s42, 26
	v_add_u32_e32 v16, s26, v26
	v_bfe_u32 v17, v0, 10, 10
	s_add_i32 s1, s21, s1
	v_mul_lo_u32 v0, v16, s7
	s_andn2_b32 s1, s1, 63
	v_ashrrev_i32_e32 v1, 31, v0
	s_add_i32 s0, s33, -1
	s_sub_i32 s1, s21, s1
	v_lshlrev_b64 v[0:1], 3, v[0:1]
	s_cmp_eq_u32 s6, s0
	v_mov_b32_e32 v2, s11
	v_add_co_u32_e32 v20, vcc, s10, v0
	s_cselect_b32 s24, s1, 0
	v_addc_co_u32_e32 v21, vcc, v2, v1, vcc
	v_cmp_ne_u32_e64 s[0:1], 0, v17
	v_cmp_eq_u32_e64 s[2:3], 0, v17
	s_and_saveexec_b64 s[10:11], s[2:3]
	s_cbranch_execz .LBB174_11
; %bb.8:
	s_cmp_eq_u32 s24, 0
	s_cselect_b64 s[12:13], -1, 0
	v_cmp_gt_i32_e32 vcc, s24, v26
	s_or_b64 s[14:15], s[12:13], vcc
	v_pk_mov_b32 v[0:1], 0, 0
	s_and_saveexec_b64 s[12:13], s[14:15]
	s_cbranch_execz .LBB174_10
; %bb.9:
	flat_load_dwordx2 v[0:1], v[20:21]
.LBB174_10:
	s_or_b64 exec, exec, s[12:13]
	v_lshlrev_b32_e32 v2, 3, v26
	s_waitcnt vmcnt(0) lgkmcnt(0)
	ds_write_b64 v2, v[0:1] offset:9088
.LBB174_11:
	s_or_b64 exec, exec, s[10:11]
	s_load_dword s22, s[4:5], 0x28
	s_ashr_i32 s27, s26, 31
	v_lshl_add_u32 v27, v17, 6, v26
	s_lshl_b64 s[4:5], s[26:27], 3
	v_and_b32_e32 v0, 31, v26
	v_lshrrev_b32_e32 v10, 5, v27
	s_add_u32 s8, s8, s4
	s_addc_u32 s9, s9, s5
	s_waitcnt lgkmcnt(0)
	v_mad_u64_u32 v[2:3], s[4:5], v10, s22, v[0:1]
	s_mul_i32 s4, s26, s22
	s_ashr_i32 s5, s4, 31
	s_lshl_b64 s[30:31], s[4:5], 3
	v_ashrrev_i32_e32 v3, 31, v2
	s_add_u32 s4, s30, s8
	v_lshlrev_b64 v[22:23], 3, v[2:3]
	s_addc_u32 s5, s31, s9
	v_mov_b32_e32 v1, s5
	v_add_co_u32_e32 v2, vcc, s4, v22
	s_cmp_lg_u32 s24, 0
	v_addc_co_u32_e32 v3, vcc, v1, v23, vcc
	s_cselect_b64 s[34:35], -1, 0
	s_cmp_eq_u32 s24, 0
	s_cselect_b64 s[36:37], -1, 0
	s_and_b64 vcc, exec, s[34:35]
	s_cbranch_vccnz .LBB174_13
; %bb.12:
	flat_load_dwordx2 v[4:5], v[2:3]
	s_lshl_b32 s4, s22, 3
	s_ashr_i32 s5, s4, 31
	v_mul_u32_u24_e32 v1, 33, v10
	s_lshl_b64 s[4:5], s[4:5], 3
	v_add_lshl_u32 v1, v1, v0, 3
	v_mov_b32_e32 v7, s5
	v_add_co_u32_e32 v6, vcc, s4, v2
	v_addc_co_u32_e32 v7, vcc, v3, v7, vcc
	s_ashr_i32 s23, s22, 31
	s_lshl_b64 s[4:5], s[22:23], 6
	v_mov_b32_e32 v8, s5
	s_waitcnt vmcnt(0) lgkmcnt(0)
	ds_write_b64 v1, v[4:5]
	flat_load_dwordx2 v[4:5], v[6:7]
	v_add_co_u32_e32 v6, vcc, s4, v6
	v_addc_co_u32_e32 v7, vcc, v7, v8, vcc
	s_waitcnt vmcnt(0) lgkmcnt(0)
	ds_write_b64 v1, v[4:5] offset:2112
	flat_load_dwordx2 v[4:5], v[6:7]
	v_add_co_u32_e32 v6, vcc, s4, v6
	v_addc_co_u32_e32 v7, vcc, v7, v8, vcc
	s_waitcnt vmcnt(0) lgkmcnt(0)
	ds_write_b64 v1, v[4:5] offset:4224
	flat_load_dwordx2 v[4:5], v[6:7]
	s_waitcnt vmcnt(0) lgkmcnt(0)
	ds_write_b64 v1, v[4:5] offset:6336
	s_cbranch_execz .LBB174_14
	s_branch .LBB174_23
.LBB174_13:
.LBB174_14:
	v_lshlrev_b32_e32 v1, 3, v0
	v_sub_co_u32_e32 v4, vcc, v2, v1
	s_ashr_i32 s25, s24, 31
	v_subbrev_co_u32_e32 v5, vcc, 0, v3, vcc
	s_lshl_b64 s[8:9], s[24:25], 3
	v_mov_b32_e32 v6, s9
	v_add_co_u32_e32 v4, vcc, s8, v4
	v_addc_co_u32_e32 v5, vcc, v5, v6, vcc
	v_add_co_u32_e32 v4, vcc, -8, v4
	v_addc_co_u32_e32 v5, vcc, -1, v5, vcc
	v_cmp_gt_i32_e32 vcc, s24, v0
	v_pk_mov_b32 v[6:7], 0, 0
	v_cndmask_b32_e32 v5, v5, v3, vcc
	v_cndmask_b32_e32 v4, v4, v2, vcc
	v_cmp_gt_i32_e64 s[4:5], s24, v10
	v_pk_mov_b32 v[8:9], v[6:7], v[6:7] op_sel:[0,1]
	s_and_saveexec_b64 s[10:11], s[4:5]
	s_cbranch_execz .LBB174_16
; %bb.15:
	flat_load_dwordx2 v[8:9], v[4:5]
.LBB174_16:
	s_or_b64 exec, exec, s[10:11]
	v_mul_u32_u24_e32 v11, 33, v10
	v_add_lshl_u32 v11, v11, v0, 3
	s_waitcnt vmcnt(0) lgkmcnt(0)
	ds_write_b64 v11, v[8:9]
	v_add_u32_e32 v8, 8, v10
	v_cmp_gt_i32_e64 s[4:5], s24, v8
	s_and_saveexec_b64 s[10:11], s[4:5]
	s_cbranch_execz .LBB174_18
; %bb.17:
	s_lshl_b32 s4, s22, 3
	s_ashr_i32 s5, s4, 31
	s_lshl_b64 s[4:5], s[4:5], 3
	v_mov_b32_e32 v7, s5
	v_add_co_u32_e64 v6, s[4:5], s4, v4
	v_addc_co_u32_e64 v7, s[4:5], v5, v7, s[4:5]
	flat_load_dwordx2 v[6:7], v[6:7]
.LBB174_18:
	s_or_b64 exec, exec, s[10:11]
	s_waitcnt vmcnt(0) lgkmcnt(0)
	ds_write_b64 v11, v[6:7] offset:2112
	v_add_u32_e32 v6, 16, v10
	v_cmp_gt_i32_e64 s[4:5], s24, v6
	v_pk_mov_b32 v[6:7], 0, 0
	v_pk_mov_b32 v[8:9], v[6:7], v[6:7] op_sel:[0,1]
	s_and_saveexec_b64 s[10:11], s[4:5]
	s_cbranch_execz .LBB174_20
; %bb.19:
	s_lshl_b32 s4, s22, 4
	s_ashr_i32 s5, s4, 31
	s_lshl_b64 s[4:5], s[4:5], 3
	v_mov_b32_e32 v9, s5
	v_add_co_u32_e64 v8, s[4:5], s4, v4
	v_addc_co_u32_e64 v9, s[4:5], v5, v9, s[4:5]
	flat_load_dwordx2 v[8:9], v[8:9]
.LBB174_20:
	s_or_b64 exec, exec, s[10:11]
	s_waitcnt vmcnt(0) lgkmcnt(0)
	ds_write_b64 v11, v[8:9] offset:4224
	v_add_u32_e32 v8, 24, v10
	v_cmp_gt_i32_e64 s[4:5], s24, v8
	s_and_saveexec_b64 s[10:11], s[4:5]
	s_cbranch_execz .LBB174_22
; %bb.21:
	s_mul_i32 s4, s22, 24
	s_ashr_i32 s5, s4, 31
	s_lshl_b64 s[4:5], s[4:5], 3
	v_mov_b32_e32 v7, s5
	v_add_co_u32_e64 v6, s[4:5], s4, v4
	v_addc_co_u32_e64 v7, s[4:5], v5, v7, s[4:5]
	flat_load_dwordx2 v[6:7], v[6:7]
.LBB174_22:
	s_or_b64 exec, exec, s[10:11]
	v_add_co_u32_e64 v1, s[4:5], v4, v1
	v_addc_co_u32_e64 v4, s[4:5], 0, v5, s[4:5]
	v_mov_b32_e32 v5, s9
	v_subrev_co_u32_e64 v1, s[4:5], s8, v1
	v_subb_co_u32_e64 v4, s[4:5], v4, v5, s[4:5]
	v_add_co_u32_e64 v1, s[4:5], 8, v1
	v_addc_co_u32_e64 v4, s[4:5], 0, v4, s[4:5]
	v_cndmask_b32_e32 v3, v4, v3, vcc
	v_cndmask_b32_e32 v2, v1, v2, vcc
	s_waitcnt vmcnt(0) lgkmcnt(0)
	ds_write_b64 v11, v[6:7] offset:6336
.LBB174_23:
	v_lshlrev_b32_e32 v1, 2, v10
	v_mul_u32_u24_e32 v28, 33, v0
	v_cmp_lt_u32_e64 s[18:19], v1, v0
	v_add_lshl_u32 v30, v1, v28, 3
	s_waitcnt lgkmcnt(0)
	s_barrier
	s_and_saveexec_b64 s[4:5], s[18:19]
	s_cbranch_execz .LBB174_25
; %bb.24:
	v_mul_u32_u24_e32 v4, 0x84, v10
	v_add_lshl_u32 v4, v4, v0, 3
	ds_read_b64 v[4:5], v4
	s_waitcnt lgkmcnt(0)
	ds_write_b64 v30, v[4:5]
.LBB174_25:
	s_or_b64 exec, exec, s[4:5]
	v_or_b32_e32 v4, 1, v1
	v_cmp_lt_u32_e64 s[8:9], v4, v0
	s_and_saveexec_b64 s[4:5], s[8:9]
	s_cbranch_execz .LBB174_27
; %bb.26:
	v_mul_u32_u24_e32 v4, 33, v4
	v_add_lshl_u32 v4, v4, v0, 3
	ds_read_b64 v[4:5], v4
	s_waitcnt lgkmcnt(0)
	ds_write_b64 v30, v[4:5] offset:8
.LBB174_27:
	s_or_b64 exec, exec, s[4:5]
	v_or_b32_e32 v4, 2, v1
	v_cmp_lt_u32_e64 s[10:11], v4, v0
	s_and_saveexec_b64 s[4:5], s[10:11]
	s_cbranch_execz .LBB174_29
; %bb.28:
	v_mul_u32_u24_e32 v4, 33, v4
	v_add_lshl_u32 v4, v4, v0, 3
	ds_read_b64 v[4:5], v4
	s_waitcnt lgkmcnt(0)
	ds_write_b64 v30, v[4:5] offset:16
.LBB174_29:
	s_or_b64 exec, exec, s[4:5]
	v_or_b32_e32 v4, 3, v1
	v_cmp_lt_u32_e64 s[12:13], v4, v0
	v_mad_u32_u24 v4, v4, 33, v0
	v_lshlrev_b32_e32 v11, 3, v4
	s_and_saveexec_b64 s[4:5], s[12:13]
	s_cbranch_execz .LBB174_31
; %bb.30:
	ds_read_b64 v[4:5], v11
	s_waitcnt lgkmcnt(0)
	ds_write_b64 v30, v[4:5] offset:24
.LBB174_31:
	s_or_b64 exec, exec, s[4:5]
	v_mul_u32_u24_e32 v4, 0x84, v10
	v_add_lshl_u32 v13, v4, v0, 3
	s_waitcnt lgkmcnt(0)
	s_barrier
	v_lshlrev_b32_e32 v12, 3, v1
	ds_read_b64 v[8:9], v13
	ds_read_b128 v[4:7], v12 offset:9088
	v_add_u32_e32 v14, 0xfffffdf0, v11
	ds_read2_b64 v[32:35], v14 offset1:33
	ds_read_b128 v[36:39], v12 offset:9104
	ds_read_b64 v[24:25], v11
	v_pk_mov_b32 v[18:19], 0, 0
	v_add_lshl_u32 v29, v10, v28, 3
	s_waitcnt lgkmcnt(3)
	v_fma_f64 v[4:5], v[8:9], v[4:5], 0
	s_waitcnt lgkmcnt(2)
	v_fmac_f64_e32 v[4:5], v[32:33], v[6:7]
	s_waitcnt lgkmcnt(1)
	v_fmac_f64_e32 v[4:5], v[34:35], v[36:37]
	;; [unrolled: 2-line block ×3, first 2 shown]
	v_cmp_gt_u32_e64 s[4:5], 32, v27
	s_barrier
	ds_write_b64 v29, v[4:5]
	s_waitcnt lgkmcnt(0)
	s_barrier
	s_and_saveexec_b64 s[14:15], s[4:5]
	s_cbranch_execz .LBB174_33
; %bb.32:
	v_lshlrev_b32_e32 v1, 3, v28
	ds_read2_b64 v[4:7], v1 offset1:1
	ds_read2_b64 v[32:35], v1 offset0:2 offset1:3
	ds_read2_b64 v[36:39], v1 offset0:4 offset1:5
	s_waitcnt lgkmcnt(2)
	v_add_f64 v[8:9], v[4:5], v[6:7]
	ds_read2_b64 v[4:7], v1 offset0:6 offset1:7
	s_waitcnt lgkmcnt(2)
	v_add_f64 v[8:9], v[8:9], v[32:33]
	v_add_f64 v[8:9], v[8:9], v[34:35]
	s_waitcnt lgkmcnt(1)
	v_add_f64 v[8:9], v[8:9], v[36:37]
	v_add_f64 v[8:9], v[8:9], v[38:39]
	;; [unrolled: 3-line block ×3, first 2 shown]
.LBB174_33:
	s_or_b64 exec, exec, s[14:15]
	s_lshl_b32 s14, s22, 5
	s_ashr_i32 s15, s14, 31
	s_lshl_b64 s[38:39], s[14:15], 3
	v_mov_b32_e32 v1, s39
	v_add_co_u32_e32 v4, vcc, s38, v2
	v_addc_co_u32_e32 v5, vcc, v3, v1, vcc
	v_add_co_u32_e32 v2, vcc, 0x100, v4
	v_cndmask_b32_e64 v1, 0, 1, s[36:37]
	s_mov_b64 s[16:17], vcc
	v_cmp_ne_u32_e64 s[14:15], 1, v1
	s_andn2_b64 vcc, exec, s[36:37]
	v_addc_co_u32_e64 v1, s[16:17], 0, v5, s[16:17]
	s_barrier
	s_cbranch_vccnz .LBB174_35
; %bb.34:
	flat_load_dwordx2 v[6:7], v[4:5] offset:256
	s_lshl_b32 s16, s22, 3
	s_ashr_i32 s17, s16, 31
	v_mul_u32_u24_e32 v3, 33, v10
	s_lshl_b64 s[16:17], s[16:17], 3
	v_add_lshl_u32 v3, v3, v0, 3
	v_mov_b32_e32 v8, s17
	v_add_co_u32_e32 v4, vcc, s16, v4
	v_addc_co_u32_e32 v5, vcc, v5, v8, vcc
	s_ashr_i32 s23, s22, 31
	s_lshl_b64 s[16:17], s[22:23], 6
	v_mov_b32_e32 v8, s17
	s_waitcnt vmcnt(0) lgkmcnt(0)
	ds_write_b64 v3, v[6:7]
	flat_load_dwordx2 v[6:7], v[4:5] offset:256
	v_add_co_u32_e32 v4, vcc, s16, v4
	v_addc_co_u32_e32 v5, vcc, v5, v8, vcc
	s_waitcnt vmcnt(0) lgkmcnt(0)
	ds_write_b64 v3, v[6:7] offset:2112
	flat_load_dwordx2 v[6:7], v[4:5] offset:256
	v_add_co_u32_e32 v4, vcc, s16, v4
	v_addc_co_u32_e32 v5, vcc, v5, v8, vcc
	s_waitcnt vmcnt(0) lgkmcnt(0)
	ds_write_b64 v3, v[6:7] offset:4224
	flat_load_dwordx2 v[4:5], v[4:5] offset:256
	s_waitcnt vmcnt(0) lgkmcnt(0)
	ds_write_b64 v3, v[4:5] offset:6336
	s_cbranch_execz .LBB174_36
	s_branch .LBB174_45
.LBB174_35:
.LBB174_36:
	v_or_b32_e32 v3, 32, v0
	v_lshlrev_b32_e32 v4, 3, v3
	v_sub_co_u32_e32 v4, vcc, v2, v4
	s_ashr_i32 s25, s24, 31
	v_subbrev_co_u32_e32 v5, vcc, 0, v1, vcc
	s_lshl_b64 s[36:37], s[24:25], 3
	v_mov_b32_e32 v6, s37
	v_add_co_u32_e32 v4, vcc, s36, v4
	v_addc_co_u32_e32 v5, vcc, v5, v6, vcc
	v_add_co_u32_e32 v4, vcc, -8, v4
	v_addc_co_u32_e32 v5, vcc, -1, v5, vcc
	v_cmp_gt_i32_e64 s[16:17], s24, v3
	s_sub_i32 s23, s24, 32
	v_pk_mov_b32 v[6:7], 0, 0
	v_cndmask_b32_e64 v5, v5, v1, s[16:17]
	v_cndmask_b32_e64 v4, v4, v2, s[16:17]
	v_cmp_gt_i32_e32 vcc, s23, v10
	v_pk_mov_b32 v[8:9], v[6:7], v[6:7] op_sel:[0,1]
	s_and_saveexec_b64 s[40:41], vcc
	s_cbranch_execz .LBB174_38
; %bb.37:
	flat_load_dwordx2 v[8:9], v[4:5]
.LBB174_38:
	s_or_b64 exec, exec, s[40:41]
	v_mul_u32_u24_e32 v3, 33, v10
	v_add_lshl_u32 v3, v3, v0, 3
	s_waitcnt vmcnt(0) lgkmcnt(0)
	ds_write_b64 v3, v[8:9]
	v_add_u32_e32 v8, 8, v10
	v_cmp_gt_i32_e32 vcc, s23, v8
	s_and_saveexec_b64 s[40:41], vcc
	s_cbranch_execz .LBB174_40
; %bb.39:
	s_lshl_b32 s44, s22, 3
	s_ashr_i32 s45, s44, 31
	s_lshl_b64 s[44:45], s[44:45], 3
	v_mov_b32_e32 v7, s45
	v_add_co_u32_e32 v6, vcc, s44, v4
	v_addc_co_u32_e32 v7, vcc, v5, v7, vcc
	flat_load_dwordx2 v[6:7], v[6:7]
.LBB174_40:
	s_or_b64 exec, exec, s[40:41]
	s_waitcnt vmcnt(0) lgkmcnt(0)
	ds_write_b64 v3, v[6:7] offset:2112
	v_add_u32_e32 v6, 16, v10
	v_cmp_gt_i32_e32 vcc, s23, v6
	v_pk_mov_b32 v[6:7], 0, 0
	v_pk_mov_b32 v[8:9], v[6:7], v[6:7] op_sel:[0,1]
	s_and_saveexec_b64 s[40:41], vcc
	s_cbranch_execz .LBB174_42
; %bb.41:
	s_lshl_b32 s44, s22, 4
	s_ashr_i32 s45, s44, 31
	s_lshl_b64 s[44:45], s[44:45], 3
	v_mov_b32_e32 v9, s45
	v_add_co_u32_e32 v8, vcc, s44, v4
	v_addc_co_u32_e32 v9, vcc, v5, v9, vcc
	flat_load_dwordx2 v[8:9], v[8:9]
.LBB174_42:
	s_or_b64 exec, exec, s[40:41]
	s_waitcnt vmcnt(0) lgkmcnt(0)
	ds_write_b64 v3, v[8:9] offset:4224
	v_add_u32_e32 v8, 24, v10
	v_cmp_gt_i32_e32 vcc, s23, v8
	s_and_saveexec_b64 s[40:41], vcc
	s_cbranch_execz .LBB174_44
; %bb.43:
	s_mul_i32 s44, s22, 24
	s_ashr_i32 s45, s44, 31
	s_lshl_b64 s[44:45], s[44:45], 3
	v_mov_b32_e32 v7, s45
	v_add_co_u32_e32 v6, vcc, s44, v4
	v_addc_co_u32_e32 v7, vcc, v5, v7, vcc
	flat_load_dwordx2 v[6:7], v[6:7]
.LBB174_44:
	s_or_b64 exec, exec, s[40:41]
	s_waitcnt vmcnt(0) lgkmcnt(0)
	ds_write_b64 v3, v[6:7] offset:6336
	v_lshlrev_b32_e32 v3, 3, v0
	v_add_co_u32_e32 v3, vcc, v4, v3
	v_addc_co_u32_e32 v4, vcc, 0, v5, vcc
	v_mov_b32_e32 v5, s37
	v_subrev_co_u32_e32 v3, vcc, s36, v3
	v_subb_co_u32_e32 v4, vcc, v4, v5, vcc
	v_add_co_u32_e32 v3, vcc, 0x108, v3
	v_addc_co_u32_e32 v4, vcc, 0, v4, vcc
	v_cndmask_b32_e64 v1, v4, v1, s[16:17]
	v_cndmask_b32_e64 v2, v3, v2, s[16:17]
.LBB174_45:
	v_add_u32_e32 v12, 0x2380, v12
	s_waitcnt lgkmcnt(0)
	s_barrier
	s_and_saveexec_b64 s[16:17], s[18:19]
	s_cbranch_execnz .LBB174_54
; %bb.46:
	s_or_b64 exec, exec, s[16:17]
	s_and_saveexec_b64 s[16:17], s[8:9]
	s_cbranch_execnz .LBB174_55
.LBB174_47:
	s_or_b64 exec, exec, s[16:17]
	s_and_saveexec_b64 s[8:9], s[10:11]
	s_cbranch_execnz .LBB174_56
.LBB174_48:
	s_or_b64 exec, exec, s[8:9]
	s_and_saveexec_b64 s[8:9], s[12:13]
	s_cbranch_execz .LBB174_50
.LBB174_49:
	ds_read_b64 v[4:5], v11
	s_waitcnt lgkmcnt(0)
	ds_write_b64 v30, v[4:5] offset:24
.LBB174_50:
	s_or_b64 exec, exec, s[8:9]
	s_waitcnt lgkmcnt(0)
	s_barrier
	ds_read_b64 v[8:9], v13
	ds_read_b128 v[4:7], v12 offset:256
	ds_read2_b64 v[32:35], v14 offset1:33
	ds_read_b128 v[36:39], v12 offset:272
	ds_read_b64 v[14:15], v11
	v_cmp_eq_u32_e64 s[10:11], 1, v10
	s_waitcnt lgkmcnt(3)
	v_fma_f64 v[4:5], v[8:9], v[4:5], 0
	s_waitcnt lgkmcnt(2)
	v_fmac_f64_e32 v[4:5], v[32:33], v[6:7]
	s_waitcnt lgkmcnt(1)
	v_fmac_f64_e32 v[4:5], v[34:35], v[36:37]
	s_waitcnt lgkmcnt(0)
	v_fmac_f64_e32 v[4:5], v[14:15], v[38:39]
	s_barrier
	ds_write_b64 v29, v[4:5]
	s_waitcnt lgkmcnt(0)
	s_barrier
	s_and_saveexec_b64 s[8:9], s[10:11]
	s_cbranch_execz .LBB174_52
; %bb.51:
	v_lshlrev_b32_e32 v3, 3, v28
	ds_read2_b64 v[4:7], v3 offset1:1
	ds_read2_b64 v[32:35], v3 offset0:2 offset1:3
	ds_read2_b64 v[36:39], v3 offset0:4 offset1:5
	s_waitcnt lgkmcnt(2)
	v_add_f64 v[8:9], v[4:5], v[6:7]
	ds_read2_b64 v[4:7], v3 offset0:6 offset1:7
	s_waitcnt lgkmcnt(2)
	v_add_f64 v[8:9], v[8:9], v[32:33]
	v_add_f64 v[8:9], v[8:9], v[34:35]
	s_waitcnt lgkmcnt(1)
	v_add_f64 v[8:9], v[8:9], v[36:37]
	v_add_f64 v[8:9], v[8:9], v[38:39]
	;; [unrolled: 3-line block ×3, first 2 shown]
.LBB174_52:
	s_or_b64 exec, exec, s[8:9]
	v_mov_b32_e32 v3, s39
	v_subrev_co_u32_e64 v24, s[8:9], s38, v2
	s_and_b64 vcc, exec, s[14:15]
	v_subb_co_u32_e64 v25, s[8:9], v1, v3, s[8:9]
	s_barrier
	s_cbranch_vccnz .LBB174_57
; %bb.53:
	flat_load_dwordx2 v[2:3], v[24:25]
	s_lshl_b32 s8, s22, 3
	s_ashr_i32 s9, s8, 31
	v_mad_u32_u24 v1, v10, 33, v0
	s_lshl_b64 s[8:9], s[8:9], 3
	v_lshlrev_b32_e32 v14, 3, v1
	v_mov_b32_e32 v5, s9
	v_add_co_u32_e32 v4, vcc, s8, v24
	v_addc_co_u32_e32 v5, vcc, v25, v5, vcc
	s_ashr_i32 s23, s22, 31
	s_lshl_b64 s[8:9], s[22:23], 6
	v_mov_b32_e32 v6, s9
	v_add_u32_e32 v8, 8, v10
	v_add_u32_e32 v9, 16, v10
	;; [unrolled: 1-line block ×5, first 2 shown]
	s_waitcnt vmcnt(0) lgkmcnt(0)
	ds_write_b64 v14, v[2:3]
	flat_load_dwordx2 v[2:3], v[4:5]
	v_add_co_u32_e32 v4, vcc, s8, v4
	v_addc_co_u32_e32 v5, vcc, v5, v6, vcc
	s_waitcnt vmcnt(0) lgkmcnt(0)
	ds_write_b64 v14, v[2:3] offset:2112
	flat_load_dwordx2 v[2:3], v[4:5]
	v_add_co_u32_e32 v4, vcc, s8, v4
	v_addc_co_u32_e32 v5, vcc, v5, v6, vcc
	v_add_u32_e32 v6, 24, v10
	s_waitcnt vmcnt(0) lgkmcnt(0)
	ds_write_b64 v14, v[2:3] offset:4224
	flat_load_dwordx2 v[2:3], v[4:5]
	s_waitcnt vmcnt(0) lgkmcnt(0)
	ds_write_b64 v14, v[2:3] offset:6336
	s_cbranch_execz .LBB174_58
	s_branch .LBB174_67
.LBB174_54:
	ds_read_b64 v[4:5], v13
	s_waitcnt lgkmcnt(0)
	ds_write_b64 v30, v[4:5]
	s_or_b64 exec, exec, s[16:17]
	s_and_saveexec_b64 s[16:17], s[8:9]
	s_cbranch_execz .LBB174_47
.LBB174_55:
	ds_read_b64 v[4:5], v14
	s_waitcnt lgkmcnt(0)
	ds_write_b64 v30, v[4:5] offset:8
	s_or_b64 exec, exec, s[16:17]
	s_and_saveexec_b64 s[8:9], s[10:11]
	s_cbranch_execz .LBB174_48
.LBB174_56:
	ds_read_b64 v[4:5], v14 offset:264
	s_waitcnt lgkmcnt(0)
	ds_write_b64 v30, v[4:5] offset:16
	s_or_b64 exec, exec, s[8:9]
	s_and_saveexec_b64 s[8:9], s[12:13]
	s_cbranch_execnz .LBB174_49
	s_branch .LBB174_50
.LBB174_57:
                                        ; implicit-def: $vgpr1
                                        ; implicit-def: $vgpr8
                                        ; implicit-def: $vgpr13
                                        ; implicit-def: $vgpr9
                                        ; implicit-def: $vgpr7
                                        ; implicit-def: $vgpr6
                                        ; implicit-def: $vgpr11
.LBB174_58:
	v_or_b32_e32 v1, 32, v0
	v_lshlrev_b32_e32 v2, 3, v1
	v_sub_co_u32_e32 v2, vcc, v24, v2
	s_ashr_i32 s25, s24, 31
	v_subbrev_co_u32_e32 v3, vcc, 0, v25, vcc
	s_lshl_b64 s[12:13], s[24:25], 3
	v_mov_b32_e32 v4, s13
	v_add_co_u32_e32 v2, vcc, s12, v2
	v_addc_co_u32_e32 v3, vcc, v3, v4, vcc
	v_add_co_u32_e32 v2, vcc, -8, v2
	v_addc_co_u32_e32 v3, vcc, -1, v3, vcc
	v_cmp_gt_i32_e64 s[8:9], s24, v1
	v_pk_mov_b32 v[4:5], 0, 0
	v_cndmask_b32_e64 v3, v3, v25, s[8:9]
	v_cndmask_b32_e64 v2, v2, v24, s[8:9]
	v_cmp_gt_i32_e32 vcc, s24, v10
	v_pk_mov_b32 v[6:7], v[4:5], v[4:5] op_sel:[0,1]
	s_and_saveexec_b64 s[14:15], vcc
	s_cbranch_execz .LBB174_60
; %bb.59:
	flat_load_dwordx2 v[6:7], v[2:3]
.LBB174_60:
	s_or_b64 exec, exec, s[14:15]
	v_mad_u32_u24 v1, v10, 33, v0
	v_add_u32_e32 v8, 8, v10
	v_lshlrev_b32_e32 v14, 3, v1
	v_cmp_gt_i32_e32 vcc, s24, v8
	s_waitcnt vmcnt(0) lgkmcnt(0)
	ds_write_b64 v14, v[6:7]
	s_and_saveexec_b64 s[14:15], vcc
	s_cbranch_execz .LBB174_62
; %bb.61:
	s_lshl_b32 s16, s22, 3
	s_ashr_i32 s17, s16, 31
	s_lshl_b64 s[16:17], s[16:17], 3
	v_mov_b32_e32 v5, s17
	v_add_co_u32_e32 v4, vcc, s16, v2
	v_addc_co_u32_e32 v5, vcc, v3, v5, vcc
	flat_load_dwordx2 v[4:5], v[4:5]
.LBB174_62:
	s_or_b64 exec, exec, s[14:15]
	s_waitcnt vmcnt(0) lgkmcnt(0)
	ds_write_b64 v14, v[4:5] offset:2112
	v_add_u32_e32 v9, 16, v10
	v_pk_mov_b32 v[4:5], 0, 0
	v_cmp_gt_i32_e32 vcc, s24, v9
	v_pk_mov_b32 v[6:7], v[4:5], v[4:5] op_sel:[0,1]
	s_and_saveexec_b64 s[14:15], vcc
	s_cbranch_execz .LBB174_64
; %bb.63:
	s_lshl_b32 s16, s22, 4
	s_ashr_i32 s17, s16, 31
	s_lshl_b64 s[16:17], s[16:17], 3
	v_mov_b32_e32 v7, s17
	v_add_co_u32_e32 v6, vcc, s16, v2
	v_addc_co_u32_e32 v7, vcc, v3, v7, vcc
	flat_load_dwordx2 v[6:7], v[6:7]
.LBB174_64:
	s_or_b64 exec, exec, s[14:15]
	s_waitcnt vmcnt(0) lgkmcnt(0)
	ds_write_b64 v14, v[6:7] offset:4224
	v_add_u32_e32 v6, 24, v10
	v_cmp_gt_i32_e32 vcc, s24, v6
	s_and_saveexec_b64 s[14:15], vcc
	s_cbranch_execz .LBB174_66
; %bb.65:
	s_mul_i32 s16, s22, 24
	s_ashr_i32 s17, s16, 31
	s_lshl_b64 s[16:17], s[16:17], 3
	v_mov_b32_e32 v5, s17
	v_add_co_u32_e32 v4, vcc, s16, v2
	v_addc_co_u32_e32 v5, vcc, v3, v5, vcc
	flat_load_dwordx2 v[4:5], v[4:5]
.LBB174_66:
	s_or_b64 exec, exec, s[14:15]
	v_lshlrev_b32_e32 v0, 3, v0
	v_add_co_u32_e32 v0, vcc, v2, v0
	v_addc_co_u32_e32 v2, vcc, 0, v3, vcc
	v_mov_b32_e32 v3, s13
	v_subrev_co_u32_e32 v0, vcc, s12, v0
	v_subb_co_u32_e32 v2, vcc, v2, v3, vcc
	v_add_co_u32_e32 v0, vcc, 0x108, v0
	v_addc_co_u32_e32 v2, vcc, 0, v2, vcc
	v_add_u32_e32 v13, 0x108, v1
	v_add_u32_e32 v7, 0x210, v1
	;; [unrolled: 1-line block ×3, first 2 shown]
	v_cndmask_b32_e64 v25, v2, v25, s[8:9]
	v_cndmask_b32_e64 v24, v0, v24, s[8:9]
	s_waitcnt vmcnt(0) lgkmcnt(0)
	ds_write_b64 v14, v[4:5] offset:6336
.LBB174_67:
	v_lshlrev_b32_e32 v0, 3, v1
	s_waitcnt lgkmcnt(0)
	s_barrier
	v_lshlrev_b32_e32 v1, 3, v10
	v_lshlrev_b32_e32 v2, 3, v13
	;; [unrolled: 1-line block ×3, first 2 shown]
	ds_read_b64 v[32:33], v0
	ds_read_b64 v[34:35], v1 offset:9088
	ds_read_b64 v[36:37], v2
	ds_read_b64 v[38:39], v3 offset:9088
	v_lshlrev_b32_e32 v0, 3, v7
	v_lshlrev_b32_e32 v1, 3, v9
	;; [unrolled: 1-line block ×4, first 2 shown]
	ds_read_b64 v[40:41], v0
	ds_read_b64 v[42:43], v1 offset:9088
	ds_read_b64 v[44:45], v2
	ds_read_b64 v[46:47], v3 offset:9088
	ds_read_b128 v[8:11], v12 offset:256
	ds_read_b128 v[0:3], v12 offset:272
	ds_read2_b64 v[12:15], v30 offset1:1
	ds_read2_b64 v[4:7], v30 offset0:2 offset1:3
	s_waitcnt lgkmcnt(10)
	v_fma_f64 v[30:31], v[32:33], v[34:35], 0
	s_waitcnt lgkmcnt(8)
	v_fmac_f64_e32 v[30:31], v[36:37], v[38:39]
	s_waitcnt lgkmcnt(6)
	v_fmac_f64_e32 v[30:31], v[40:41], v[42:43]
	;; [unrolled: 2-line block ×3, first 2 shown]
	s_waitcnt lgkmcnt(0)
	s_barrier
	ds_write_b64 v29, v[30:31]
	s_waitcnt lgkmcnt(0)
	s_barrier
	s_and_saveexec_b64 s[8:9], s[10:11]
	s_cbranch_execz .LBB174_69
; %bb.68:
	v_lshlrev_b32_e32 v42, 3, v28
	ds_read2_b64 v[30:33], v42 offset1:1
	ds_read2_b64 v[34:37], v42 offset0:2 offset1:3
	ds_read2_b64 v[38:41], v42 offset0:4 offset1:5
	s_waitcnt lgkmcnt(2)
	v_add_f64 v[18:19], v[18:19], v[30:31]
	v_add_f64 v[18:19], v[18:19], v[32:33]
	ds_read2_b64 v[30:33], v42 offset0:6 offset1:7
	s_waitcnt lgkmcnt(2)
	v_add_f64 v[18:19], v[18:19], v[34:35]
	v_add_f64 v[18:19], v[18:19], v[36:37]
	s_waitcnt lgkmcnt(1)
	v_add_f64 v[18:19], v[18:19], v[38:39]
	v_add_f64 v[18:19], v[18:19], v[40:41]
	;; [unrolled: 3-line block ×3, first 2 shown]
.LBB174_69:
	s_or_b64 exec, exec, s[8:9]
	v_fma_f64 v[8:9], v[12:13], v[8:9], 0
	v_fmac_f64_e32 v[8:9], v[14:15], v[10:11]
	v_fmac_f64_e32 v[8:9], v[4:5], v[0:1]
	;; [unrolled: 1-line block ×3, first 2 shown]
	s_barrier
	ds_write_b64 v29, v[8:9]
	s_waitcnt lgkmcnt(0)
	s_barrier
	s_and_saveexec_b64 s[8:9], s[4:5]
	s_cbranch_execz .LBB174_71
; %bb.70:
	v_lshlrev_b32_e32 v14, 3, v28
	ds_read2_b64 v[0:3], v14 offset1:1
	ds_read2_b64 v[4:7], v14 offset0:2 offset1:3
	ds_read2_b64 v[8:11], v14 offset0:4 offset1:5
	s_waitcnt lgkmcnt(2)
	v_add_f64 v[0:1], v[18:19], v[0:1]
	v_add_f64 v[12:13], v[0:1], v[2:3]
	ds_read2_b64 v[0:3], v14 offset0:6 offset1:7
	s_waitcnt lgkmcnt(2)
	v_add_f64 v[4:5], v[12:13], v[4:5]
	v_add_f64 v[4:5], v[4:5], v[6:7]
	s_waitcnt lgkmcnt(1)
	v_add_f64 v[4:5], v[4:5], v[8:9]
	v_add_f64 v[4:5], v[4:5], v[10:11]
	;; [unrolled: 3-line block ×3, first 2 shown]
.LBB174_71:
	s_or_b64 exec, exec, s[8:9]
	s_mul_hi_u32 s4, s21, s20
	s_mul_i32 s42, s42, s20
	s_add_i32 s4, s4, s42
	s_mul_i32 s8, s21, s20
	s_mul_i32 s4, s4, s33
	s_mul_hi_u32 s5, s8, s33
	s_add_i32 s5, s5, s4
	s_mul_i32 s4, s8, s33
	s_lshl_b64 s[4:5], s[4:5], 3
	s_add_u32 s8, s28, s4
	s_mul_i32 s4, s6, s21
	s_addc_u32 s9, s29, s5
	s_ashr_i32 s5, s4, 31
	s_lshl_b64 s[4:5], s[4:5], 3
	s_add_u32 s27, s8, s4
	v_cmp_le_i32_e32 vcc, s24, v26
	s_addc_u32 s28, s9, s5
	s_and_b64 vcc, s[34:35], vcc
	s_cmp_lt_i32 s6, 1
	v_lshlrev_b32_e32 v72, 3, v26
	s_barrier
	s_cbranch_scc1 .LBB174_78
; %bb.72:
	s_mul_i32 s4, s26, s7
	s_ashr_i32 s5, s4, 31
	s_lshl_b64 s[4:5], s[4:5], 3
	v_mov_b32_e32 v0, s5
	v_subrev_co_u32_e64 v73, s[4:5], s4, v20
	v_subb_co_u32_e64 v74, s[4:5], v21, v0, s[4:5]
	v_mov_b32_e32 v0, s31
	v_subrev_co_u32_e64 v1, s[4:5], s30, v24
	v_subb_co_u32_e64 v0, s[4:5], v25, v0, s[4:5]
	v_sub_co_u32_e64 v2, s[4:5], v1, v22
	v_subb_co_u32_e64 v3, s[4:5], v0, v23, s[4:5]
	v_mul_lo_u32 v0, v17, s22
	v_lshl_add_u32 v0, v0, 2, v26
	v_ashrrev_i32_e32 v1, 31, v0
	v_lshlrev_b64 v[0:1], 3, v[0:1]
	v_add_co_u32_e64 v0, s[4:5], v2, v0
	v_addc_co_u32_e64 v1, s[4:5], v3, v1, s[4:5]
	s_movk_i32 s4, 0xff00
	v_add_co_u32_e64 v0, s[4:5], s4, v0
	v_addc_co_u32_e64 v2, s[4:5], -1, v1, s[4:5]
	v_sub_co_u32_e64 v3, s[4:5], v0, v72
	v_subbrev_co_u32_e64 v6, s[4:5], 0, v2, s[4:5]
	s_ashr_i32 s25, s24, 31
	s_lshl_b64 s[4:5], s[24:25], 3
	v_mov_b32_e32 v7, s5
	v_add_co_u32_e64 v3, s[4:5], s4, v3
	v_addc_co_u32_e64 v6, s[4:5], v6, v7, s[4:5]
	v_add_co_u32_e64 v7, s[4:5], -8, v3
	v_addc_co_u32_e64 v3, s[4:5], -1, v6, s[4:5]
	v_cndmask_b32_e32 v3, v2, v3, vcc
	v_cndmask_b32_e32 v2, v0, v7, vcc
	v_and_b32_e32 v0, 48, v26
	v_and_b32_e32 v4, 15, v26
	v_lshlrev_b32_e32 v6, 3, v0
	s_movk_i32 s8, 0x218
	v_lshrrev_b32_e32 v5, 4, v27
	v_mad_u32_u24 v77, v4, s8, v6
	v_or_b32_e32 v6, 0x78, v72
	v_mad_u32_u24 v78, v4, s8, v6
	v_lshlrev_b32_e32 v6, 5, v5
	s_ashr_i32 s23, s22, 31
	s_movk_i32 s9, 0x860
	v_lshlrev_b32_e32 v5, 3, v5
	v_mad_u32_u24 v79, v4, s8, v6
	v_mov_b32_e32 v6, 0x2180
	v_mad_u32_u24 v81, v17, s9, v72
	v_mad_u32_u24 v82, v4, s8, v5
	s_lshl_b64 s[10:11], s[22:23], 3
	s_lshl_b64 s[12:13], s[22:23], 4
	;; [unrolled: 1-line block ×3, first 2 shown]
	s_mul_hi_i32 s8, s22, 24
	s_lshl_b64 s[16:17], s[22:23], 7
	s_mul_hi_i32 s9, s22, 0x90
	s_mul_hi_i32 s21, s22, 0x98
	s_lshl_b64 s[18:19], s[22:23], 8
	s_mul_hi_i32 s23, s22, 0x110
	s_mul_hi_i32 s38, s22, 0x118
	;; [unrolled: 1-line block ×8, first 2 shown]
	v_mov_b32_e32 v1, 0
	s_lshl_b32 s7, s7, 6
	v_add_u32_e32 v75, 0x2180, v72
	v_add_u32_e32 v76, 0x2380, v72
	v_cmp_gt_u32_e64 s[4:5], 64, v27
	v_lshl_add_u32 v80, v17, 5, v6
	s_mul_i32 s24, s22, 24
	s_mul_i32 s25, s22, 0x90
	;; [unrolled: 1-line block ×11, first 2 shown]
	v_or_b32_e32 v0, v0, v4
	s_mov_b32 s20, 0
	v_mov_b32_e32 v83, s11
	v_mov_b32_e32 v84, s13
	v_mov_b32_e32 v85, s8
	v_mov_b32_e32 v86, s17
	v_mov_b32_e32 v87, s44
	v_mov_b32_e32 v88, s9
	v_mov_b32_e32 v89, s21
	v_mov_b32_e32 v90, s19
	v_mov_b32_e32 v91, s43
	v_mov_b32_e32 v92, s23
	v_mov_b32_e32 v93, s38
	v_mov_b32_e32 v94, s39
	v_mov_b32_e32 v95, s42
	v_mov_b32_e32 v96, s40
	v_mov_b32_e32 v97, s41
	s_branch .LBB174_74
.LBB174_73:                             ;   in Loop: Header=BB174_74 Depth=1
	s_or_b64 exec, exec, s[22:23]
	v_fmac_f64_e32 v[18:19], v[4:5], v[12:13]
	v_fmac_f64_e32 v[18:19], v[6:7], v[14:15]
	;; [unrolled: 1-line block ×15, first 2 shown]
	v_mov_b32_e32 v4, s15
	v_add_co_u32_e64 v2, s[8:9], s14, v2
	s_add_i32 s6, s6, -1
	s_add_i32 s20, s20, s7
	v_fmac_f64_e32 v[18:19], v[60:61], v[70:71]
	v_addc_co_u32_e64 v3, s[8:9], v3, v4, s[8:9]
	s_cmp_eq_u32 s6, 0
	v_add_u32_e32 v0, 64, v0
	s_barrier
	s_cbranch_scc1 .LBB174_78
.LBB174_74:                             ; =>This Inner Loop Header: Depth=1
	s_and_saveexec_b64 s[22:23], s[2:3]
	s_cbranch_execz .LBB174_76
; %bb.75:                               ;   in Loop: Header=BB174_74 Depth=1
	s_ashr_i32 s21, s20, 31
	s_lshl_b64 s[8:9], s[20:21], 3
	v_mov_b32_e32 v5, s9
	v_add_co_u32_e64 v4, s[8:9], s8, v73
	v_addc_co_u32_e64 v5, s[8:9], v74, v5, s[8:9]
	flat_load_dwordx2 v[4:5], v[4:5]
	s_waitcnt vmcnt(0) lgkmcnt(0)
	ds_write_b64 v75, v[4:5]
.LBB174_76:                             ;   in Loop: Header=BB174_74 Depth=1
	s_or_b64 exec, exec, s[22:23]
	v_add_co_u32_e64 v10, s[8:9], s10, v2
	v_addc_co_u32_e64 v11, s[8:9], v3, v83, s[8:9]
	v_add_co_u32_e64 v12, s[8:9], s12, v2
	v_addc_co_u32_e64 v13, s[8:9], v3, v84, s[8:9]
	s_waitcnt lgkmcnt(0)
	s_barrier
	flat_load_dwordx2 v[4:5], v[2:3]
	flat_load_dwordx2 v[6:7], v[10:11]
	;; [unrolled: 1-line block ×3, first 2 shown]
	v_add_co_u32_e64 v10, s[8:9], s24, v2
	v_addc_co_u32_e64 v11, s[8:9], v3, v85, s[8:9]
	flat_load_dwordx2 v[10:11], v[10:11]
	ds_read_b64 v[14:15], v76
	ds_read_b64 v[12:13], v80
	v_add_co_u32_e64 v32, s[8:9], s16, v2
	v_addc_co_u32_e64 v33, s[8:9], v3, v86, s[8:9]
	v_add_co_u32_e64 v34, s[8:9], s37, v2
	v_addc_co_u32_e64 v35, s[8:9], v3, v87, s[8:9]
	;; [unrolled: 2-line block ×12, first 2 shown]
	s_waitcnt vmcnt(0) lgkmcnt(0)
	v_mul_f64 v[20:21], v[4:5], v[14:15]
	ds_write_b64 v81, v[20:21]
	v_mul_f64 v[20:21], v[6:7], v[14:15]
	v_mul_f64 v[22:23], v[8:9], v[14:15]
	;; [unrolled: 1-line block ×3, first 2 shown]
	ds_read_b64 v[14:15], v80 offset:8
	ds_write_b64 v81, v[20:21] offset:536
	ds_read_b64 v[20:21], v80 offset:16
	ds_write_b64 v81, v[22:23] offset:1072
	;; [unrolled: 2-line block ×3, first 2 shown]
	s_waitcnt lgkmcnt(0)
	s_barrier
	ds_read2_b64 v[64:67], v79 offset1:1
	ds_read2_b64 v[68:71], v79 offset0:2 offset1:3
	s_waitcnt lgkmcnt(0)
	s_barrier
	flat_load_dwordx2 v[30:31], v[32:33]
	flat_load_dwordx2 v[26:27], v[34:35]
	;; [unrolled: 1-line block ×4, first 2 shown]
	ds_read_b64 v[34:35], v76
	ds_read_b64 v[32:33], v80 offset:128
	v_add_f64 v[64:65], v[64:65], 0
	v_add_f64 v[64:65], v[64:65], v[66:67]
	;; [unrolled: 1-line block ×3, first 2 shown]
	s_waitcnt vmcnt(0) lgkmcnt(0)
	v_mul_f64 v[36:37], v[30:31], v[34:35]
	v_mul_f64 v[38:39], v[26:27], v[34:35]
	ds_write_b64 v81, v[36:37]
	v_mul_f64 v[40:41], v[24:25], v[34:35]
	v_mul_f64 v[42:43], v[28:29], v[34:35]
	ds_read_b64 v[34:35], v80 offset:136
	ds_write_b64 v81, v[38:39] offset:536
	ds_read_b64 v[36:37], v80 offset:144
	ds_write_b64 v81, v[40:41] offset:1072
	;; [unrolled: 2-line block ×3, first 2 shown]
	s_waitcnt lgkmcnt(0)
	s_barrier
	ds_read2_b64 v[98:101], v79 offset1:1
	ds_read2_b64 v[102:105], v79 offset0:2 offset1:3
	s_waitcnt lgkmcnt(0)
	s_barrier
	flat_load_dwordx2 v[46:47], v[48:49]
	flat_load_dwordx2 v[42:43], v[50:51]
	flat_load_dwordx2 v[40:41], v[52:53]
	flat_load_dwordx2 v[44:45], v[54:55]
	ds_read_b64 v[50:51], v76
	ds_read_b64 v[48:49], v80 offset:256
	s_waitcnt vmcnt(0) lgkmcnt(0)
	v_mul_f64 v[52:53], v[46:47], v[50:51]
	v_mul_f64 v[54:55], v[42:43], v[50:51]
	ds_write_b64 v81, v[52:53]
	v_mul_f64 v[56:57], v[40:41], v[50:51]
	v_mul_f64 v[58:59], v[44:45], v[50:51]
	ds_read_b64 v[50:51], v80 offset:264
	ds_write_b64 v81, v[54:55] offset:536
	ds_read_b64 v[52:53], v80 offset:272
	ds_write_b64 v81, v[56:57] offset:1072
	ds_read_b64 v[54:55], v80 offset:280
	ds_write_b64 v81, v[58:59] offset:1608
	s_waitcnt lgkmcnt(0)
	s_barrier
	ds_read2_b64 v[106:109], v79 offset1:1
	ds_read2_b64 v[110:113], v79 offset0:2 offset1:3
	s_waitcnt lgkmcnt(0)
	s_barrier
	flat_load_dwordx2 v[62:63], v[114:115]
	flat_load_dwordx2 v[58:59], v[116:117]
	;; [unrolled: 1-line block ×4, first 2 shown]
	v_add_f64 v[114:115], v[64:65], v[70:71]
	v_add_f64 v[64:65], v[98:99], 0
	;; [unrolled: 1-line block ×5, first 2 shown]
	ds_read_b64 v[66:67], v76
	ds_read_b64 v[64:65], v80 offset:384
	v_add_f64 v[68:69], v[106:107], 0
	v_add_f64 v[68:69], v[68:69], v[108:109]
	;; [unrolled: 1-line block ×4, first 2 shown]
	s_waitcnt vmcnt(0) lgkmcnt(0)
	v_mul_f64 v[68:69], v[62:63], v[66:67]
	v_mul_f64 v[70:71], v[58:59], v[66:67]
	ds_write_b64 v81, v[68:69]
	v_mul_f64 v[98:99], v[56:57], v[66:67]
	v_mul_f64 v[100:101], v[60:61], v[66:67]
	ds_read_b64 v[66:67], v80 offset:392
	ds_write_b64 v81, v[70:71] offset:536
	ds_read_b64 v[68:69], v80 offset:400
	ds_write_b64 v81, v[98:99] offset:1072
	;; [unrolled: 2-line block ×3, first 2 shown]
	s_waitcnt lgkmcnt(0)
	s_barrier
	ds_read2_b64 v[98:101], v79 offset1:1
	ds_read2_b64 v[102:105], v79 offset0:2 offset1:3
	s_waitcnt lgkmcnt(0)
	s_barrier
	v_add_f64 v[98:99], v[98:99], 0
	v_add_f64 v[98:99], v[98:99], v[100:101]
	;; [unrolled: 1-line block ×4, first 2 shown]
	ds_write2_b64 v82, v[114:115], v[116:117] offset1:16
	ds_write2_b64 v82, v[106:107], v[98:99] offset0:32 offset1:48
	s_waitcnt lgkmcnt(0)
	s_barrier
	s_and_saveexec_b64 s[22:23], s[4:5]
	s_cbranch_execz .LBB174_73
; %bb.77:                               ;   in Loop: Header=BB174_74 Depth=1
	ds_read2_b64 v[98:101], v77 offset1:1
	ds_read2_b64 v[102:105], v77 offset0:2 offset1:3
	ds_read2_b64 v[106:109], v77 offset0:4 offset1:5
	;; [unrolled: 1-line block ×3, first 2 shown]
	s_waitcnt lgkmcnt(3)
	v_add_f64 v[98:99], v[98:99], v[100:101]
	s_waitcnt lgkmcnt(2)
	v_add_f64 v[98:99], v[98:99], v[102:103]
	v_add_f64 v[98:99], v[98:99], v[104:105]
	s_waitcnt lgkmcnt(1)
	v_add_f64 v[102:103], v[98:99], v[106:107]
	ds_read2_b64 v[98:101], v77 offset0:8 offset1:9
	v_add_f64 v[102:103], v[102:103], v[108:109]
	s_waitcnt lgkmcnt(1)
	v_add_f64 v[106:107], v[102:103], v[110:111]
	ds_read2_b64 v[102:105], v77 offset0:10 offset1:11
	v_add_f64 v[106:107], v[106:107], v[112:113]
	s_waitcnt lgkmcnt(1)
	v_add_f64 v[98:99], v[106:107], v[98:99]
	v_add_f64 v[106:107], v[98:99], v[100:101]
	ds_read2_b64 v[98:101], v77 offset0:12 offset1:13
	s_waitcnt lgkmcnt(1)
	v_add_f64 v[102:103], v[106:107], v[102:103]
	ds_read_b64 v[106:107], v77 offset:112
	ds_read_b64 v[108:109], v78
	v_add_f64 v[102:103], v[102:103], v[104:105]
	s_waitcnt lgkmcnt(2)
	v_add_f64 v[98:99], v[102:103], v[98:99]
	v_add_f64 v[98:99], v[98:99], v[100:101]
	v_lshlrev_b64 v[100:101], 3, v[0:1]
	s_waitcnt lgkmcnt(1)
	v_add_f64 v[98:99], v[98:99], v[106:107]
	v_mov_b32_e32 v102, s28
	v_add_co_u32_e64 v100, s[8:9], s27, v100
	s_waitcnt lgkmcnt(0)
	v_add_f64 v[98:99], v[98:99], v[108:109]
	v_addc_co_u32_e64 v101, s[8:9], v102, v101, s[8:9]
	global_store_dwordx2 v[100:101], v[98:99], off
	s_branch .LBB174_73
.LBB174_78:
	s_movk_i32 s2, 0x218
	s_or_b64 s[0:1], s[0:1], vcc
	v_mad_u32_u24 v0, v17, s2, v72
	s_xor_b64 s[0:1], s[0:1], -1
	ds_write_b64 v0, v[18:19]
	s_waitcnt lgkmcnt(0)
	s_barrier
	s_and_saveexec_b64 s[2:3], s[0:1]
	s_cbranch_execz .LBB174_80
; %bb.79:
	ds_read2_b64 v[0:3], v72 offset1:67
	ds_read2_b64 v[4:7], v72 offset0:134 offset1:201
	v_ashrrev_i32_e32 v17, 31, v16
	v_lshlrev_b64 v[8:9], 3, v[16:17]
	v_mov_b32_e32 v10, s28
	s_waitcnt lgkmcnt(1)
	v_add_f64 v[0:1], v[0:1], v[2:3]
	s_waitcnt lgkmcnt(0)
	v_add_f64 v[0:1], v[0:1], v[4:5]
	v_add_co_u32_e32 v2, vcc, s27, v8
	v_add_f64 v[0:1], v[0:1], v[6:7]
	v_addc_co_u32_e32 v3, vcc, v10, v9, vcc
	global_store_dwordx2 v[2:3], v[0:1], off
.LBB174_80:
	s_endpgm
	.section	.rodata,"a",@progbits
	.p2align	6, 0x0
	.amdhsa_kernel _ZL26rocblas_hemvn_kernel_lowerILb0ELi64ELi4ELi33ELi32ELi16EiPKdPKS1_PdEviT6_lT7_lT5_lS6_lS7_lS5_lT8_i
		.amdhsa_group_segment_fixed_size 9600
		.amdhsa_private_segment_fixed_size 0
		.amdhsa_kernarg_size 376
		.amdhsa_user_sgpr_count 6
		.amdhsa_user_sgpr_private_segment_buffer 1
		.amdhsa_user_sgpr_dispatch_ptr 0
		.amdhsa_user_sgpr_queue_ptr 0
		.amdhsa_user_sgpr_kernarg_segment_ptr 1
		.amdhsa_user_sgpr_dispatch_id 0
		.amdhsa_user_sgpr_flat_scratch_init 0
		.amdhsa_user_sgpr_kernarg_preload_length 0
		.amdhsa_user_sgpr_kernarg_preload_offset 0
		.amdhsa_user_sgpr_private_segment_size 0
		.amdhsa_uses_dynamic_stack 0
		.amdhsa_system_sgpr_private_segment_wavefront_offset 0
		.amdhsa_system_sgpr_workgroup_id_x 1
		.amdhsa_system_sgpr_workgroup_id_y 0
		.amdhsa_system_sgpr_workgroup_id_z 1
		.amdhsa_system_sgpr_workgroup_info 0
		.amdhsa_system_vgpr_workitem_id 1
		.amdhsa_next_free_vgpr 122
		.amdhsa_next_free_sgpr 46
		.amdhsa_accum_offset 124
		.amdhsa_reserve_vcc 1
		.amdhsa_reserve_flat_scratch 0
		.amdhsa_float_round_mode_32 0
		.amdhsa_float_round_mode_16_64 0
		.amdhsa_float_denorm_mode_32 3
		.amdhsa_float_denorm_mode_16_64 3
		.amdhsa_dx10_clamp 1
		.amdhsa_ieee_mode 1
		.amdhsa_fp16_overflow 0
		.amdhsa_tg_split 0
		.amdhsa_exception_fp_ieee_invalid_op 0
		.amdhsa_exception_fp_denorm_src 0
		.amdhsa_exception_fp_ieee_div_zero 0
		.amdhsa_exception_fp_ieee_overflow 0
		.amdhsa_exception_fp_ieee_underflow 0
		.amdhsa_exception_fp_ieee_inexact 0
		.amdhsa_exception_int_div_zero 0
	.end_amdhsa_kernel
	.section	.text._ZL26rocblas_hemvn_kernel_lowerILb0ELi64ELi4ELi33ELi32ELi16EiPKdPKS1_PdEviT6_lT7_lT5_lS6_lS7_lS5_lT8_i,"axG",@progbits,_ZL26rocblas_hemvn_kernel_lowerILb0ELi64ELi4ELi33ELi32ELi16EiPKdPKS1_PdEviT6_lT7_lT5_lS6_lS7_lS5_lT8_i,comdat
.Lfunc_end174:
	.size	_ZL26rocblas_hemvn_kernel_lowerILb0ELi64ELi4ELi33ELi32ELi16EiPKdPKS1_PdEviT6_lT7_lT5_lS6_lS7_lS5_lT8_i, .Lfunc_end174-_ZL26rocblas_hemvn_kernel_lowerILb0ELi64ELi4ELi33ELi32ELi16EiPKdPKS1_PdEviT6_lT7_lT5_lS6_lS7_lS5_lT8_i
                                        ; -- End function
	.section	.AMDGPU.csdata,"",@progbits
; Kernel info:
; codeLenInByte = 6276
; NumSgprs: 50
; NumVgprs: 122
; NumAgprs: 0
; TotalNumVgprs: 122
; ScratchSize: 0
; MemoryBound: 0
; FloatMode: 240
; IeeeMode: 1
; LDSByteSize: 9600 bytes/workgroup (compile time only)
; SGPRBlocks: 6
; VGPRBlocks: 15
; NumSGPRsForWavesPerEU: 50
; NumVGPRsForWavesPerEU: 122
; AccumOffset: 124
; Occupancy: 4
; WaveLimiterHint : 1
; COMPUTE_PGM_RSRC2:SCRATCH_EN: 0
; COMPUTE_PGM_RSRC2:USER_SGPR: 6
; COMPUTE_PGM_RSRC2:TRAP_HANDLER: 0
; COMPUTE_PGM_RSRC2:TGID_X_EN: 1
; COMPUTE_PGM_RSRC2:TGID_Y_EN: 0
; COMPUTE_PGM_RSRC2:TGID_Z_EN: 1
; COMPUTE_PGM_RSRC2:TIDIG_COMP_CNT: 1
; COMPUTE_PGM_RSRC3_GFX90A:ACCUM_OFFSET: 30
; COMPUTE_PGM_RSRC3_GFX90A:TG_SPLIT: 0
	.section	.text._ZL36rocblas_hemvn_kernel_lower_block_sumILi64EiPKdPKPddEviT1_lS5_lT2_lT0_lPT3_i,"axG",@progbits,_ZL36rocblas_hemvn_kernel_lower_block_sumILi64EiPKdPKPddEviT1_lS5_lT2_lT0_lPT3_i,comdat
	.globl	_ZL36rocblas_hemvn_kernel_lower_block_sumILi64EiPKdPKPddEviT1_lS5_lT2_lT0_lPT3_i ; -- Begin function _ZL36rocblas_hemvn_kernel_lower_block_sumILi64EiPKdPKPddEviT1_lS5_lT2_lT0_lPT3_i
	.p2align	8
	.type	_ZL36rocblas_hemvn_kernel_lower_block_sumILi64EiPKdPKPddEviT1_lS5_lT2_lT0_lPT3_i,@function
_ZL36rocblas_hemvn_kernel_lower_block_sumILi64EiPKdPKPddEviT1_lS5_lT2_lT0_lPT3_i: ; @_ZL36rocblas_hemvn_kernel_lower_block_sumILi64EiPKdPKPddEviT1_lS5_lT2_lT0_lPT3_i
; %bb.0:
	s_load_dwordx8 s[16:23], s[4:5], 0x8
	s_waitcnt lgkmcnt(0)
	s_mul_i32 s0, s7, s19
	s_mul_hi_u32 s1, s7, s18
	s_add_i32 s1, s1, s0
	s_mul_i32 s0, s7, s18
	s_lshl_b64 s[0:1], s[0:1], 3
	s_add_u32 s0, s16, s0
	s_addc_u32 s1, s17, s1
	s_load_dwordx2 s[2:3], s[0:1], 0x0
	s_mul_i32 s0, s7, s23
	s_mul_hi_u32 s1, s7, s22
	s_add_i32 s1, s1, s0
	s_mul_i32 s0, s7, s22
	s_lshl_b64 s[0:1], s[0:1], 3
	s_add_u32 s0, s20, s0
	s_addc_u32 s1, s21, s1
	s_load_dwordx2 s[8:9], s[0:1], 0x0
	s_waitcnt lgkmcnt(0)
	v_cmp_eq_f64_e64 s[0:1], s[2:3], 0
	v_cmp_eq_f64_e64 s[10:11], s[8:9], 1.0
	s_and_b64 s[0:1], s[0:1], s[10:11]
	s_and_b64 vcc, exec, s[0:1]
	s_cbranch_vccnz .LBB175_19
; %bb.1:
	s_load_dwordx4 s[16:19], s[4:5], 0x28
	s_mov_b32 s12, s7
	s_mov_b32 s13, 0
	s_lshl_b64 s[0:1], s[12:13], 3
	s_load_dword s20, s[4:5], 0x38
	s_load_dword s14, s[4:5], 0x0
	s_waitcnt lgkmcnt(0)
	s_add_u32 s0, s16, s0
	s_addc_u32 s1, s17, s1
	s_load_dwordx2 s[0:1], s[0:1], 0x0
	s_lshl_b64 s[18:19], s[18:19], 3
	v_lshl_or_b32 v6, s6, 6, v0
	v_cmp_neq_f64_e64 s[16:17], s[2:3], 0
	s_mov_b64 s[10:11], 0
	s_waitcnt lgkmcnt(0)
	s_add_u32 s7, s0, s18
	s_addc_u32 s13, s1, s19
	s_and_b64 vcc, exec, s[16:17]
	v_cmp_gt_i32_e64 s[0:1], s14, v6
	s_cbranch_vccnz .LBB175_6
; %bb.2:
	s_mov_b64 s[16:17], 0
                                        ; implicit-def: $vgpr2_vgpr3
                                        ; implicit-def: $vgpr0_vgpr1
	s_and_saveexec_b64 s[18:19], s[0:1]
	s_cbranch_execz .LBB175_7
; %bb.3:
	v_cmp_eq_f64_e64 s[0:1], s[8:9], 0
	v_mul_lo_u32 v0, v6, s20
	v_pk_mov_b32 v[2:3], 0, 0
	v_ashrrev_i32_e32 v1, 31, v0
	s_and_b64 vcc, exec, s[0:1]
	s_cbranch_vccnz .LBB175_5
; %bb.4:
	v_lshlrev_b64 v[2:3], 3, v[0:1]
	v_mov_b32_e32 v4, s13
	v_add_co_u32_e32 v2, vcc, s7, v2
	v_addc_co_u32_e32 v3, vcc, v4, v3, vcc
	global_load_dwordx2 v[2:3], v[2:3], off
	s_waitcnt vmcnt(0)
	v_mul_f64 v[2:3], s[8:9], v[2:3]
.LBB175_5:
	s_mov_b64 s[10:11], exec
	s_or_b64 exec, exec, s[18:19]
	s_and_b64 vcc, exec, s[16:17]
	s_cbranch_vccnz .LBB175_8
	s_branch .LBB175_17
.LBB175_6:
                                        ; implicit-def: $vgpr2_vgpr3
                                        ; implicit-def: $vgpr0_vgpr1
	s_cbranch_execnz .LBB175_8
	s_branch .LBB175_17
.LBB175_7:
	s_or_b64 exec, exec, s[18:19]
	s_and_b64 vcc, exec, s[16:17]
	s_cbranch_vccz .LBB175_17
.LBB175_8:
	v_cmp_gt_i32_e32 vcc, s14, v6
                                        ; implicit-def: $vgpr2_vgpr3
                                        ; implicit-def: $vgpr0_vgpr1
	s_and_saveexec_b64 s[0:1], vcc
	s_cbranch_execz .LBB175_16
; %bb.9:
	s_load_dword s16, s[4:5], 0x58
	v_pk_mov_b32 v[4:5], 0, 0
	s_waitcnt lgkmcnt(0)
	s_cmp_ge_i32 s6, s16
	s_cbranch_scc1 .LBB175_12
; %bb.10:
	s_ashr_i32 s15, s14, 31
	s_mul_i32 s17, s6, s14
	s_load_dwordx2 s[4:5], s[4:5], 0x48
	v_add_u32_e32 v0, s17, v6
	s_mul_hi_u32 s17, s14, s12
	s_mul_i32 s18, s15, s12
	s_add_i32 s17, s17, s18
	s_mul_i32 s12, s14, s12
	s_mul_i32 s17, s17, s16
	s_mul_hi_u32 s18, s12, s16
	s_add_i32 s19, s18, s17
	s_mul_i32 s18, s12, s16
	s_lshl_b64 s[18:19], s[18:19], 3
	v_ashrrev_i32_e32 v1, 31, v0
	s_waitcnt lgkmcnt(0)
	s_add_u32 s4, s4, s18
	v_lshlrev_b64 v[0:1], 3, v[0:1]
	s_addc_u32 s5, s5, s19
	v_mov_b32_e32 v2, s5
	v_add_co_u32_e32 v0, vcc, s4, v0
	s_lshl_b64 s[4:5], s[14:15], 3
	v_addc_co_u32_e32 v1, vcc, v2, v1, vcc
	v_pk_mov_b32 v[4:5], 0, 0
	v_mov_b32_e32 v2, s5
.LBB175_11:                             ; =>This Inner Loop Header: Depth=1
	global_load_dwordx2 v[8:9], v[0:1], off
	s_add_i32 s6, s6, 1
	v_add_co_u32_e32 v0, vcc, s4, v0
	v_addc_co_u32_e32 v1, vcc, v1, v2, vcc
	s_cmp_ge_i32 s6, s16
	s_waitcnt vmcnt(0)
	v_add_f64 v[4:5], v[4:5], v[8:9]
	s_cbranch_scc0 .LBB175_11
.LBB175_12:
	v_cmp_eq_f64_e64 s[14:15], s[8:9], 0
	v_mul_lo_u32 v0, v6, s20
	s_mov_b64 s[4:5], 0
	s_and_b64 vcc, exec, s[14:15]
	v_ashrrev_i32_e32 v1, 31, v0
	s_cbranch_vccz .LBB175_20
; %bb.13:
	v_mul_f64 v[2:3], s[2:3], v[4:5]
	s_andn2_b64 vcc, exec, s[4:5]
	s_cbranch_vccnz .LBB175_15
.LBB175_14:
	v_lshlrev_b64 v[2:3], 3, v[0:1]
	v_mov_b32_e32 v6, s13
	v_add_co_u32_e32 v2, vcc, s7, v2
	v_addc_co_u32_e32 v3, vcc, v6, v3, vcc
	global_load_dwordx2 v[2:3], v[2:3], off
	s_waitcnt vmcnt(0)
	v_mul_f64 v[2:3], s[8:9], v[2:3]
	v_fmac_f64_e32 v[2:3], s[2:3], v[4:5]
.LBB175_15:
	s_or_b64 s[10:11], s[10:11], exec
.LBB175_16:
	s_or_b64 exec, exec, s[0:1]
.LBB175_17:
	s_and_saveexec_b64 s[0:1], s[10:11]
	s_cbranch_execz .LBB175_19
; %bb.18:
	v_lshlrev_b64 v[0:1], 3, v[0:1]
	v_mov_b32_e32 v4, s13
	v_add_co_u32_e32 v0, vcc, s7, v0
	v_addc_co_u32_e32 v1, vcc, v4, v1, vcc
	global_store_dwordx2 v[0:1], v[2:3], off
.LBB175_19:
	s_endpgm
.LBB175_20:
                                        ; implicit-def: $vgpr2_vgpr3
	s_branch .LBB175_14
	.section	.rodata,"a",@progbits
	.p2align	6, 0x0
	.amdhsa_kernel _ZL36rocblas_hemvn_kernel_lower_block_sumILi64EiPKdPKPddEviT1_lS5_lT2_lT0_lPT3_i
		.amdhsa_group_segment_fixed_size 0
		.amdhsa_private_segment_fixed_size 0
		.amdhsa_kernarg_size 344
		.amdhsa_user_sgpr_count 6
		.amdhsa_user_sgpr_private_segment_buffer 1
		.amdhsa_user_sgpr_dispatch_ptr 0
		.amdhsa_user_sgpr_queue_ptr 0
		.amdhsa_user_sgpr_kernarg_segment_ptr 1
		.amdhsa_user_sgpr_dispatch_id 0
		.amdhsa_user_sgpr_flat_scratch_init 0
		.amdhsa_user_sgpr_kernarg_preload_length 0
		.amdhsa_user_sgpr_kernarg_preload_offset 0
		.amdhsa_user_sgpr_private_segment_size 0
		.amdhsa_uses_dynamic_stack 0
		.amdhsa_system_sgpr_private_segment_wavefront_offset 0
		.amdhsa_system_sgpr_workgroup_id_x 1
		.amdhsa_system_sgpr_workgroup_id_y 0
		.amdhsa_system_sgpr_workgroup_id_z 1
		.amdhsa_system_sgpr_workgroup_info 0
		.amdhsa_system_vgpr_workitem_id 0
		.amdhsa_next_free_vgpr 10
		.amdhsa_next_free_sgpr 24
		.amdhsa_accum_offset 12
		.amdhsa_reserve_vcc 1
		.amdhsa_reserve_flat_scratch 0
		.amdhsa_float_round_mode_32 0
		.amdhsa_float_round_mode_16_64 0
		.amdhsa_float_denorm_mode_32 3
		.amdhsa_float_denorm_mode_16_64 3
		.amdhsa_dx10_clamp 1
		.amdhsa_ieee_mode 1
		.amdhsa_fp16_overflow 0
		.amdhsa_tg_split 0
		.amdhsa_exception_fp_ieee_invalid_op 0
		.amdhsa_exception_fp_denorm_src 0
		.amdhsa_exception_fp_ieee_div_zero 0
		.amdhsa_exception_fp_ieee_overflow 0
		.amdhsa_exception_fp_ieee_underflow 0
		.amdhsa_exception_fp_ieee_inexact 0
		.amdhsa_exception_int_div_zero 0
	.end_amdhsa_kernel
	.section	.text._ZL36rocblas_hemvn_kernel_lower_block_sumILi64EiPKdPKPddEviT1_lS5_lT2_lT0_lPT3_i,"axG",@progbits,_ZL36rocblas_hemvn_kernel_lower_block_sumILi64EiPKdPKPddEviT1_lS5_lT2_lT0_lPT3_i,comdat
.Lfunc_end175:
	.size	_ZL36rocblas_hemvn_kernel_lower_block_sumILi64EiPKdPKPddEviT1_lS5_lT2_lT0_lPT3_i, .Lfunc_end175-_ZL36rocblas_hemvn_kernel_lower_block_sumILi64EiPKdPKPddEviT1_lS5_lT2_lT0_lPT3_i
                                        ; -- End function
	.section	.AMDGPU.csdata,"",@progbits
; Kernel info:
; codeLenInByte = 684
; NumSgprs: 28
; NumVgprs: 10
; NumAgprs: 0
; TotalNumVgprs: 10
; ScratchSize: 0
; MemoryBound: 0
; FloatMode: 240
; IeeeMode: 1
; LDSByteSize: 0 bytes/workgroup (compile time only)
; SGPRBlocks: 3
; VGPRBlocks: 1
; NumSGPRsForWavesPerEU: 28
; NumVGPRsForWavesPerEU: 10
; AccumOffset: 12
; Occupancy: 8
; WaveLimiterHint : 1
; COMPUTE_PGM_RSRC2:SCRATCH_EN: 0
; COMPUTE_PGM_RSRC2:USER_SGPR: 6
; COMPUTE_PGM_RSRC2:TRAP_HANDLER: 0
; COMPUTE_PGM_RSRC2:TGID_X_EN: 1
; COMPUTE_PGM_RSRC2:TGID_Y_EN: 0
; COMPUTE_PGM_RSRC2:TGID_Z_EN: 1
; COMPUTE_PGM_RSRC2:TIDIG_COMP_CNT: 0
; COMPUTE_PGM_RSRC3_GFX90A:ACCUM_OFFSET: 2
; COMPUTE_PGM_RSRC3_GFX90A:TG_SPLIT: 0
	.section	.text._ZL26rocblas_hemvn_kernel_lowerILb0ELi64ELi4ELi33ELi32ELi16EldPKPKdPdEviT6_lT7_lT5_lS6_lS7_lS5_lT8_i,"axG",@progbits,_ZL26rocblas_hemvn_kernel_lowerILb0ELi64ELi4ELi33ELi32ELi16EldPKPKdPdEviT6_lT7_lT5_lS6_lS7_lS5_lT8_i,comdat
	.globl	_ZL26rocblas_hemvn_kernel_lowerILb0ELi64ELi4ELi33ELi32ELi16EldPKPKdPdEviT6_lT7_lT5_lS6_lS7_lS5_lT8_i ; -- Begin function _ZL26rocblas_hemvn_kernel_lowerILb0ELi64ELi4ELi33ELi32ELi16EldPKPKdPdEviT6_lT7_lT5_lS6_lS7_lS5_lT8_i
	.p2align	8
	.type	_ZL26rocblas_hemvn_kernel_lowerILb0ELi64ELi4ELi33ELi32ELi16EldPKPKdPdEviT6_lT7_lT5_lS6_lS7_lS5_lT8_i,@function
_ZL26rocblas_hemvn_kernel_lowerILb0ELi64ELi4ELi33ELi32ELi16EldPKPKdPdEviT6_lT7_lT5_lS6_lS7_lS5_lT8_i: ; @_ZL26rocblas_hemvn_kernel_lowerILb0ELi64ELi4ELi33ELi32ELi16EldPKPKdPdEviT6_lT7_lT5_lS6_lS7_lS5_lT8_i
; %bb.0:
	s_load_dwordx2 s[0:1], s[4:5], 0x84
	s_add_u32 s14, s4, 0x78
	s_addc_u32 s15, s5, 0
	s_waitcnt lgkmcnt(0)
	s_lshr_b32 s2, s0, 16
	s_and_b32 s0, s0, 0xffff
	s_and_b32 s1, s1, 0xffff
	s_mul_i32 s0, s2, s0
	s_mul_i32 s0, s0, s1
	s_cmpk_lg_i32 s0, 0x100
	s_cbranch_scc1 .LBB176_80
; %bb.1:
	s_load_dwordx2 s[8:9], s[4:5], 0x8
	s_load_dwordx2 s[0:1], s[4:5], 0x58
	s_waitcnt lgkmcnt(0)
	v_cmp_eq_f64_e64 s[10:11], s[8:9], 0
	v_cmp_eq_f64_e64 s[0:1], s[0:1], 1.0
	s_and_b64 s[0:1], s[10:11], s[0:1]
	s_and_b64 vcc, exec, s[0:1]
	s_cbranch_vccnz .LBB176_80
; %bb.2:
	s_load_dwordx4 s[0:3], s[4:5], 0x18
	s_load_dwordx2 s[26:27], s[4:5], 0x28
	s_mov_b32 s28, s7
	s_mov_b64 s[16:17], 0
	v_cmp_neq_f64_e64 s[18:19], s[8:9], 0
	s_and_b64 vcc, exec, s[10:11]
	s_mov_b64 s[12:13], 0
	s_cbranch_vccnz .LBB176_4
; %bb.3:
	s_mov_b32 s29, 0
	s_lshl_b64 s[8:9], s[28:29], 3
	s_waitcnt lgkmcnt(0)
	s_add_u32 s0, s0, s8
	s_addc_u32 s1, s1, s9
	s_load_dwordx2 s[0:1], s[0:1], 0x0
	s_lshl_b64 s[2:3], s[2:3], 3
	s_waitcnt lgkmcnt(0)
	s_add_u32 s12, s0, s2
	s_addc_u32 s13, s1, s3
.LBB176_4:
	s_load_dwordx4 s[8:11], s[4:5], 0x38
	s_load_dwordx2 s[22:23], s[4:5], 0x48
	v_cndmask_b32_e64 v1, 0, 1, s[18:19]
	s_waitcnt lgkmcnt(0)
	v_cmp_ne_u32_e64 s[0:1], 1, v1
	s_andn2_b64 vcc, exec, s[18:19]
	s_cbranch_vccnz .LBB176_6
; %bb.5:
	s_mov_b32 s29, 0
	s_lshl_b64 s[2:3], s[28:29], 3
	s_add_u32 s2, s8, s2
	s_addc_u32 s3, s9, s3
	s_load_dwordx2 s[2:3], s[2:3], 0x0
	s_lshl_b64 s[8:9], s[10:11], 3
	s_waitcnt lgkmcnt(0)
	s_add_u32 s16, s2, s8
	s_addc_u32 s17, s3, s9
.LBB176_6:
	s_and_b64 vcc, exec, s[0:1]
	s_cbranch_vccnz .LBB176_80
; %bb.7:
	s_load_dword s29, s[14:15], 0x0
	s_load_dword s7, s[4:5], 0x0
	v_and_b32_e32 v26, 0x3ff, v0
	s_lshl_b32 s34, s6, 6
	v_add_u32_e32 v16, s34, v26
	s_waitcnt lgkmcnt(0)
	s_add_i32 s0, s29, -1
	s_ashr_i32 s33, s7, 31
	s_lshr_b32 s1, s33, 26
	s_add_i32 s1, s7, s1
	s_andn2_b32 s1, s1, 63
	s_sub_i32 s1, s7, s1
	s_cmp_eq_u32 s6, s0
	v_ashrrev_i32_e32 v17, 31, v16
	v_bfe_u32 v72, v0, 10, 10
	s_cselect_b32 s30, s1, 0
	v_mul_lo_u32 v2, v17, s22
	v_mul_lo_u32 v3, v16, s23
	v_mad_u64_u32 v[0:1], s[0:1], v16, s22, 0
	v_add3_u32 v1, v1, v3, v2
	v_lshlrev_b64 v[0:1], 3, v[0:1]
	v_mov_b32_e32 v2, s17
	v_add_co_u32_e32 v20, vcc, s16, v0
	v_addc_co_u32_e32 v21, vcc, v2, v1, vcc
	v_cmp_ne_u32_e64 s[0:1], 0, v72
	v_cmp_eq_u32_e64 s[2:3], 0, v72
	s_and_saveexec_b64 s[8:9], s[2:3]
	s_cbranch_execz .LBB176_11
; %bb.8:
	s_cmp_eq_u32 s30, 0
	s_cselect_b64 s[10:11], -1, 0
	v_cmp_gt_i32_e32 vcc, s30, v26
	s_or_b64 s[14:15], s[10:11], vcc
	v_pk_mov_b32 v[0:1], 0, 0
	s_and_saveexec_b64 s[10:11], s[14:15]
	s_cbranch_execz .LBB176_10
; %bb.9:
	flat_load_dwordx2 v[0:1], v[20:21]
.LBB176_10:
	s_or_b64 exec, exec, s[10:11]
	v_lshlrev_b32_e32 v2, 3, v26
	s_waitcnt vmcnt(0) lgkmcnt(0)
	ds_write_b64 v2, v[0:1] offset:9088
.LBB176_11:
	s_or_b64 exec, exec, s[8:9]
	s_ashr_i32 s35, s34, 31
	v_lshl_add_u32 v27, v72, 6, v26
	s_lshl_b64 s[8:9], s[34:35], 3
	v_and_b32_e32 v0, 31, v26
	v_lshrrev_b32_e32 v10, 5, v27
	s_add_u32 s10, s12, s8
	v_mov_b32_e32 v1, 0
	s_addc_u32 s11, s13, s9
	v_mad_u64_u32 v[2:3], s[8:9], v10, s26, v[0:1]
	v_mov_b32_e32 v4, v3
	v_mad_u64_u32 v[4:5], s[8:9], v10, s27, v[4:5]
	s_mul_i32 s8, s34, s27
	s_mul_hi_u32 s9, s34, s26
	s_add_i32 s8, s9, s8
	s_mul_i32 s9, s35, s26
	s_add_i32 s9, s8, s9
	s_mul_i32 s8, s34, s26
	s_lshl_b64 s[36:37], s[8:9], 3
	v_mov_b32_e32 v3, v4
	s_add_u32 s8, s36, s10
	v_lshlrev_b64 v[22:23], 3, v[2:3]
	s_addc_u32 s9, s37, s11
	v_mov_b32_e32 v1, s9
	v_add_co_u32_e32 v2, vcc, s8, v22
	s_cmp_lg_u32 s30, 0
	v_addc_co_u32_e32 v3, vcc, v1, v23, vcc
	s_cselect_b64 s[38:39], -1, 0
	s_cmp_eq_u32 s30, 0
	s_cselect_b64 s[40:41], -1, 0
	s_and_b64 vcc, exec, s[38:39]
	s_cbranch_vccnz .LBB176_13
; %bb.12:
	flat_load_dwordx2 v[4:5], v[2:3]
	v_mul_u32_u24_e32 v1, 33, v10
	s_lshl_b64 s[8:9], s[26:27], 6
	v_add_lshl_u32 v1, v1, v0, 3
	v_mov_b32_e32 v8, s9
	v_add_co_u32_e32 v6, vcc, s8, v2
	v_addc_co_u32_e32 v7, vcc, v3, v8, vcc
	s_mul_i32 s10, s27, 0xc0
	s_waitcnt vmcnt(0) lgkmcnt(0)
	ds_write_b64 v1, v[4:5]
	flat_load_dwordx2 v[4:5], v[6:7]
	v_add_co_u32_e32 v6, vcc, s8, v6
	v_addc_co_u32_e32 v7, vcc, v7, v8, vcc
	s_waitcnt vmcnt(0) lgkmcnt(0)
	ds_write_b64 v1, v[4:5] offset:2112
	flat_load_dwordx2 v[4:5], v[6:7]
	v_mov_b32_e32 v6, 0xc0
	v_mad_u64_u32 v[6:7], s[8:9], s26, v6, v[2:3]
	v_add_u32_e32 v7, s10, v7
	s_waitcnt vmcnt(0) lgkmcnt(0)
	ds_write_b64 v1, v[4:5] offset:4224
	flat_load_dwordx2 v[4:5], v[6:7]
	s_waitcnt vmcnt(0) lgkmcnt(0)
	ds_write_b64 v1, v[4:5] offset:6336
	s_cbranch_execz .LBB176_14
	s_branch .LBB176_23
.LBB176_13:
.LBB176_14:
	v_lshlrev_b32_e32 v1, 3, v0
	v_sub_co_u32_e32 v4, vcc, v2, v1
	s_ashr_i32 s31, s30, 31
	v_subbrev_co_u32_e32 v5, vcc, 0, v3, vcc
	s_lshl_b64 s[10:11], s[30:31], 3
	v_mov_b32_e32 v6, s11
	v_add_co_u32_e32 v4, vcc, s10, v4
	v_addc_co_u32_e32 v5, vcc, v5, v6, vcc
	v_add_co_u32_e32 v4, vcc, -8, v4
	v_addc_co_u32_e32 v5, vcc, -1, v5, vcc
	v_cmp_gt_i32_e32 vcc, s30, v0
	v_pk_mov_b32 v[6:7], 0, 0
	v_cndmask_b32_e32 v5, v5, v3, vcc
	v_cndmask_b32_e32 v4, v4, v2, vcc
	v_cmp_gt_i32_e64 s[8:9], s30, v10
	v_pk_mov_b32 v[8:9], v[6:7], v[6:7] op_sel:[0,1]
	s_and_saveexec_b64 s[12:13], s[8:9]
	s_cbranch_execz .LBB176_16
; %bb.15:
	flat_load_dwordx2 v[8:9], v[4:5]
.LBB176_16:
	s_or_b64 exec, exec, s[12:13]
	v_mul_u32_u24_e32 v11, 33, v10
	v_add_lshl_u32 v11, v11, v0, 3
	s_waitcnt vmcnt(0) lgkmcnt(0)
	ds_write_b64 v11, v[8:9]
	v_add_u32_e32 v8, 8, v10
	v_cmp_gt_i32_e64 s[8:9], s30, v8
	s_and_saveexec_b64 s[12:13], s[8:9]
	s_cbranch_execz .LBB176_18
; %bb.17:
	s_lshl_b64 s[8:9], s[26:27], 6
	v_mov_b32_e32 v7, s9
	v_add_co_u32_e64 v6, s[8:9], s8, v4
	v_addc_co_u32_e64 v7, s[8:9], v5, v7, s[8:9]
	flat_load_dwordx2 v[6:7], v[6:7]
.LBB176_18:
	s_or_b64 exec, exec, s[12:13]
	s_waitcnt vmcnt(0) lgkmcnt(0)
	ds_write_b64 v11, v[6:7] offset:2112
	v_add_u32_e32 v6, 16, v10
	v_cmp_gt_i32_e64 s[8:9], s30, v6
	v_pk_mov_b32 v[6:7], 0, 0
	v_pk_mov_b32 v[8:9], v[6:7], v[6:7] op_sel:[0,1]
	s_and_saveexec_b64 s[12:13], s[8:9]
	s_cbranch_execz .LBB176_20
; %bb.19:
	s_lshl_b64 s[8:9], s[26:27], 7
	v_mov_b32_e32 v9, s9
	v_add_co_u32_e64 v8, s[8:9], s8, v4
	v_addc_co_u32_e64 v9, s[8:9], v5, v9, s[8:9]
	flat_load_dwordx2 v[8:9], v[8:9]
.LBB176_20:
	s_or_b64 exec, exec, s[12:13]
	s_waitcnt vmcnt(0) lgkmcnt(0)
	ds_write_b64 v11, v[8:9] offset:4224
	v_add_u32_e32 v8, 24, v10
	v_cmp_gt_i32_e64 s[8:9], s30, v8
	s_and_saveexec_b64 s[12:13], s[8:9]
	s_cbranch_execz .LBB176_22
; %bb.21:
	v_mov_b32_e32 v6, 0xc0
	v_mad_u64_u32 v[6:7], s[8:9], s26, v6, v[4:5]
	s_mul_i32 s8, s27, 0xc0
	v_add_u32_e32 v7, s8, v7
	flat_load_dwordx2 v[6:7], v[6:7]
.LBB176_22:
	s_or_b64 exec, exec, s[12:13]
	v_add_co_u32_e64 v1, s[8:9], v4, v1
	v_addc_co_u32_e64 v4, s[8:9], 0, v5, s[8:9]
	v_mov_b32_e32 v5, s11
	v_subrev_co_u32_e64 v1, s[8:9], s10, v1
	v_subb_co_u32_e64 v4, s[8:9], v4, v5, s[8:9]
	v_add_co_u32_e64 v1, s[8:9], 8, v1
	v_addc_co_u32_e64 v4, s[8:9], 0, v4, s[8:9]
	v_cndmask_b32_e32 v3, v4, v3, vcc
	v_cndmask_b32_e32 v2, v1, v2, vcc
	s_waitcnt vmcnt(0) lgkmcnt(0)
	ds_write_b64 v11, v[6:7] offset:6336
.LBB176_23:
	v_lshlrev_b32_e32 v1, 2, v10
	v_mul_u32_u24_e32 v28, 33, v0
	v_cmp_lt_u32_e64 s[8:9], v1, v0
	v_add_lshl_u32 v30, v1, v28, 3
	s_waitcnt lgkmcnt(0)
	s_barrier
	s_and_saveexec_b64 s[10:11], s[8:9]
	s_cbranch_execz .LBB176_25
; %bb.24:
	v_mul_u32_u24_e32 v4, 0x84, v10
	v_add_lshl_u32 v4, v4, v0, 3
	ds_read_b64 v[4:5], v4
	s_waitcnt lgkmcnt(0)
	ds_write_b64 v30, v[4:5]
.LBB176_25:
	s_or_b64 exec, exec, s[10:11]
	v_or_b32_e32 v4, 1, v1
	v_cmp_lt_u32_e64 s[10:11], v4, v0
	s_and_saveexec_b64 s[12:13], s[10:11]
	s_cbranch_execz .LBB176_27
; %bb.26:
	v_mul_u32_u24_e32 v4, 33, v4
	v_add_lshl_u32 v4, v4, v0, 3
	ds_read_b64 v[4:5], v4
	s_waitcnt lgkmcnt(0)
	ds_write_b64 v30, v[4:5] offset:8
.LBB176_27:
	s_or_b64 exec, exec, s[12:13]
	v_or_b32_e32 v4, 2, v1
	v_cmp_lt_u32_e64 s[12:13], v4, v0
	s_and_saveexec_b64 s[14:15], s[12:13]
	s_cbranch_execz .LBB176_29
; %bb.28:
	v_mul_u32_u24_e32 v4, 33, v4
	v_add_lshl_u32 v4, v4, v0, 3
	ds_read_b64 v[4:5], v4
	s_waitcnt lgkmcnt(0)
	ds_write_b64 v30, v[4:5] offset:16
.LBB176_29:
	s_or_b64 exec, exec, s[14:15]
	v_or_b32_e32 v4, 3, v1
	v_cmp_lt_u32_e64 s[14:15], v4, v0
	v_mad_u32_u24 v4, v4, 33, v0
	v_lshlrev_b32_e32 v11, 3, v4
	s_and_saveexec_b64 s[16:17], s[14:15]
	s_cbranch_execz .LBB176_31
; %bb.30:
	ds_read_b64 v[4:5], v11
	s_waitcnt lgkmcnt(0)
	ds_write_b64 v30, v[4:5] offset:24
.LBB176_31:
	s_or_b64 exec, exec, s[16:17]
	v_mul_u32_u24_e32 v4, 0x84, v10
	v_add_lshl_u32 v13, v4, v0, 3
	s_waitcnt lgkmcnt(0)
	s_barrier
	v_lshlrev_b32_e32 v12, 3, v1
	ds_read_b64 v[8:9], v13
	ds_read_b128 v[4:7], v12 offset:9088
	v_add_u32_e32 v14, 0xfffffdf0, v11
	ds_read2_b64 v[32:35], v14 offset1:33
	ds_read_b128 v[36:39], v12 offset:9104
	ds_read_b64 v[24:25], v11
	v_pk_mov_b32 v[18:19], 0, 0
	v_add_lshl_u32 v29, v10, v28, 3
	s_waitcnt lgkmcnt(3)
	v_fma_f64 v[4:5], v[8:9], v[4:5], 0
	s_waitcnt lgkmcnt(2)
	v_fmac_f64_e32 v[4:5], v[32:33], v[6:7]
	s_waitcnt lgkmcnt(1)
	v_fmac_f64_e32 v[4:5], v[34:35], v[36:37]
	;; [unrolled: 2-line block ×3, first 2 shown]
	v_cmp_gt_u32_e64 s[20:21], 32, v27
	s_barrier
	ds_write_b64 v29, v[4:5]
	s_waitcnt lgkmcnt(0)
	s_barrier
	s_and_saveexec_b64 s[16:17], s[20:21]
	s_cbranch_execz .LBB176_33
; %bb.32:
	v_lshlrev_b32_e32 v1, 3, v28
	ds_read2_b64 v[4:7], v1 offset1:1
	ds_read2_b64 v[32:35], v1 offset0:2 offset1:3
	ds_read2_b64 v[36:39], v1 offset0:4 offset1:5
	s_waitcnt lgkmcnt(2)
	v_add_f64 v[8:9], v[4:5], v[6:7]
	ds_read2_b64 v[4:7], v1 offset0:6 offset1:7
	s_waitcnt lgkmcnt(2)
	v_add_f64 v[8:9], v[8:9], v[32:33]
	v_add_f64 v[8:9], v[8:9], v[34:35]
	s_waitcnt lgkmcnt(1)
	v_add_f64 v[8:9], v[8:9], v[36:37]
	v_add_f64 v[8:9], v[8:9], v[38:39]
	;; [unrolled: 3-line block ×3, first 2 shown]
.LBB176_33:
	s_or_b64 exec, exec, s[16:17]
	s_lshl_b64 s[24:25], s[26:27], 8
	v_mov_b32_e32 v1, s25
	v_add_co_u32_e32 v4, vcc, s24, v2
	v_addc_co_u32_e32 v5, vcc, v3, v1, vcc
	v_add_co_u32_e32 v2, vcc, 0x100, v4
	v_cndmask_b32_e64 v1, 0, 1, s[40:41]
	s_mov_b64 s[18:19], vcc
	v_cmp_ne_u32_e64 s[16:17], 1, v1
	s_andn2_b64 vcc, exec, s[40:41]
	v_addc_co_u32_e64 v1, s[18:19], 0, v5, s[18:19]
	s_barrier
	s_cbranch_vccnz .LBB176_35
; %bb.34:
	flat_load_dwordx2 v[6:7], v[4:5] offset:256
	v_mul_u32_u24_e32 v3, 33, v10
	s_lshl_b64 s[18:19], s[26:27], 6
	v_add_lshl_u32 v3, v3, v0, 3
	v_mov_b32_e32 v15, s19
	v_add_co_u32_e32 v8, vcc, s18, v4
	v_addc_co_u32_e32 v9, vcc, v5, v15, vcc
	s_mul_i32 s31, s27, 0xc0
	s_waitcnt vmcnt(0) lgkmcnt(0)
	ds_write_b64 v3, v[6:7]
	flat_load_dwordx2 v[6:7], v[8:9] offset:256
	v_add_co_u32_e32 v8, vcc, s18, v8
	v_addc_co_u32_e32 v9, vcc, v9, v15, vcc
	s_waitcnt vmcnt(0) lgkmcnt(0)
	ds_write_b64 v3, v[6:7] offset:2112
	flat_load_dwordx2 v[6:7], v[8:9] offset:256
	v_mov_b32_e32 v8, 0xc0
	v_mad_u64_u32 v[4:5], s[18:19], s26, v8, v[4:5]
	v_add_u32_e32 v5, s31, v5
	s_waitcnt vmcnt(0) lgkmcnt(0)
	ds_write_b64 v3, v[6:7] offset:4224
	flat_load_dwordx2 v[4:5], v[4:5] offset:256
	s_waitcnt vmcnt(0) lgkmcnt(0)
	ds_write_b64 v3, v[4:5] offset:6336
	s_cbranch_execz .LBB176_36
	s_branch .LBB176_45
.LBB176_35:
.LBB176_36:
	v_or_b32_e32 v3, 32, v0
	v_lshlrev_b32_e32 v4, 3, v3
	v_sub_co_u32_e32 v4, vcc, v2, v4
	s_ashr_i32 s31, s30, 31
	v_subbrev_co_u32_e32 v5, vcc, 0, v1, vcc
	s_lshl_b64 s[40:41], s[30:31], 3
	v_mov_b32_e32 v6, s41
	v_add_co_u32_e32 v4, vcc, s40, v4
	v_addc_co_u32_e32 v5, vcc, v5, v6, vcc
	v_add_co_u32_e32 v4, vcc, -8, v4
	v_addc_co_u32_e32 v5, vcc, -1, v5, vcc
	v_cmp_gt_i32_e64 s[18:19], s30, v3
	s_sub_i32 s31, s30, 32
	v_pk_mov_b32 v[6:7], 0, 0
	v_cndmask_b32_e64 v5, v5, v1, s[18:19]
	v_cndmask_b32_e64 v4, v4, v2, s[18:19]
	v_cmp_gt_i32_e32 vcc, s31, v10
	v_pk_mov_b32 v[8:9], v[6:7], v[6:7] op_sel:[0,1]
	s_and_saveexec_b64 s[42:43], vcc
	s_cbranch_execz .LBB176_38
; %bb.37:
	flat_load_dwordx2 v[8:9], v[4:5]
.LBB176_38:
	s_or_b64 exec, exec, s[42:43]
	v_mul_u32_u24_e32 v3, 33, v10
	v_add_lshl_u32 v3, v3, v0, 3
	s_waitcnt vmcnt(0) lgkmcnt(0)
	ds_write_b64 v3, v[8:9]
	v_add_u32_e32 v8, 8, v10
	v_cmp_gt_i32_e32 vcc, s31, v8
	s_and_saveexec_b64 s[42:43], vcc
	s_cbranch_execz .LBB176_40
; %bb.39:
	s_lshl_b64 s[44:45], s[26:27], 6
	v_mov_b32_e32 v7, s45
	v_add_co_u32_e32 v6, vcc, s44, v4
	v_addc_co_u32_e32 v7, vcc, v5, v7, vcc
	flat_load_dwordx2 v[6:7], v[6:7]
.LBB176_40:
	s_or_b64 exec, exec, s[42:43]
	s_waitcnt vmcnt(0) lgkmcnt(0)
	ds_write_b64 v3, v[6:7] offset:2112
	v_add_u32_e32 v6, 16, v10
	v_cmp_gt_i32_e32 vcc, s31, v6
	v_pk_mov_b32 v[6:7], 0, 0
	v_pk_mov_b32 v[8:9], v[6:7], v[6:7] op_sel:[0,1]
	s_and_saveexec_b64 s[42:43], vcc
	s_cbranch_execz .LBB176_42
; %bb.41:
	s_lshl_b64 s[44:45], s[26:27], 7
	v_mov_b32_e32 v9, s45
	v_add_co_u32_e32 v8, vcc, s44, v4
	v_addc_co_u32_e32 v9, vcc, v5, v9, vcc
	flat_load_dwordx2 v[8:9], v[8:9]
.LBB176_42:
	s_or_b64 exec, exec, s[42:43]
	s_waitcnt vmcnt(0) lgkmcnt(0)
	ds_write_b64 v3, v[8:9] offset:4224
	v_add_u32_e32 v8, 24, v10
	v_cmp_gt_i32_e32 vcc, s31, v8
	s_and_saveexec_b64 s[42:43], vcc
	s_cbranch_execz .LBB176_44
; %bb.43:
	v_mov_b32_e32 v6, 0xc0
	v_mad_u64_u32 v[6:7], s[44:45], s26, v6, v[4:5]
	s_mul_i32 s31, s27, 0xc0
	v_add_u32_e32 v7, s31, v7
	flat_load_dwordx2 v[6:7], v[6:7]
.LBB176_44:
	s_or_b64 exec, exec, s[42:43]
	s_waitcnt vmcnt(0) lgkmcnt(0)
	ds_write_b64 v3, v[6:7] offset:6336
	v_lshlrev_b32_e32 v3, 3, v0
	v_add_co_u32_e32 v3, vcc, v4, v3
	v_addc_co_u32_e32 v4, vcc, 0, v5, vcc
	v_mov_b32_e32 v5, s41
	v_subrev_co_u32_e32 v3, vcc, s40, v3
	v_subb_co_u32_e32 v4, vcc, v4, v5, vcc
	v_add_co_u32_e32 v3, vcc, 0x108, v3
	v_addc_co_u32_e32 v4, vcc, 0, v4, vcc
	v_cndmask_b32_e64 v1, v4, v1, s[18:19]
	v_cndmask_b32_e64 v2, v3, v2, s[18:19]
.LBB176_45:
	v_add_u32_e32 v12, 0x2380, v12
	s_lshl_b64 s[18:19], s[26:27], 5
	s_waitcnt lgkmcnt(0)
	s_barrier
	s_and_saveexec_b64 s[40:41], s[8:9]
	s_cbranch_execnz .LBB176_54
; %bb.46:
	s_or_b64 exec, exec, s[40:41]
	s_and_saveexec_b64 s[8:9], s[10:11]
	s_cbranch_execnz .LBB176_55
.LBB176_47:
	s_or_b64 exec, exec, s[8:9]
	s_and_saveexec_b64 s[8:9], s[12:13]
	s_cbranch_execnz .LBB176_56
.LBB176_48:
	s_or_b64 exec, exec, s[8:9]
	s_and_saveexec_b64 s[8:9], s[14:15]
	s_cbranch_execz .LBB176_50
.LBB176_49:
	ds_read_b64 v[4:5], v11
	s_waitcnt lgkmcnt(0)
	ds_write_b64 v30, v[4:5] offset:24
.LBB176_50:
	s_or_b64 exec, exec, s[8:9]
	s_waitcnt lgkmcnt(0)
	s_barrier
	ds_read_b64 v[8:9], v13
	ds_read_b128 v[4:7], v12 offset:256
	ds_read2_b64 v[32:35], v14 offset1:33
	ds_read_b128 v[36:39], v12 offset:272
	ds_read_b64 v[14:15], v11
	v_cmp_eq_u32_e64 s[8:9], 1, v10
	s_waitcnt lgkmcnt(3)
	v_fma_f64 v[4:5], v[8:9], v[4:5], 0
	s_waitcnt lgkmcnt(2)
	v_fmac_f64_e32 v[4:5], v[32:33], v[6:7]
	s_waitcnt lgkmcnt(1)
	v_fmac_f64_e32 v[4:5], v[34:35], v[36:37]
	;; [unrolled: 2-line block ×3, first 2 shown]
	s_barrier
	ds_write_b64 v29, v[4:5]
	s_waitcnt lgkmcnt(0)
	s_barrier
	s_and_saveexec_b64 s[10:11], s[8:9]
	s_cbranch_execz .LBB176_52
; %bb.51:
	v_lshlrev_b32_e32 v3, 3, v28
	ds_read2_b64 v[4:7], v3 offset1:1
	ds_read2_b64 v[32:35], v3 offset0:2 offset1:3
	ds_read2_b64 v[36:39], v3 offset0:4 offset1:5
	s_waitcnt lgkmcnt(2)
	v_add_f64 v[8:9], v[4:5], v[6:7]
	ds_read2_b64 v[4:7], v3 offset0:6 offset1:7
	s_waitcnt lgkmcnt(2)
	v_add_f64 v[8:9], v[8:9], v[32:33]
	v_add_f64 v[8:9], v[8:9], v[34:35]
	s_waitcnt lgkmcnt(1)
	v_add_f64 v[8:9], v[8:9], v[36:37]
	v_add_f64 v[8:9], v[8:9], v[38:39]
	;; [unrolled: 3-line block ×3, first 2 shown]
.LBB176_52:
	s_or_b64 exec, exec, s[10:11]
	s_lshl_b64 s[10:11], s[18:19], 3
	v_mov_b32_e32 v3, s11
	v_subrev_co_u32_e64 v24, s[10:11], s10, v2
	s_and_b64 vcc, exec, s[16:17]
	v_subb_co_u32_e64 v25, s[10:11], v1, v3, s[10:11]
	s_barrier
	s_cbranch_vccnz .LBB176_57
; %bb.53:
	flat_load_dwordx2 v[2:3], v[24:25]
	v_mad_u32_u24 v1, v10, 33, v0
	s_lshl_b64 s[10:11], s[26:27], 6
	v_lshlrev_b32_e32 v14, 3, v1
	v_mov_b32_e32 v6, s11
	v_add_co_u32_e32 v4, vcc, s10, v24
	v_addc_co_u32_e32 v5, vcc, v25, v6, vcc
	s_mul_i32 s12, s27, 0xc0
	v_add_u32_e32 v8, 8, v10
	v_add_u32_e32 v9, 16, v10
	;; [unrolled: 1-line block ×5, first 2 shown]
	s_waitcnt vmcnt(0) lgkmcnt(0)
	ds_write_b64 v14, v[2:3]
	flat_load_dwordx2 v[2:3], v[4:5]
	v_add_co_u32_e32 v4, vcc, s10, v4
	v_addc_co_u32_e32 v5, vcc, v5, v6, vcc
	v_add_u32_e32 v6, 24, v10
	s_waitcnt vmcnt(0) lgkmcnt(0)
	ds_write_b64 v14, v[2:3] offset:2112
	flat_load_dwordx2 v[2:3], v[4:5]
	v_mov_b32_e32 v4, 0xc0
	v_mad_u64_u32 v[4:5], s[10:11], s26, v4, v[24:25]
	v_add_u32_e32 v5, s12, v5
	s_waitcnt vmcnt(0) lgkmcnt(0)
	ds_write_b64 v14, v[2:3] offset:4224
	flat_load_dwordx2 v[2:3], v[4:5]
	s_waitcnt vmcnt(0) lgkmcnt(0)
	ds_write_b64 v14, v[2:3] offset:6336
	s_cbranch_execz .LBB176_58
	s_branch .LBB176_67
.LBB176_54:
	ds_read_b64 v[4:5], v13
	s_waitcnt lgkmcnt(0)
	ds_write_b64 v30, v[4:5]
	s_or_b64 exec, exec, s[40:41]
	s_and_saveexec_b64 s[8:9], s[10:11]
	s_cbranch_execz .LBB176_47
.LBB176_55:
	ds_read_b64 v[4:5], v14
	s_waitcnt lgkmcnt(0)
	ds_write_b64 v30, v[4:5] offset:8
	s_or_b64 exec, exec, s[8:9]
	s_and_saveexec_b64 s[8:9], s[12:13]
	s_cbranch_execz .LBB176_48
.LBB176_56:
	ds_read_b64 v[4:5], v14 offset:264
	s_waitcnt lgkmcnt(0)
	ds_write_b64 v30, v[4:5] offset:16
	s_or_b64 exec, exec, s[8:9]
	s_and_saveexec_b64 s[8:9], s[14:15]
	s_cbranch_execnz .LBB176_49
	s_branch .LBB176_50
.LBB176_57:
                                        ; implicit-def: $vgpr1
                                        ; implicit-def: $vgpr8
                                        ; implicit-def: $vgpr13
                                        ; implicit-def: $vgpr9
                                        ; implicit-def: $vgpr7
                                        ; implicit-def: $vgpr6
                                        ; implicit-def: $vgpr11
.LBB176_58:
	v_or_b32_e32 v1, 32, v0
	v_lshlrev_b32_e32 v2, 3, v1
	v_sub_co_u32_e32 v2, vcc, v24, v2
	s_ashr_i32 s31, s30, 31
	v_subbrev_co_u32_e32 v3, vcc, 0, v25, vcc
	s_lshl_b64 s[12:13], s[30:31], 3
	v_mov_b32_e32 v4, s13
	v_add_co_u32_e32 v2, vcc, s12, v2
	v_addc_co_u32_e32 v3, vcc, v3, v4, vcc
	v_add_co_u32_e32 v2, vcc, -8, v2
	v_addc_co_u32_e32 v3, vcc, -1, v3, vcc
	v_cmp_gt_i32_e64 s[10:11], s30, v1
	v_pk_mov_b32 v[4:5], 0, 0
	v_cndmask_b32_e64 v3, v3, v25, s[10:11]
	v_cndmask_b32_e64 v2, v2, v24, s[10:11]
	v_cmp_gt_i32_e32 vcc, s30, v10
	v_pk_mov_b32 v[6:7], v[4:5], v[4:5] op_sel:[0,1]
	s_and_saveexec_b64 s[14:15], vcc
	s_cbranch_execz .LBB176_60
; %bb.59:
	flat_load_dwordx2 v[6:7], v[2:3]
.LBB176_60:
	s_or_b64 exec, exec, s[14:15]
	v_mad_u32_u24 v1, v10, 33, v0
	v_add_u32_e32 v8, 8, v10
	v_lshlrev_b32_e32 v14, 3, v1
	v_cmp_gt_i32_e32 vcc, s30, v8
	s_waitcnt vmcnt(0) lgkmcnt(0)
	ds_write_b64 v14, v[6:7]
	s_and_saveexec_b64 s[14:15], vcc
	s_cbranch_execz .LBB176_62
; %bb.61:
	s_lshl_b64 s[16:17], s[26:27], 6
	v_mov_b32_e32 v5, s17
	v_add_co_u32_e32 v4, vcc, s16, v2
	v_addc_co_u32_e32 v5, vcc, v3, v5, vcc
	flat_load_dwordx2 v[4:5], v[4:5]
.LBB176_62:
	s_or_b64 exec, exec, s[14:15]
	s_waitcnt vmcnt(0) lgkmcnt(0)
	ds_write_b64 v14, v[4:5] offset:2112
	v_add_u32_e32 v9, 16, v10
	v_pk_mov_b32 v[4:5], 0, 0
	v_cmp_gt_i32_e32 vcc, s30, v9
	v_pk_mov_b32 v[6:7], v[4:5], v[4:5] op_sel:[0,1]
	s_and_saveexec_b64 s[14:15], vcc
	s_cbranch_execz .LBB176_64
; %bb.63:
	s_lshl_b64 s[16:17], s[26:27], 7
	v_mov_b32_e32 v7, s17
	v_add_co_u32_e32 v6, vcc, s16, v2
	v_addc_co_u32_e32 v7, vcc, v3, v7, vcc
	flat_load_dwordx2 v[6:7], v[6:7]
.LBB176_64:
	s_or_b64 exec, exec, s[14:15]
	s_waitcnt vmcnt(0) lgkmcnt(0)
	ds_write_b64 v14, v[6:7] offset:4224
	v_add_u32_e32 v6, 24, v10
	v_cmp_gt_i32_e32 vcc, s30, v6
	s_and_saveexec_b64 s[14:15], vcc
	s_cbranch_execz .LBB176_66
; %bb.65:
	v_mov_b32_e32 v4, 0xc0
	v_mad_u64_u32 v[4:5], s[16:17], s26, v4, v[2:3]
	s_mul_i32 s16, s27, 0xc0
	v_add_u32_e32 v5, s16, v5
	flat_load_dwordx2 v[4:5], v[4:5]
.LBB176_66:
	s_or_b64 exec, exec, s[14:15]
	v_lshlrev_b32_e32 v0, 3, v0
	v_add_co_u32_e32 v0, vcc, v2, v0
	v_addc_co_u32_e32 v2, vcc, 0, v3, vcc
	v_mov_b32_e32 v3, s13
	v_subrev_co_u32_e32 v0, vcc, s12, v0
	v_subb_co_u32_e32 v2, vcc, v2, v3, vcc
	v_add_co_u32_e32 v0, vcc, 0x108, v0
	v_addc_co_u32_e32 v2, vcc, 0, v2, vcc
	v_add_u32_e32 v13, 0x108, v1
	v_add_u32_e32 v7, 0x210, v1
	;; [unrolled: 1-line block ×3, first 2 shown]
	v_cndmask_b32_e64 v25, v2, v25, s[10:11]
	v_cndmask_b32_e64 v24, v0, v24, s[10:11]
	s_waitcnt vmcnt(0) lgkmcnt(0)
	ds_write_b64 v14, v[4:5] offset:6336
.LBB176_67:
	v_lshlrev_b32_e32 v0, 3, v1
	s_waitcnt lgkmcnt(0)
	s_barrier
	v_lshlrev_b32_e32 v1, 3, v10
	v_lshlrev_b32_e32 v2, 3, v13
	;; [unrolled: 1-line block ×3, first 2 shown]
	ds_read_b64 v[32:33], v0
	ds_read_b64 v[34:35], v1 offset:9088
	ds_read_b64 v[36:37], v2
	ds_read_b64 v[38:39], v3 offset:9088
	v_lshlrev_b32_e32 v0, 3, v7
	v_lshlrev_b32_e32 v1, 3, v9
	;; [unrolled: 1-line block ×4, first 2 shown]
	ds_read_b64 v[40:41], v0
	ds_read_b64 v[42:43], v1 offset:9088
	ds_read_b64 v[44:45], v2
	ds_read_b64 v[46:47], v3 offset:9088
	ds_read_b128 v[8:11], v12 offset:256
	ds_read_b128 v[0:3], v12 offset:272
	ds_read2_b64 v[12:15], v30 offset1:1
	ds_read2_b64 v[4:7], v30 offset0:2 offset1:3
	s_waitcnt lgkmcnt(10)
	v_fma_f64 v[30:31], v[32:33], v[34:35], 0
	s_waitcnt lgkmcnt(8)
	v_fmac_f64_e32 v[30:31], v[36:37], v[38:39]
	s_waitcnt lgkmcnt(6)
	v_fmac_f64_e32 v[30:31], v[40:41], v[42:43]
	s_waitcnt lgkmcnt(4)
	v_fmac_f64_e32 v[30:31], v[44:45], v[46:47]
	s_waitcnt lgkmcnt(0)
	s_barrier
	ds_write_b64 v29, v[30:31]
	s_waitcnt lgkmcnt(0)
	s_barrier
	s_and_saveexec_b64 s[10:11], s[8:9]
	s_cbranch_execz .LBB176_69
; %bb.68:
	v_lshlrev_b32_e32 v42, 3, v28
	ds_read2_b64 v[30:33], v42 offset1:1
	ds_read2_b64 v[34:37], v42 offset0:2 offset1:3
	ds_read2_b64 v[38:41], v42 offset0:4 offset1:5
	s_waitcnt lgkmcnt(2)
	v_add_f64 v[18:19], v[18:19], v[30:31]
	v_add_f64 v[18:19], v[18:19], v[32:33]
	ds_read2_b64 v[30:33], v42 offset0:6 offset1:7
	s_waitcnt lgkmcnt(2)
	v_add_f64 v[18:19], v[18:19], v[34:35]
	v_add_f64 v[18:19], v[18:19], v[36:37]
	s_waitcnt lgkmcnt(1)
	v_add_f64 v[18:19], v[18:19], v[38:39]
	v_add_f64 v[18:19], v[18:19], v[40:41]
	;; [unrolled: 3-line block ×3, first 2 shown]
.LBB176_69:
	s_or_b64 exec, exec, s[10:11]
	v_fma_f64 v[8:9], v[12:13], v[8:9], 0
	v_fmac_f64_e32 v[8:9], v[14:15], v[10:11]
	v_fmac_f64_e32 v[8:9], v[4:5], v[0:1]
	v_fmac_f64_e32 v[8:9], v[6:7], v[2:3]
	s_barrier
	ds_write_b64 v29, v[8:9]
	s_waitcnt lgkmcnt(0)
	s_barrier
	s_and_saveexec_b64 s[8:9], s[20:21]
	s_cbranch_execz .LBB176_71
; %bb.70:
	v_lshlrev_b32_e32 v14, 3, v28
	ds_read2_b64 v[0:3], v14 offset1:1
	ds_read2_b64 v[4:7], v14 offset0:2 offset1:3
	ds_read2_b64 v[8:11], v14 offset0:4 offset1:5
	s_waitcnt lgkmcnt(2)
	v_add_f64 v[0:1], v[18:19], v[0:1]
	v_add_f64 v[12:13], v[0:1], v[2:3]
	ds_read2_b64 v[0:3], v14 offset0:6 offset1:7
	s_waitcnt lgkmcnt(2)
	v_add_f64 v[4:5], v[12:13], v[4:5]
	v_add_f64 v[4:5], v[4:5], v[6:7]
	s_waitcnt lgkmcnt(1)
	v_add_f64 v[4:5], v[4:5], v[8:9]
	v_add_f64 v[4:5], v[4:5], v[10:11]
	;; [unrolled: 3-line block ×3, first 2 shown]
.LBB176_71:
	s_or_b64 exec, exec, s[8:9]
	s_load_dwordx2 s[4:5], s[4:5], 0x68
	s_mul_hi_u32 s8, s7, s28
	s_mul_i32 s33, s33, s28
	s_add_i32 s8, s8, s33
	s_mul_i32 s10, s7, s28
	s_mul_i32 s8, s8, s29
	s_mul_hi_u32 s9, s10, s29
	s_add_i32 s9, s9, s8
	s_mul_i32 s8, s10, s29
	s_lshl_b64 s[8:9], s[8:9], 3
	s_waitcnt lgkmcnt(0)
	s_add_u32 s8, s4, s8
	s_mul_i32 s4, s6, s7
	s_addc_u32 s9, s5, s9
	s_ashr_i32 s5, s4, 31
	s_lshl_b64 s[4:5], s[4:5], 3
	s_add_u32 s7, s8, s4
	v_cmp_le_i32_e32 vcc, s30, v26
	s_addc_u32 s20, s9, s5
	s_and_b64 vcc, s[38:39], vcc
	s_cmp_lt_i32 s6, 1
	v_lshlrev_b32_e32 v73, 3, v26
	s_barrier
	s_cbranch_scc1 .LBB176_78
; %bb.72:
	s_mul_i32 s4, s34, s23
	s_mul_hi_u32 s5, s34, s22
	s_add_i32 s4, s5, s4
	s_mul_i32 s5, s35, s22
	s_add_i32 s5, s4, s5
	s_mul_i32 s4, s34, s22
	s_lshl_b64 s[4:5], s[4:5], 3
	v_mov_b32_e32 v0, s5
	v_subrev_co_u32_e64 v74, s[4:5], s4, v20
	v_subb_co_u32_e64 v75, s[4:5], v21, v0, s[4:5]
	v_mov_b32_e32 v0, s37
	v_subrev_co_u32_e64 v1, s[4:5], s36, v24
	v_subb_co_u32_e64 v0, s[4:5], v25, v0, s[4:5]
	v_lshlrev_b32_e32 v3, 2, v72
	v_sub_co_u32_e64 v6, s[4:5], v1, v22
	v_subb_co_u32_e64 v7, s[4:5], v0, v23, s[4:5]
	v_mad_u64_u32 v[0:1], s[4:5], v3, s26, 0
	v_mov_b32_e32 v2, v1
	v_mad_u64_u32 v[2:3], s[4:5], v3, s27, v[2:3]
	v_mov_b32_e32 v1, v2
	v_lshlrev_b64 v[0:1], 3, v[0:1]
	v_add_co_u32_e64 v0, s[4:5], v6, v0
	v_addc_co_u32_e64 v1, s[4:5], v7, v1, s[4:5]
	s_movk_i32 s4, 0xff00
	v_add_co_u32_e64 v0, s[4:5], s4, v0
	v_addc_co_u32_e64 v2, s[4:5], -1, v1, s[4:5]
	s_ashr_i32 s31, s30, 31
	s_lshl_b64 s[4:5], s[30:31], 3
	v_mov_b32_e32 v1, s5
	v_add_co_u32_e64 v3, s[4:5], s4, v0
	v_addc_co_u32_e64 v1, s[4:5], v2, v1, s[4:5]
	v_add_co_u32_e64 v6, s[4:5], -8, v3
	v_addc_co_u32_e64 v3, s[4:5], -1, v1, s[4:5]
	v_add_co_u32_e64 v0, s[4:5], v0, v73
	v_addc_co_u32_e64 v2, s[4:5], 0, v2, s[4:5]
	v_cndmask_b32_e32 v3, v2, v3, vcc
	v_cndmask_b32_e32 v2, v0, v6, vcc
	v_and_b32_e32 v0, 48, v26
	v_and_b32_e32 v4, 15, v26
	v_lshlrev_b32_e32 v6, 3, v0
	s_movk_i32 s8, 0x218
	v_lshrrev_b32_e32 v5, 4, v27
	v_mad_u32_u24 v78, v4, s8, v6
	v_or_b32_e32 v6, 0x78, v73
	s_mul_i32 s31, s27, 0x118
	s_mul_hi_u32 s33, s26, 0x118
	v_mad_u32_u24 v79, v4, s8, v6
	v_lshlrev_b32_e32 v6, 5, v5
	s_movk_i32 s9, 0x860
	v_lshlrev_b32_e32 v5, 3, v5
	s_add_i32 s38, s33, s31
	s_mul_i32 s33, s27, 0x180
	s_mul_hi_u32 s34, s26, 0x180
	v_mad_u32_u24 v80, v4, s8, v6
	v_mad_u32_u24 v82, v72, s9, v73
	;; [unrolled: 1-line block ×3, first 2 shown]
	s_mul_i32 s8, s27, 24
	s_mul_hi_u32 s9, s26, 24
	s_add_i32 s39, s34, s33
	s_mul_i32 s34, s27, 0x190
	s_mul_hi_u32 s35, s26, 0x190
	s_add_i32 s8, s9, s8
	;; [unrolled: 3-line block ×5, first 2 shown]
	s_mul_i32 s36, s27, 0x188
	s_mul_hi_u32 s37, s26, 0x188
	s_lshl_b64 s[10:11], s[26:27], 3
	s_lshl_b64 s[12:13], s[26:27], 4
	;; [unrolled: 1-line block ×4, first 2 shown]
	s_add_i32 s18, s19, s18
	s_mul_i32 s19, s27, 0x110
	s_mul_hi_u32 s30, s26, 0x110
	s_add_i32 s42, s37, s36
	s_mul_i32 s37, s27, 0x108
	s_mul_hi_u32 s43, s26, 0x108
	s_mulk_i32 s27, 0x88
	s_mul_hi_u32 s44, s26, 0x88
	v_mov_b32_e32 v6, 0x2180
	s_add_i32 s19, s30, s19
	s_add_i32 s43, s43, s37
	;; [unrolled: 1-line block ×3, first 2 shown]
	v_mov_b32_e32 v1, 0
	v_add_u32_e32 v76, 0x2180, v73
	v_add_u32_e32 v77, 0x2380, v73
	v_cmp_gt_u32_e64 s[4:5], 64, v27
	v_lshl_add_u32 v81, v72, 5, v6
	s_mul_i32 s21, s26, 24
	s_mul_i32 s28, s26, 0x90
	;; [unrolled: 1-line block ×10, first 2 shown]
	s_mulk_i32 s26, 0x88
	v_or_b32_e32 v84, v0, v4
	s_mov_b32 s27, 0
	v_mov_b32_e32 v85, s11
	v_mov_b32_e32 v86, s13
	;; [unrolled: 1-line block ×15, first 2 shown]
	s_branch .LBB176_74
.LBB176_73:                             ;   in Loop: Header=BB176_74 Depth=1
	s_or_b64 exec, exec, s[18:19]
	v_fmac_f64_e32 v[18:19], v[4:5], v[12:13]
	v_fmac_f64_e32 v[18:19], v[6:7], v[14:15]
	;; [unrolled: 1-line block ×15, first 2 shown]
	v_mov_b32_e32 v0, s15
	s_add_i32 s27, s27, 64
	s_add_i32 s6, s6, -1
	v_add_co_u32_e64 v2, s[8:9], s14, v2
	v_fmac_f64_e32 v[18:19], v[60:61], v[70:71]
	s_cmp_eq_u32 s6, 0
	v_addc_co_u32_e64 v3, s[8:9], v3, v0, s[8:9]
	s_barrier
	s_cbranch_scc1 .LBB176_78
.LBB176_74:                             ; =>This Inner Loop Header: Depth=1
	s_and_saveexec_b64 s[18:19], s[2:3]
	s_cbranch_execz .LBB176_76
; %bb.75:                               ;   in Loop: Header=BB176_74 Depth=1
	s_mul_i32 s8, s27, s23
	s_mul_hi_u32 s9, s27, s22
	s_add_i32 s9, s9, s8
	s_mul_i32 s8, s27, s22
	s_lshl_b64 s[8:9], s[8:9], 3
	v_mov_b32_e32 v0, s9
	v_add_co_u32_e64 v4, s[8:9], s8, v74
	v_addc_co_u32_e64 v5, s[8:9], v75, v0, s[8:9]
	flat_load_dwordx2 v[4:5], v[4:5]
	s_waitcnt vmcnt(0) lgkmcnt(0)
	ds_write_b64 v76, v[4:5]
.LBB176_76:                             ;   in Loop: Header=BB176_74 Depth=1
	s_or_b64 exec, exec, s[18:19]
	v_add_co_u32_e64 v10, s[8:9], s10, v2
	v_addc_co_u32_e64 v11, s[8:9], v3, v85, s[8:9]
	v_add_co_u32_e64 v12, s[8:9], s12, v2
	v_addc_co_u32_e64 v13, s[8:9], v3, v86, s[8:9]
	s_waitcnt lgkmcnt(0)
	s_barrier
	flat_load_dwordx2 v[4:5], v[2:3]
	flat_load_dwordx2 v[6:7], v[10:11]
	flat_load_dwordx2 v[8:9], v[12:13]
	v_add_co_u32_e64 v10, s[8:9], s21, v2
	v_addc_co_u32_e64 v11, s[8:9], v3, v87, s[8:9]
	flat_load_dwordx2 v[10:11], v[10:11]
	ds_read_b64 v[14:15], v77
	ds_read_b64 v[12:13], v81
	v_add_co_u32_e64 v32, s[8:9], s16, v2
	v_addc_co_u32_e64 v33, s[8:9], v3, v88, s[8:9]
	v_add_co_u32_e64 v34, s[8:9], s26, v2
	v_addc_co_u32_e64 v35, s[8:9], v3, v89, s[8:9]
	;; [unrolled: 2-line block ×12, first 2 shown]
	s_waitcnt vmcnt(0) lgkmcnt(0)
	v_mul_f64 v[20:21], v[4:5], v[14:15]
	ds_write_b64 v82, v[20:21]
	v_mul_f64 v[20:21], v[6:7], v[14:15]
	v_mul_f64 v[22:23], v[8:9], v[14:15]
	;; [unrolled: 1-line block ×3, first 2 shown]
	ds_read_b64 v[14:15], v81 offset:8
	ds_write_b64 v82, v[20:21] offset:536
	ds_read_b64 v[20:21], v81 offset:16
	ds_write_b64 v82, v[22:23] offset:1072
	ds_read_b64 v[22:23], v81 offset:24
	ds_write_b64 v82, v[24:25] offset:1608
	s_waitcnt lgkmcnt(0)
	s_barrier
	ds_read2_b64 v[64:67], v80 offset1:1
	ds_read2_b64 v[68:71], v80 offset0:2 offset1:3
	s_waitcnt lgkmcnt(0)
	s_barrier
	flat_load_dwordx2 v[30:31], v[32:33]
	flat_load_dwordx2 v[26:27], v[34:35]
	;; [unrolled: 1-line block ×4, first 2 shown]
	ds_read_b64 v[34:35], v77
	ds_read_b64 v[32:33], v81 offset:128
	v_add_f64 v[64:65], v[64:65], 0
	v_add_f64 v[64:65], v[64:65], v[66:67]
	;; [unrolled: 1-line block ×3, first 2 shown]
	s_waitcnt vmcnt(0) lgkmcnt(0)
	v_mul_f64 v[36:37], v[30:31], v[34:35]
	v_mul_f64 v[38:39], v[26:27], v[34:35]
	ds_write_b64 v82, v[36:37]
	v_mul_f64 v[40:41], v[24:25], v[34:35]
	v_mul_f64 v[42:43], v[28:29], v[34:35]
	ds_read_b64 v[34:35], v81 offset:136
	ds_write_b64 v82, v[38:39] offset:536
	ds_read_b64 v[36:37], v81 offset:144
	ds_write_b64 v82, v[40:41] offset:1072
	;; [unrolled: 2-line block ×3, first 2 shown]
	s_waitcnt lgkmcnt(0)
	s_barrier
	ds_read2_b64 v[100:103], v80 offset1:1
	ds_read2_b64 v[104:107], v80 offset0:2 offset1:3
	s_waitcnt lgkmcnt(0)
	s_barrier
	flat_load_dwordx2 v[46:47], v[48:49]
	flat_load_dwordx2 v[42:43], v[50:51]
	;; [unrolled: 1-line block ×4, first 2 shown]
	ds_read_b64 v[50:51], v77
	ds_read_b64 v[48:49], v81 offset:256
	s_waitcnt vmcnt(0) lgkmcnt(0)
	v_mul_f64 v[52:53], v[46:47], v[50:51]
	v_mul_f64 v[54:55], v[42:43], v[50:51]
	ds_write_b64 v82, v[52:53]
	v_mul_f64 v[56:57], v[40:41], v[50:51]
	v_mul_f64 v[58:59], v[44:45], v[50:51]
	ds_read_b64 v[50:51], v81 offset:264
	ds_write_b64 v82, v[54:55] offset:536
	ds_read_b64 v[52:53], v81 offset:272
	ds_write_b64 v82, v[56:57] offset:1072
	;; [unrolled: 2-line block ×3, first 2 shown]
	s_waitcnt lgkmcnt(0)
	s_barrier
	ds_read2_b64 v[108:111], v80 offset1:1
	ds_read2_b64 v[112:115], v80 offset0:2 offset1:3
	s_waitcnt lgkmcnt(0)
	s_barrier
	flat_load_dwordx2 v[62:63], v[116:117]
	flat_load_dwordx2 v[58:59], v[118:119]
	flat_load_dwordx2 v[56:57], v[120:121]
	flat_load_dwordx2 v[60:61], v[122:123]
	v_add_f64 v[116:117], v[64:65], v[70:71]
	v_add_f64 v[64:65], v[100:101], 0
	;; [unrolled: 1-line block ×5, first 2 shown]
	ds_read_b64 v[66:67], v77
	ds_read_b64 v[64:65], v81 offset:384
	v_add_f64 v[68:69], v[108:109], 0
	v_add_f64 v[68:69], v[68:69], v[110:111]
	;; [unrolled: 1-line block ×4, first 2 shown]
	s_waitcnt vmcnt(0) lgkmcnt(0)
	v_mul_f64 v[68:69], v[62:63], v[66:67]
	v_mul_f64 v[70:71], v[58:59], v[66:67]
	ds_write_b64 v82, v[68:69]
	v_mul_f64 v[100:101], v[56:57], v[66:67]
	v_mul_f64 v[102:103], v[60:61], v[66:67]
	ds_read_b64 v[66:67], v81 offset:392
	ds_write_b64 v82, v[70:71] offset:536
	ds_read_b64 v[68:69], v81 offset:400
	ds_write_b64 v82, v[100:101] offset:1072
	;; [unrolled: 2-line block ×3, first 2 shown]
	s_waitcnt lgkmcnt(0)
	s_barrier
	ds_read2_b64 v[100:103], v80 offset1:1
	ds_read2_b64 v[104:107], v80 offset0:2 offset1:3
	s_waitcnt lgkmcnt(0)
	s_barrier
	v_add_f64 v[100:101], v[100:101], 0
	v_add_f64 v[100:101], v[100:101], v[102:103]
	;; [unrolled: 1-line block ×4, first 2 shown]
	ds_write2_b64 v83, v[116:117], v[118:119] offset1:16
	ds_write2_b64 v83, v[108:109], v[100:101] offset0:32 offset1:48
	s_waitcnt lgkmcnt(0)
	s_barrier
	s_and_saveexec_b64 s[18:19], s[4:5]
	s_cbranch_execz .LBB176_73
; %bb.77:                               ;   in Loop: Header=BB176_74 Depth=1
	ds_read2_b64 v[100:103], v78 offset1:1
	ds_read2_b64 v[104:107], v78 offset0:2 offset1:3
	ds_read2_b64 v[108:111], v78 offset0:4 offset1:5
	;; [unrolled: 1-line block ×3, first 2 shown]
	v_add_u32_e32 v0, s27, v84
	s_waitcnt lgkmcnt(3)
	v_add_f64 v[100:101], v[100:101], v[102:103]
	s_waitcnt lgkmcnt(2)
	v_add_f64 v[100:101], v[100:101], v[104:105]
	v_add_f64 v[100:101], v[100:101], v[106:107]
	s_waitcnt lgkmcnt(1)
	v_add_f64 v[104:105], v[100:101], v[108:109]
	ds_read2_b64 v[100:103], v78 offset0:8 offset1:9
	v_add_f64 v[104:105], v[104:105], v[110:111]
	s_waitcnt lgkmcnt(1)
	v_add_f64 v[108:109], v[104:105], v[112:113]
	ds_read2_b64 v[104:107], v78 offset0:10 offset1:11
	v_add_f64 v[108:109], v[108:109], v[114:115]
	s_waitcnt lgkmcnt(1)
	v_add_f64 v[100:101], v[108:109], v[100:101]
	v_add_f64 v[108:109], v[100:101], v[102:103]
	ds_read2_b64 v[100:103], v78 offset0:12 offset1:13
	s_waitcnt lgkmcnt(1)
	v_add_f64 v[104:105], v[108:109], v[104:105]
	ds_read_b64 v[108:109], v78 offset:112
	ds_read_b64 v[110:111], v79
	v_add_f64 v[104:105], v[104:105], v[106:107]
	s_waitcnt lgkmcnt(2)
	v_add_f64 v[100:101], v[104:105], v[100:101]
	v_add_f64 v[100:101], v[100:101], v[102:103]
	v_lshlrev_b64 v[102:103], 3, v[0:1]
	s_waitcnt lgkmcnt(1)
	v_add_f64 v[100:101], v[100:101], v[108:109]
	v_mov_b32_e32 v0, s20
	v_add_co_u32_e64 v102, s[8:9], s7, v102
	s_waitcnt lgkmcnt(0)
	v_add_f64 v[100:101], v[100:101], v[110:111]
	v_addc_co_u32_e64 v103, s[8:9], v0, v103, s[8:9]
	global_store_dwordx2 v[102:103], v[100:101], off
	s_branch .LBB176_73
.LBB176_78:
	s_movk_i32 s2, 0x218
	s_or_b64 s[0:1], s[0:1], vcc
	v_mad_u32_u24 v0, v72, s2, v73
	s_xor_b64 s[0:1], s[0:1], -1
	ds_write_b64 v0, v[18:19]
	s_waitcnt lgkmcnt(0)
	s_barrier
	s_and_saveexec_b64 s[2:3], s[0:1]
	s_cbranch_execz .LBB176_80
; %bb.79:
	ds_read2_b64 v[0:3], v73 offset1:67
	ds_read2_b64 v[4:7], v73 offset0:134 offset1:201
	v_lshlrev_b64 v[8:9], 3, v[16:17]
	v_mov_b32_e32 v10, s20
	s_waitcnt lgkmcnt(1)
	v_add_f64 v[0:1], v[0:1], v[2:3]
	s_waitcnt lgkmcnt(0)
	v_add_f64 v[0:1], v[0:1], v[4:5]
	v_add_co_u32_e32 v2, vcc, s7, v8
	v_add_f64 v[0:1], v[0:1], v[6:7]
	v_addc_co_u32_e32 v3, vcc, v10, v9, vcc
	global_store_dwordx2 v[2:3], v[0:1], off
.LBB176_80:
	s_endpgm
	.section	.rodata,"a",@progbits
	.p2align	6, 0x0
	.amdhsa_kernel _ZL26rocblas_hemvn_kernel_lowerILb0ELi64ELi4ELi33ELi32ELi16EldPKPKdPdEviT6_lT7_lT5_lS6_lS7_lS5_lT8_i
		.amdhsa_group_segment_fixed_size 9600
		.amdhsa_private_segment_fixed_size 0
		.amdhsa_kernarg_size 376
		.amdhsa_user_sgpr_count 6
		.amdhsa_user_sgpr_private_segment_buffer 1
		.amdhsa_user_sgpr_dispatch_ptr 0
		.amdhsa_user_sgpr_queue_ptr 0
		.amdhsa_user_sgpr_kernarg_segment_ptr 1
		.amdhsa_user_sgpr_dispatch_id 0
		.amdhsa_user_sgpr_flat_scratch_init 0
		.amdhsa_user_sgpr_kernarg_preload_length 0
		.amdhsa_user_sgpr_kernarg_preload_offset 0
		.amdhsa_user_sgpr_private_segment_size 0
		.amdhsa_uses_dynamic_stack 0
		.amdhsa_system_sgpr_private_segment_wavefront_offset 0
		.amdhsa_system_sgpr_workgroup_id_x 1
		.amdhsa_system_sgpr_workgroup_id_y 0
		.amdhsa_system_sgpr_workgroup_id_z 1
		.amdhsa_system_sgpr_workgroup_info 0
		.amdhsa_system_vgpr_workitem_id 1
		.amdhsa_next_free_vgpr 124
		.amdhsa_next_free_sgpr 46
		.amdhsa_accum_offset 124
		.amdhsa_reserve_vcc 1
		.amdhsa_reserve_flat_scratch 0
		.amdhsa_float_round_mode_32 0
		.amdhsa_float_round_mode_16_64 0
		.amdhsa_float_denorm_mode_32 3
		.amdhsa_float_denorm_mode_16_64 3
		.amdhsa_dx10_clamp 1
		.amdhsa_ieee_mode 1
		.amdhsa_fp16_overflow 0
		.amdhsa_tg_split 0
		.amdhsa_exception_fp_ieee_invalid_op 0
		.amdhsa_exception_fp_denorm_src 0
		.amdhsa_exception_fp_ieee_div_zero 0
		.amdhsa_exception_fp_ieee_overflow 0
		.amdhsa_exception_fp_ieee_underflow 0
		.amdhsa_exception_fp_ieee_inexact 0
		.amdhsa_exception_int_div_zero 0
	.end_amdhsa_kernel
	.section	.text._ZL26rocblas_hemvn_kernel_lowerILb0ELi64ELi4ELi33ELi32ELi16EldPKPKdPdEviT6_lT7_lT5_lS6_lS7_lS5_lT8_i,"axG",@progbits,_ZL26rocblas_hemvn_kernel_lowerILb0ELi64ELi4ELi33ELi32ELi16EldPKPKdPdEviT6_lT7_lT5_lS6_lS7_lS5_lT8_i,comdat
.Lfunc_end176:
	.size	_ZL26rocblas_hemvn_kernel_lowerILb0ELi64ELi4ELi33ELi32ELi16EldPKPKdPdEviT6_lT7_lT5_lS6_lS7_lS5_lT8_i, .Lfunc_end176-_ZL26rocblas_hemvn_kernel_lowerILb0ELi64ELi4ELi33ELi32ELi16EldPKPKdPdEviT6_lT7_lT5_lS6_lS7_lS5_lT8_i
                                        ; -- End function
	.section	.AMDGPU.csdata,"",@progbits
; Kernel info:
; codeLenInByte = 6364
; NumSgprs: 50
; NumVgprs: 124
; NumAgprs: 0
; TotalNumVgprs: 124
; ScratchSize: 0
; MemoryBound: 0
; FloatMode: 240
; IeeeMode: 1
; LDSByteSize: 9600 bytes/workgroup (compile time only)
; SGPRBlocks: 6
; VGPRBlocks: 15
; NumSGPRsForWavesPerEU: 50
; NumVGPRsForWavesPerEU: 124
; AccumOffset: 124
; Occupancy: 4
; WaveLimiterHint : 1
; COMPUTE_PGM_RSRC2:SCRATCH_EN: 0
; COMPUTE_PGM_RSRC2:USER_SGPR: 6
; COMPUTE_PGM_RSRC2:TRAP_HANDLER: 0
; COMPUTE_PGM_RSRC2:TGID_X_EN: 1
; COMPUTE_PGM_RSRC2:TGID_Y_EN: 0
; COMPUTE_PGM_RSRC2:TGID_Z_EN: 1
; COMPUTE_PGM_RSRC2:TIDIG_COMP_CNT: 1
; COMPUTE_PGM_RSRC3_GFX90A:ACCUM_OFFSET: 30
; COMPUTE_PGM_RSRC3_GFX90A:TG_SPLIT: 0
	.section	.text._ZL36rocblas_hemvn_kernel_lower_block_sumILi64EldPKPddEviT1_lS3_lT2_lT0_lPT3_i,"axG",@progbits,_ZL36rocblas_hemvn_kernel_lower_block_sumILi64EldPKPddEviT1_lS3_lT2_lT0_lPT3_i,comdat
	.globl	_ZL36rocblas_hemvn_kernel_lower_block_sumILi64EldPKPddEviT1_lS3_lT2_lT0_lPT3_i ; -- Begin function _ZL36rocblas_hemvn_kernel_lower_block_sumILi64EldPKPddEviT1_lS3_lT2_lT0_lPT3_i
	.p2align	8
	.type	_ZL36rocblas_hemvn_kernel_lower_block_sumILi64EldPKPddEviT1_lS3_lT2_lT0_lPT3_i,@function
_ZL36rocblas_hemvn_kernel_lower_block_sumILi64EldPKPddEviT1_lS3_lT2_lT0_lPT3_i: ; @_ZL36rocblas_hemvn_kernel_lower_block_sumILi64EldPKPddEviT1_lS3_lT2_lT0_lPT3_i
; %bb.0:
	s_load_dwordx2 s[8:9], s[4:5], 0x8
	s_load_dwordx2 s[10:11], s[4:5], 0x18
	s_waitcnt lgkmcnt(0)
	v_cmp_eq_f64_e64 s[0:1], s[8:9], 0
	v_cmp_eq_f64_e64 s[2:3], s[10:11], 1.0
	s_and_b64 s[0:1], s[0:1], s[2:3]
	s_and_b64 vcc, exec, s[0:1]
	s_cbranch_vccnz .LBB177_19
; %bb.1:
	s_load_dwordx2 s[12:13], s[4:5], 0x28
	s_load_dword s14, s[4:5], 0x0
	s_load_dwordx4 s[0:3], s[4:5], 0x30
	s_mov_b32 s16, s7
	s_mov_b32 s17, 0
	s_lshl_b64 s[18:19], s[16:17], 3
	s_waitcnt lgkmcnt(0)
	s_add_u32 s12, s12, s18
	s_addc_u32 s13, s13, s19
	s_load_dwordx2 s[18:19], s[12:13], 0x0
	s_lshl_b64 s[0:1], s[0:1], 3
	v_lshl_or_b32 v6, s6, 6, v0
	v_cmp_neq_f64_e64 s[20:21], s[8:9], 0
	s_mov_b64 s[12:13], 0
	s_waitcnt lgkmcnt(0)
	s_add_u32 s7, s18, s0
	s_addc_u32 s17, s19, s1
	s_and_b64 vcc, exec, s[20:21]
	v_cmp_gt_i32_e64 s[0:1], s14, v6
	s_cbranch_vccnz .LBB177_6
; %bb.2:
	s_mov_b64 s[18:19], 0
                                        ; implicit-def: $vgpr2_vgpr3
                                        ; implicit-def: $vgpr0_vgpr1
	s_and_saveexec_b64 s[20:21], s[0:1]
	s_cbranch_execz .LBB177_7
; %bb.3:
	v_ashrrev_i32_e32 v0, 31, v6
	v_cmp_eq_f64_e64 s[0:1], s[10:11], 0
	v_mul_lo_u32 v4, v6, s3
	v_mul_lo_u32 v5, v0, s2
	v_mad_u64_u32 v[0:1], s[12:13], v6, s2, 0
	v_pk_mov_b32 v[2:3], 0, 0
	v_add3_u32 v1, v1, v4, v5
	s_and_b64 vcc, exec, s[0:1]
	s_cbranch_vccnz .LBB177_5
; %bb.4:
	v_lshlrev_b64 v[2:3], 3, v[0:1]
	v_mov_b32_e32 v4, s17
	v_add_co_u32_e32 v2, vcc, s7, v2
	v_addc_co_u32_e32 v3, vcc, v4, v3, vcc
	global_load_dwordx2 v[2:3], v[2:3], off
	s_waitcnt vmcnt(0)
	v_mul_f64 v[2:3], v[2:3], s[10:11]
.LBB177_5:
	s_mov_b64 s[12:13], exec
	s_or_b64 exec, exec, s[20:21]
	s_and_b64 vcc, exec, s[18:19]
	s_cbranch_vccnz .LBB177_8
	s_branch .LBB177_17
.LBB177_6:
                                        ; implicit-def: $vgpr2_vgpr3
                                        ; implicit-def: $vgpr0_vgpr1
	s_cbranch_execnz .LBB177_8
	s_branch .LBB177_17
.LBB177_7:
	s_or_b64 exec, exec, s[20:21]
	s_and_b64 vcc, exec, s[18:19]
	s_cbranch_vccz .LBB177_17
.LBB177_8:
	v_cmp_gt_i32_e32 vcc, s14, v6
                                        ; implicit-def: $vgpr2_vgpr3
                                        ; implicit-def: $vgpr0_vgpr1
	s_and_saveexec_b64 s[0:1], vcc
	s_cbranch_execz .LBB177_16
; %bb.9:
	s_load_dword s18, s[4:5], 0x58
	v_pk_mov_b32 v[4:5], 0, 0
	s_waitcnt lgkmcnt(0)
	s_cmp_ge_i32 s6, s18
	s_cbranch_scc1 .LBB177_12
; %bb.10:
	s_ashr_i32 s15, s14, 31
	s_mul_i32 s19, s6, s14
	s_load_dwordx2 s[4:5], s[4:5], 0x48
	v_add_u32_e32 v0, s19, v6
	s_mul_hi_u32 s19, s14, s16
	s_mul_i32 s20, s15, s16
	s_add_i32 s19, s19, s20
	s_mul_i32 s16, s14, s16
	s_mul_i32 s19, s19, s18
	s_mul_hi_u32 s20, s16, s18
	s_add_i32 s21, s20, s19
	s_mul_i32 s20, s16, s18
	s_lshl_b64 s[20:21], s[20:21], 3
	v_ashrrev_i32_e32 v1, 31, v0
	s_waitcnt lgkmcnt(0)
	s_add_u32 s4, s4, s20
	v_lshlrev_b64 v[0:1], 3, v[0:1]
	s_addc_u32 s5, s5, s21
	v_mov_b32_e32 v2, s5
	v_add_co_u32_e32 v0, vcc, s4, v0
	s_lshl_b64 s[4:5], s[14:15], 3
	v_addc_co_u32_e32 v1, vcc, v2, v1, vcc
	v_pk_mov_b32 v[4:5], 0, 0
	v_mov_b32_e32 v2, s5
.LBB177_11:                             ; =>This Inner Loop Header: Depth=1
	global_load_dwordx2 v[8:9], v[0:1], off
	s_add_i32 s6, s6, 1
	v_add_co_u32_e32 v0, vcc, s4, v0
	v_addc_co_u32_e32 v1, vcc, v1, v2, vcc
	s_cmp_ge_i32 s6, s18
	s_waitcnt vmcnt(0)
	v_add_f64 v[4:5], v[4:5], v[8:9]
	s_cbranch_scc0 .LBB177_11
.LBB177_12:
	v_cmp_eq_f64_e64 s[14:15], s[10:11], 0
	v_ashrrev_i32_e32 v0, 31, v6
	s_mov_b64 s[4:5], 0
	s_and_b64 vcc, exec, s[14:15]
	v_mul_lo_u32 v7, v6, s3
	v_mul_lo_u32 v8, v0, s2
	s_cbranch_vccz .LBB177_20
; %bb.13:
	v_mad_u64_u32 v[0:1], s[14:15], v6, s2, 0
	v_mul_f64 v[2:3], v[4:5], s[8:9]
	v_add3_u32 v1, v1, v7, v8
	s_andn2_b64 vcc, exec, s[4:5]
	s_cbranch_vccnz .LBB177_15
.LBB177_14:
	v_mad_u64_u32 v[0:1], s[2:3], v6, s2, 0
	v_add3_u32 v1, v1, v7, v8
	v_lshlrev_b64 v[2:3], 3, v[0:1]
	v_mov_b32_e32 v6, s17
	v_add_co_u32_e32 v2, vcc, s7, v2
	v_addc_co_u32_e32 v3, vcc, v6, v3, vcc
	global_load_dwordx2 v[2:3], v[2:3], off
	s_waitcnt vmcnt(0)
	v_mul_f64 v[2:3], v[2:3], s[10:11]
	v_fmac_f64_e32 v[2:3], s[8:9], v[4:5]
.LBB177_15:
	s_or_b64 s[12:13], s[12:13], exec
.LBB177_16:
	s_or_b64 exec, exec, s[0:1]
.LBB177_17:
	s_and_saveexec_b64 s[0:1], s[12:13]
	s_cbranch_execz .LBB177_19
; %bb.18:
	v_lshlrev_b64 v[0:1], 3, v[0:1]
	v_mov_b32_e32 v4, s17
	v_add_co_u32_e32 v0, vcc, s7, v0
	v_addc_co_u32_e32 v1, vcc, v4, v1, vcc
	global_store_dwordx2 v[0:1], v[2:3], off
.LBB177_19:
	s_endpgm
.LBB177_20:
                                        ; implicit-def: $vgpr2_vgpr3
                                        ; implicit-def: $vgpr0_vgpr1
	s_branch .LBB177_14
	.section	.rodata,"a",@progbits
	.p2align	6, 0x0
	.amdhsa_kernel _ZL36rocblas_hemvn_kernel_lower_block_sumILi64EldPKPddEviT1_lS3_lT2_lT0_lPT3_i
		.amdhsa_group_segment_fixed_size 0
		.amdhsa_private_segment_fixed_size 0
		.amdhsa_kernarg_size 344
		.amdhsa_user_sgpr_count 6
		.amdhsa_user_sgpr_private_segment_buffer 1
		.amdhsa_user_sgpr_dispatch_ptr 0
		.amdhsa_user_sgpr_queue_ptr 0
		.amdhsa_user_sgpr_kernarg_segment_ptr 1
		.amdhsa_user_sgpr_dispatch_id 0
		.amdhsa_user_sgpr_flat_scratch_init 0
		.amdhsa_user_sgpr_kernarg_preload_length 0
		.amdhsa_user_sgpr_kernarg_preload_offset 0
		.amdhsa_user_sgpr_private_segment_size 0
		.amdhsa_uses_dynamic_stack 0
		.amdhsa_system_sgpr_private_segment_wavefront_offset 0
		.amdhsa_system_sgpr_workgroup_id_x 1
		.amdhsa_system_sgpr_workgroup_id_y 0
		.amdhsa_system_sgpr_workgroup_id_z 1
		.amdhsa_system_sgpr_workgroup_info 0
		.amdhsa_system_vgpr_workitem_id 0
		.amdhsa_next_free_vgpr 10
		.amdhsa_next_free_sgpr 22
		.amdhsa_accum_offset 12
		.amdhsa_reserve_vcc 1
		.amdhsa_reserve_flat_scratch 0
		.amdhsa_float_round_mode_32 0
		.amdhsa_float_round_mode_16_64 0
		.amdhsa_float_denorm_mode_32 3
		.amdhsa_float_denorm_mode_16_64 3
		.amdhsa_dx10_clamp 1
		.amdhsa_ieee_mode 1
		.amdhsa_fp16_overflow 0
		.amdhsa_tg_split 0
		.amdhsa_exception_fp_ieee_invalid_op 0
		.amdhsa_exception_fp_denorm_src 0
		.amdhsa_exception_fp_ieee_div_zero 0
		.amdhsa_exception_fp_ieee_overflow 0
		.amdhsa_exception_fp_ieee_underflow 0
		.amdhsa_exception_fp_ieee_inexact 0
		.amdhsa_exception_int_div_zero 0
	.end_amdhsa_kernel
	.section	.text._ZL36rocblas_hemvn_kernel_lower_block_sumILi64EldPKPddEviT1_lS3_lT2_lT0_lPT3_i,"axG",@progbits,_ZL36rocblas_hemvn_kernel_lower_block_sumILi64EldPKPddEviT1_lS3_lT2_lT0_lPT3_i,comdat
.Lfunc_end177:
	.size	_ZL36rocblas_hemvn_kernel_lower_block_sumILi64EldPKPddEviT1_lS3_lT2_lT0_lPT3_i, .Lfunc_end177-_ZL36rocblas_hemvn_kernel_lower_block_sumILi64EldPKPddEviT1_lS3_lT2_lT0_lPT3_i
                                        ; -- End function
	.section	.AMDGPU.csdata,"",@progbits
; Kernel info:
; codeLenInByte = 680
; NumSgprs: 26
; NumVgprs: 10
; NumAgprs: 0
; TotalNumVgprs: 10
; ScratchSize: 0
; MemoryBound: 0
; FloatMode: 240
; IeeeMode: 1
; LDSByteSize: 0 bytes/workgroup (compile time only)
; SGPRBlocks: 3
; VGPRBlocks: 1
; NumSGPRsForWavesPerEU: 26
; NumVGPRsForWavesPerEU: 10
; AccumOffset: 12
; Occupancy: 8
; WaveLimiterHint : 1
; COMPUTE_PGM_RSRC2:SCRATCH_EN: 0
; COMPUTE_PGM_RSRC2:USER_SGPR: 6
; COMPUTE_PGM_RSRC2:TRAP_HANDLER: 0
; COMPUTE_PGM_RSRC2:TGID_X_EN: 1
; COMPUTE_PGM_RSRC2:TGID_Y_EN: 0
; COMPUTE_PGM_RSRC2:TGID_Z_EN: 1
; COMPUTE_PGM_RSRC2:TIDIG_COMP_CNT: 0
; COMPUTE_PGM_RSRC3_GFX90A:ACCUM_OFFSET: 2
; COMPUTE_PGM_RSRC3_GFX90A:TG_SPLIT: 0
	.section	.text._ZL26rocblas_hemvn_kernel_lowerILb0ELi64ELi4ELi33ELi32ELi16EidPKPKdPdEviT6_lT7_lT5_lS6_lS7_lS5_lT8_i,"axG",@progbits,_ZL26rocblas_hemvn_kernel_lowerILb0ELi64ELi4ELi33ELi32ELi16EidPKPKdPdEviT6_lT7_lT5_lS6_lS7_lS5_lT8_i,comdat
	.globl	_ZL26rocblas_hemvn_kernel_lowerILb0ELi64ELi4ELi33ELi32ELi16EidPKPKdPdEviT6_lT7_lT5_lS6_lS7_lS5_lT8_i ; -- Begin function _ZL26rocblas_hemvn_kernel_lowerILb0ELi64ELi4ELi33ELi32ELi16EidPKPKdPdEviT6_lT7_lT5_lS6_lS7_lS5_lT8_i
	.p2align	8
	.type	_ZL26rocblas_hemvn_kernel_lowerILb0ELi64ELi4ELi33ELi32ELi16EidPKPKdPdEviT6_lT7_lT5_lS6_lS7_lS5_lT8_i,@function
_ZL26rocblas_hemvn_kernel_lowerILb0ELi64ELi4ELi33ELi32ELi16EidPKPKdPdEviT6_lT7_lT5_lS6_lS7_lS5_lT8_i: ; @_ZL26rocblas_hemvn_kernel_lowerILb0ELi64ELi4ELi33ELi32ELi16EidPKPKdPdEviT6_lT7_lT5_lS6_lS7_lS5_lT8_i
; %bb.0:
	s_load_dwordx2 s[0:1], s[4:5], 0x84
	s_add_u32 s2, s4, 0x78
	s_mov_b32 s22, s7
	s_addc_u32 s3, s5, 0
	s_waitcnt lgkmcnt(0)
	s_lshr_b32 s7, s0, 16
	s_and_b32 s0, s0, 0xffff
	s_and_b32 s1, s1, 0xffff
	s_mul_i32 s0, s7, s0
	s_mul_i32 s0, s0, s1
	s_cmpk_lg_i32 s0, 0x100
	s_cbranch_scc1 .LBB178_80
; %bb.1:
	s_load_dwordx2 s[0:1], s[4:5], 0x8
	s_load_dwordx2 s[10:11], s[4:5], 0x58
	s_waitcnt lgkmcnt(0)
	v_cmp_eq_f64_e64 s[8:9], s[0:1], 0
	v_cmp_eq_f64_e64 s[10:11], s[10:11], 1.0
	s_and_b64 s[10:11], s[8:9], s[10:11]
	s_and_b64 vcc, exec, s[10:11]
	s_cbranch_vccnz .LBB178_80
; %bb.2:
	s_mov_b64 s[10:11], 0
	v_cmp_neq_f64_e64 s[12:13], s[0:1], 0
	s_and_b64 vcc, exec, s[8:9]
	s_mov_b64 s[8:9], 0
	s_cbranch_vccnz .LBB178_4
; %bb.3:
	s_load_dwordx4 s[16:19], s[4:5], 0x18
	s_mov_b32 s23, 0
	s_lshl_b64 s[0:1], s[22:23], 3
	s_waitcnt lgkmcnt(0)
	s_add_u32 s0, s16, s0
	s_addc_u32 s1, s17, s1
	s_load_dwordx2 s[0:1], s[0:1], 0x0
	s_lshl_b64 s[8:9], s[18:19], 3
	s_waitcnt lgkmcnt(0)
	s_add_u32 s8, s0, s8
	s_addc_u32 s9, s1, s9
.LBB178_4:
	v_cndmask_b32_e64 v1, 0, 1, s[12:13]
	v_cmp_ne_u32_e64 s[0:1], 1, v1
	s_andn2_b64 vcc, exec, s[12:13]
	s_cbranch_vccnz .LBB178_6
; %bb.5:
	s_load_dwordx4 s[12:15], s[4:5], 0x38
	s_mov_b32 s23, 0
	s_lshl_b64 s[10:11], s[22:23], 3
	s_waitcnt lgkmcnt(0)
	s_add_u32 s10, s12, s10
	s_addc_u32 s11, s13, s11
	s_load_dwordx2 s[10:11], s[10:11], 0x0
	s_lshl_b64 s[12:13], s[14:15], 3
	s_waitcnt lgkmcnt(0)
	s_add_u32 s10, s10, s12
	s_addc_u32 s11, s11, s13
.LBB178_6:
	s_and_b64 vcc, exec, s[0:1]
	s_cbranch_vccnz .LBB178_80
; %bb.7:
	s_load_dword s33, s[2:3], 0x0
	s_load_dword s23, s[4:5], 0x0
	;; [unrolled: 1-line block ×3, first 2 shown]
	v_and_b32_e32 v26, 0x3ff, v0
	s_lshl_b32 s28, s6, 6
	v_add_u32_e32 v16, s28, v26
	s_waitcnt lgkmcnt(0)
	s_ashr_i32 s42, s23, 31
	s_lshr_b32 s1, s42, 26
	v_bfe_u32 v17, v0, 10, 10
	s_add_i32 s1, s23, s1
	v_mul_lo_u32 v0, v16, s7
	s_andn2_b32 s1, s1, 63
	v_ashrrev_i32_e32 v1, 31, v0
	s_add_i32 s0, s33, -1
	s_sub_i32 s1, s23, s1
	v_lshlrev_b64 v[0:1], 3, v[0:1]
	s_cmp_eq_u32 s6, s0
	v_mov_b32_e32 v2, s11
	v_add_co_u32_e32 v20, vcc, s10, v0
	s_cselect_b32 s26, s1, 0
	v_addc_co_u32_e32 v21, vcc, v2, v1, vcc
	v_cmp_ne_u32_e64 s[0:1], 0, v17
	v_cmp_eq_u32_e64 s[2:3], 0, v17
	s_and_saveexec_b64 s[10:11], s[2:3]
	s_cbranch_execz .LBB178_11
; %bb.8:
	s_cmp_eq_u32 s26, 0
	s_cselect_b64 s[12:13], -1, 0
	v_cmp_gt_i32_e32 vcc, s26, v26
	s_or_b64 s[14:15], s[12:13], vcc
	v_pk_mov_b32 v[0:1], 0, 0
	s_and_saveexec_b64 s[12:13], s[14:15]
	s_cbranch_execz .LBB178_10
; %bb.9:
	flat_load_dwordx2 v[0:1], v[20:21]
.LBB178_10:
	s_or_b64 exec, exec, s[12:13]
	v_lshlrev_b32_e32 v2, 3, v26
	s_waitcnt vmcnt(0) lgkmcnt(0)
	ds_write_b64 v2, v[0:1] offset:9088
.LBB178_11:
	s_or_b64 exec, exec, s[10:11]
	s_load_dword s24, s[4:5], 0x28
	s_ashr_i32 s29, s28, 31
	v_lshl_add_u32 v27, v17, 6, v26
	s_lshl_b64 s[10:11], s[28:29], 3
	v_and_b32_e32 v0, 31, v26
	v_lshrrev_b32_e32 v10, 5, v27
	s_add_u32 s10, s8, s10
	s_addc_u32 s11, s9, s11
	s_waitcnt lgkmcnt(0)
	v_mad_u64_u32 v[2:3], s[8:9], v10, s24, v[0:1]
	s_mul_i32 s8, s28, s24
	s_ashr_i32 s9, s8, 31
	s_lshl_b64 s[30:31], s[8:9], 3
	v_ashrrev_i32_e32 v3, 31, v2
	s_add_u32 s8, s30, s10
	v_lshlrev_b64 v[22:23], 3, v[2:3]
	s_addc_u32 s9, s31, s11
	v_mov_b32_e32 v1, s9
	v_add_co_u32_e32 v2, vcc, s8, v22
	s_cmp_lg_u32 s26, 0
	v_addc_co_u32_e32 v3, vcc, v1, v23, vcc
	s_cselect_b64 s[34:35], -1, 0
	s_cmp_eq_u32 s26, 0
	s_cselect_b64 s[36:37], -1, 0
	s_and_b64 vcc, exec, s[34:35]
	s_cbranch_vccnz .LBB178_13
; %bb.12:
	flat_load_dwordx2 v[4:5], v[2:3]
	s_lshl_b32 s8, s24, 3
	s_ashr_i32 s9, s8, 31
	v_mul_u32_u24_e32 v1, 33, v10
	s_lshl_b64 s[8:9], s[8:9], 3
	v_add_lshl_u32 v1, v1, v0, 3
	v_mov_b32_e32 v7, s9
	v_add_co_u32_e32 v6, vcc, s8, v2
	v_addc_co_u32_e32 v7, vcc, v3, v7, vcc
	s_ashr_i32 s25, s24, 31
	s_lshl_b64 s[8:9], s[24:25], 6
	v_mov_b32_e32 v8, s9
	s_waitcnt vmcnt(0) lgkmcnt(0)
	ds_write_b64 v1, v[4:5]
	flat_load_dwordx2 v[4:5], v[6:7]
	v_add_co_u32_e32 v6, vcc, s8, v6
	v_addc_co_u32_e32 v7, vcc, v7, v8, vcc
	s_waitcnt vmcnt(0) lgkmcnt(0)
	ds_write_b64 v1, v[4:5] offset:2112
	flat_load_dwordx2 v[4:5], v[6:7]
	v_add_co_u32_e32 v6, vcc, s8, v6
	v_addc_co_u32_e32 v7, vcc, v7, v8, vcc
	s_waitcnt vmcnt(0) lgkmcnt(0)
	ds_write_b64 v1, v[4:5] offset:4224
	flat_load_dwordx2 v[4:5], v[6:7]
	s_waitcnt vmcnt(0) lgkmcnt(0)
	ds_write_b64 v1, v[4:5] offset:6336
	s_cbranch_execz .LBB178_14
	s_branch .LBB178_23
.LBB178_13:
.LBB178_14:
	v_lshlrev_b32_e32 v1, 3, v0
	v_sub_co_u32_e32 v4, vcc, v2, v1
	s_ashr_i32 s27, s26, 31
	v_subbrev_co_u32_e32 v5, vcc, 0, v3, vcc
	s_lshl_b64 s[10:11], s[26:27], 3
	v_mov_b32_e32 v6, s11
	v_add_co_u32_e32 v4, vcc, s10, v4
	v_addc_co_u32_e32 v5, vcc, v5, v6, vcc
	v_add_co_u32_e32 v4, vcc, -8, v4
	v_addc_co_u32_e32 v5, vcc, -1, v5, vcc
	v_cmp_gt_i32_e32 vcc, s26, v0
	v_pk_mov_b32 v[6:7], 0, 0
	v_cndmask_b32_e32 v5, v5, v3, vcc
	v_cndmask_b32_e32 v4, v4, v2, vcc
	v_cmp_gt_i32_e64 s[8:9], s26, v10
	v_pk_mov_b32 v[8:9], v[6:7], v[6:7] op_sel:[0,1]
	s_and_saveexec_b64 s[12:13], s[8:9]
	s_cbranch_execz .LBB178_16
; %bb.15:
	flat_load_dwordx2 v[8:9], v[4:5]
.LBB178_16:
	s_or_b64 exec, exec, s[12:13]
	v_mul_u32_u24_e32 v11, 33, v10
	v_add_lshl_u32 v11, v11, v0, 3
	s_waitcnt vmcnt(0) lgkmcnt(0)
	ds_write_b64 v11, v[8:9]
	v_add_u32_e32 v8, 8, v10
	v_cmp_gt_i32_e64 s[8:9], s26, v8
	s_and_saveexec_b64 s[12:13], s[8:9]
	s_cbranch_execz .LBB178_18
; %bb.17:
	s_lshl_b32 s8, s24, 3
	s_ashr_i32 s9, s8, 31
	s_lshl_b64 s[8:9], s[8:9], 3
	v_mov_b32_e32 v7, s9
	v_add_co_u32_e64 v6, s[8:9], s8, v4
	v_addc_co_u32_e64 v7, s[8:9], v5, v7, s[8:9]
	flat_load_dwordx2 v[6:7], v[6:7]
.LBB178_18:
	s_or_b64 exec, exec, s[12:13]
	s_waitcnt vmcnt(0) lgkmcnt(0)
	ds_write_b64 v11, v[6:7] offset:2112
	v_add_u32_e32 v6, 16, v10
	v_cmp_gt_i32_e64 s[8:9], s26, v6
	v_pk_mov_b32 v[6:7], 0, 0
	v_pk_mov_b32 v[8:9], v[6:7], v[6:7] op_sel:[0,1]
	s_and_saveexec_b64 s[12:13], s[8:9]
	s_cbranch_execz .LBB178_20
; %bb.19:
	s_lshl_b32 s8, s24, 4
	s_ashr_i32 s9, s8, 31
	s_lshl_b64 s[8:9], s[8:9], 3
	v_mov_b32_e32 v9, s9
	v_add_co_u32_e64 v8, s[8:9], s8, v4
	v_addc_co_u32_e64 v9, s[8:9], v5, v9, s[8:9]
	flat_load_dwordx2 v[8:9], v[8:9]
.LBB178_20:
	s_or_b64 exec, exec, s[12:13]
	s_waitcnt vmcnt(0) lgkmcnt(0)
	ds_write_b64 v11, v[8:9] offset:4224
	v_add_u32_e32 v8, 24, v10
	v_cmp_gt_i32_e64 s[8:9], s26, v8
	s_and_saveexec_b64 s[12:13], s[8:9]
	s_cbranch_execz .LBB178_22
; %bb.21:
	s_mul_i32 s8, s24, 24
	s_ashr_i32 s9, s8, 31
	s_lshl_b64 s[8:9], s[8:9], 3
	v_mov_b32_e32 v7, s9
	v_add_co_u32_e64 v6, s[8:9], s8, v4
	v_addc_co_u32_e64 v7, s[8:9], v5, v7, s[8:9]
	flat_load_dwordx2 v[6:7], v[6:7]
.LBB178_22:
	s_or_b64 exec, exec, s[12:13]
	v_add_co_u32_e64 v1, s[8:9], v4, v1
	v_addc_co_u32_e64 v4, s[8:9], 0, v5, s[8:9]
	v_mov_b32_e32 v5, s11
	v_subrev_co_u32_e64 v1, s[8:9], s10, v1
	v_subb_co_u32_e64 v4, s[8:9], v4, v5, s[8:9]
	v_add_co_u32_e64 v1, s[8:9], 8, v1
	v_addc_co_u32_e64 v4, s[8:9], 0, v4, s[8:9]
	v_cndmask_b32_e32 v3, v4, v3, vcc
	v_cndmask_b32_e32 v2, v1, v2, vcc
	s_waitcnt vmcnt(0) lgkmcnt(0)
	ds_write_b64 v11, v[6:7] offset:6336
.LBB178_23:
	v_lshlrev_b32_e32 v1, 2, v10
	v_mul_u32_u24_e32 v28, 33, v0
	v_cmp_lt_u32_e64 s[8:9], v1, v0
	v_add_lshl_u32 v30, v1, v28, 3
	s_waitcnt lgkmcnt(0)
	s_barrier
	s_and_saveexec_b64 s[10:11], s[8:9]
	s_cbranch_execz .LBB178_25
; %bb.24:
	v_mul_u32_u24_e32 v4, 0x84, v10
	v_add_lshl_u32 v4, v4, v0, 3
	ds_read_b64 v[4:5], v4
	s_waitcnt lgkmcnt(0)
	ds_write_b64 v30, v[4:5]
.LBB178_25:
	s_or_b64 exec, exec, s[10:11]
	v_or_b32_e32 v4, 1, v1
	v_cmp_lt_u32_e64 s[10:11], v4, v0
	s_and_saveexec_b64 s[12:13], s[10:11]
	s_cbranch_execz .LBB178_27
; %bb.26:
	v_mul_u32_u24_e32 v4, 33, v4
	v_add_lshl_u32 v4, v4, v0, 3
	ds_read_b64 v[4:5], v4
	s_waitcnt lgkmcnt(0)
	ds_write_b64 v30, v[4:5] offset:8
.LBB178_27:
	s_or_b64 exec, exec, s[12:13]
	v_or_b32_e32 v4, 2, v1
	v_cmp_lt_u32_e64 s[12:13], v4, v0
	s_and_saveexec_b64 s[14:15], s[12:13]
	s_cbranch_execz .LBB178_29
; %bb.28:
	v_mul_u32_u24_e32 v4, 33, v4
	v_add_lshl_u32 v4, v4, v0, 3
	ds_read_b64 v[4:5], v4
	s_waitcnt lgkmcnt(0)
	ds_write_b64 v30, v[4:5] offset:16
.LBB178_29:
	s_or_b64 exec, exec, s[14:15]
	v_or_b32_e32 v4, 3, v1
	v_cmp_lt_u32_e64 s[14:15], v4, v0
	v_mad_u32_u24 v4, v4, 33, v0
	v_lshlrev_b32_e32 v11, 3, v4
	s_and_saveexec_b64 s[16:17], s[14:15]
	s_cbranch_execz .LBB178_31
; %bb.30:
	ds_read_b64 v[4:5], v11
	s_waitcnt lgkmcnt(0)
	ds_write_b64 v30, v[4:5] offset:24
.LBB178_31:
	s_or_b64 exec, exec, s[16:17]
	v_mul_u32_u24_e32 v4, 0x84, v10
	v_add_lshl_u32 v13, v4, v0, 3
	s_waitcnt lgkmcnt(0)
	s_barrier
	v_lshlrev_b32_e32 v12, 3, v1
	ds_read_b64 v[8:9], v13
	ds_read_b128 v[4:7], v12 offset:9088
	v_add_u32_e32 v14, 0xfffffdf0, v11
	ds_read2_b64 v[32:35], v14 offset1:33
	ds_read_b128 v[36:39], v12 offset:9104
	ds_read_b64 v[24:25], v11
	v_pk_mov_b32 v[18:19], 0, 0
	v_add_lshl_u32 v29, v10, v28, 3
	s_waitcnt lgkmcnt(3)
	v_fma_f64 v[4:5], v[8:9], v[4:5], 0
	s_waitcnt lgkmcnt(2)
	v_fmac_f64_e32 v[4:5], v[32:33], v[6:7]
	s_waitcnt lgkmcnt(1)
	v_fmac_f64_e32 v[4:5], v[34:35], v[36:37]
	;; [unrolled: 2-line block ×3, first 2 shown]
	v_cmp_gt_u32_e64 s[20:21], 32, v27
	s_barrier
	ds_write_b64 v29, v[4:5]
	s_waitcnt lgkmcnt(0)
	s_barrier
	s_and_saveexec_b64 s[16:17], s[20:21]
	s_cbranch_execz .LBB178_33
; %bb.32:
	v_lshlrev_b32_e32 v1, 3, v28
	ds_read2_b64 v[4:7], v1 offset1:1
	ds_read2_b64 v[32:35], v1 offset0:2 offset1:3
	ds_read2_b64 v[36:39], v1 offset0:4 offset1:5
	s_waitcnt lgkmcnt(2)
	v_add_f64 v[8:9], v[4:5], v[6:7]
	ds_read2_b64 v[4:7], v1 offset0:6 offset1:7
	s_waitcnt lgkmcnt(2)
	v_add_f64 v[8:9], v[8:9], v[32:33]
	v_add_f64 v[8:9], v[8:9], v[34:35]
	s_waitcnt lgkmcnt(1)
	v_add_f64 v[8:9], v[8:9], v[36:37]
	v_add_f64 v[8:9], v[8:9], v[38:39]
	;; [unrolled: 3-line block ×3, first 2 shown]
.LBB178_33:
	s_or_b64 exec, exec, s[16:17]
	s_lshl_b32 s16, s24, 5
	s_ashr_i32 s17, s16, 31
	s_lshl_b64 s[38:39], s[16:17], 3
	v_mov_b32_e32 v1, s39
	v_add_co_u32_e32 v4, vcc, s38, v2
	v_addc_co_u32_e32 v5, vcc, v3, v1, vcc
	v_add_co_u32_e32 v2, vcc, 0x100, v4
	v_cndmask_b32_e64 v1, 0, 1, s[36:37]
	s_mov_b64 s[18:19], vcc
	v_cmp_ne_u32_e64 s[16:17], 1, v1
	s_andn2_b64 vcc, exec, s[36:37]
	v_addc_co_u32_e64 v1, s[18:19], 0, v5, s[18:19]
	s_barrier
	s_cbranch_vccnz .LBB178_35
; %bb.34:
	flat_load_dwordx2 v[6:7], v[4:5] offset:256
	s_lshl_b32 s18, s24, 3
	s_ashr_i32 s19, s18, 31
	v_mul_u32_u24_e32 v3, 33, v10
	s_lshl_b64 s[18:19], s[18:19], 3
	v_add_lshl_u32 v3, v3, v0, 3
	v_mov_b32_e32 v8, s19
	v_add_co_u32_e32 v4, vcc, s18, v4
	v_addc_co_u32_e32 v5, vcc, v5, v8, vcc
	s_ashr_i32 s25, s24, 31
	s_lshl_b64 s[18:19], s[24:25], 6
	v_mov_b32_e32 v8, s19
	s_waitcnt vmcnt(0) lgkmcnt(0)
	ds_write_b64 v3, v[6:7]
	flat_load_dwordx2 v[6:7], v[4:5] offset:256
	v_add_co_u32_e32 v4, vcc, s18, v4
	v_addc_co_u32_e32 v5, vcc, v5, v8, vcc
	s_waitcnt vmcnt(0) lgkmcnt(0)
	ds_write_b64 v3, v[6:7] offset:2112
	flat_load_dwordx2 v[6:7], v[4:5] offset:256
	v_add_co_u32_e32 v4, vcc, s18, v4
	v_addc_co_u32_e32 v5, vcc, v5, v8, vcc
	s_waitcnt vmcnt(0) lgkmcnt(0)
	ds_write_b64 v3, v[6:7] offset:4224
	flat_load_dwordx2 v[4:5], v[4:5] offset:256
	s_waitcnt vmcnt(0) lgkmcnt(0)
	ds_write_b64 v3, v[4:5] offset:6336
	s_cbranch_execz .LBB178_36
	s_branch .LBB178_45
.LBB178_35:
.LBB178_36:
	v_or_b32_e32 v3, 32, v0
	v_lshlrev_b32_e32 v4, 3, v3
	v_sub_co_u32_e32 v4, vcc, v2, v4
	s_ashr_i32 s27, s26, 31
	v_subbrev_co_u32_e32 v5, vcc, 0, v1, vcc
	s_lshl_b64 s[36:37], s[26:27], 3
	v_mov_b32_e32 v6, s37
	v_add_co_u32_e32 v4, vcc, s36, v4
	v_addc_co_u32_e32 v5, vcc, v5, v6, vcc
	v_add_co_u32_e32 v4, vcc, -8, v4
	v_addc_co_u32_e32 v5, vcc, -1, v5, vcc
	v_cmp_gt_i32_e64 s[18:19], s26, v3
	s_sub_i32 s25, s26, 32
	v_pk_mov_b32 v[6:7], 0, 0
	v_cndmask_b32_e64 v5, v5, v1, s[18:19]
	v_cndmask_b32_e64 v4, v4, v2, s[18:19]
	v_cmp_gt_i32_e32 vcc, s25, v10
	v_pk_mov_b32 v[8:9], v[6:7], v[6:7] op_sel:[0,1]
	s_and_saveexec_b64 s[40:41], vcc
	s_cbranch_execz .LBB178_38
; %bb.37:
	flat_load_dwordx2 v[8:9], v[4:5]
.LBB178_38:
	s_or_b64 exec, exec, s[40:41]
	v_mul_u32_u24_e32 v3, 33, v10
	v_add_lshl_u32 v3, v3, v0, 3
	s_waitcnt vmcnt(0) lgkmcnt(0)
	ds_write_b64 v3, v[8:9]
	v_add_u32_e32 v8, 8, v10
	v_cmp_gt_i32_e32 vcc, s25, v8
	s_and_saveexec_b64 s[40:41], vcc
	s_cbranch_execz .LBB178_40
; %bb.39:
	s_lshl_b32 s44, s24, 3
	s_ashr_i32 s45, s44, 31
	s_lshl_b64 s[44:45], s[44:45], 3
	v_mov_b32_e32 v7, s45
	v_add_co_u32_e32 v6, vcc, s44, v4
	v_addc_co_u32_e32 v7, vcc, v5, v7, vcc
	flat_load_dwordx2 v[6:7], v[6:7]
.LBB178_40:
	s_or_b64 exec, exec, s[40:41]
	s_waitcnt vmcnt(0) lgkmcnt(0)
	ds_write_b64 v3, v[6:7] offset:2112
	v_add_u32_e32 v6, 16, v10
	v_cmp_gt_i32_e32 vcc, s25, v6
	v_pk_mov_b32 v[6:7], 0, 0
	v_pk_mov_b32 v[8:9], v[6:7], v[6:7] op_sel:[0,1]
	s_and_saveexec_b64 s[40:41], vcc
	s_cbranch_execz .LBB178_42
; %bb.41:
	s_lshl_b32 s44, s24, 4
	s_ashr_i32 s45, s44, 31
	s_lshl_b64 s[44:45], s[44:45], 3
	v_mov_b32_e32 v9, s45
	v_add_co_u32_e32 v8, vcc, s44, v4
	v_addc_co_u32_e32 v9, vcc, v5, v9, vcc
	flat_load_dwordx2 v[8:9], v[8:9]
.LBB178_42:
	s_or_b64 exec, exec, s[40:41]
	s_waitcnt vmcnt(0) lgkmcnt(0)
	ds_write_b64 v3, v[8:9] offset:4224
	v_add_u32_e32 v8, 24, v10
	v_cmp_gt_i32_e32 vcc, s25, v8
	s_and_saveexec_b64 s[40:41], vcc
	s_cbranch_execz .LBB178_44
; %bb.43:
	s_mul_i32 s44, s24, 24
	s_ashr_i32 s45, s44, 31
	s_lshl_b64 s[44:45], s[44:45], 3
	v_mov_b32_e32 v7, s45
	v_add_co_u32_e32 v6, vcc, s44, v4
	v_addc_co_u32_e32 v7, vcc, v5, v7, vcc
	flat_load_dwordx2 v[6:7], v[6:7]
.LBB178_44:
	s_or_b64 exec, exec, s[40:41]
	s_waitcnt vmcnt(0) lgkmcnt(0)
	ds_write_b64 v3, v[6:7] offset:6336
	v_lshlrev_b32_e32 v3, 3, v0
	v_add_co_u32_e32 v3, vcc, v4, v3
	v_addc_co_u32_e32 v4, vcc, 0, v5, vcc
	v_mov_b32_e32 v5, s37
	v_subrev_co_u32_e32 v3, vcc, s36, v3
	v_subb_co_u32_e32 v4, vcc, v4, v5, vcc
	v_add_co_u32_e32 v3, vcc, 0x108, v3
	v_addc_co_u32_e32 v4, vcc, 0, v4, vcc
	v_cndmask_b32_e64 v1, v4, v1, s[18:19]
	v_cndmask_b32_e64 v2, v3, v2, s[18:19]
.LBB178_45:
	v_add_u32_e32 v12, 0x2380, v12
	s_waitcnt lgkmcnt(0)
	s_barrier
	s_and_saveexec_b64 s[18:19], s[8:9]
	s_cbranch_execnz .LBB178_54
; %bb.46:
	s_or_b64 exec, exec, s[18:19]
	s_and_saveexec_b64 s[8:9], s[10:11]
	s_cbranch_execnz .LBB178_55
.LBB178_47:
	s_or_b64 exec, exec, s[8:9]
	s_and_saveexec_b64 s[8:9], s[12:13]
	s_cbranch_execnz .LBB178_56
.LBB178_48:
	s_or_b64 exec, exec, s[8:9]
	s_and_saveexec_b64 s[8:9], s[14:15]
	s_cbranch_execz .LBB178_50
.LBB178_49:
	ds_read_b64 v[4:5], v11
	s_waitcnt lgkmcnt(0)
	ds_write_b64 v30, v[4:5] offset:24
.LBB178_50:
	s_or_b64 exec, exec, s[8:9]
	s_waitcnt lgkmcnt(0)
	s_barrier
	ds_read_b64 v[8:9], v13
	ds_read_b128 v[4:7], v12 offset:256
	ds_read2_b64 v[32:35], v14 offset1:33
	ds_read_b128 v[36:39], v12 offset:272
	ds_read_b64 v[14:15], v11
	v_cmp_eq_u32_e64 s[8:9], 1, v10
	s_waitcnt lgkmcnt(3)
	v_fma_f64 v[4:5], v[8:9], v[4:5], 0
	s_waitcnt lgkmcnt(2)
	v_fmac_f64_e32 v[4:5], v[32:33], v[6:7]
	s_waitcnt lgkmcnt(1)
	v_fmac_f64_e32 v[4:5], v[34:35], v[36:37]
	;; [unrolled: 2-line block ×3, first 2 shown]
	s_barrier
	ds_write_b64 v29, v[4:5]
	s_waitcnt lgkmcnt(0)
	s_barrier
	s_and_saveexec_b64 s[10:11], s[8:9]
	s_cbranch_execz .LBB178_52
; %bb.51:
	v_lshlrev_b32_e32 v3, 3, v28
	ds_read2_b64 v[4:7], v3 offset1:1
	ds_read2_b64 v[32:35], v3 offset0:2 offset1:3
	ds_read2_b64 v[36:39], v3 offset0:4 offset1:5
	s_waitcnt lgkmcnt(2)
	v_add_f64 v[8:9], v[4:5], v[6:7]
	ds_read2_b64 v[4:7], v3 offset0:6 offset1:7
	s_waitcnt lgkmcnt(2)
	v_add_f64 v[8:9], v[8:9], v[32:33]
	v_add_f64 v[8:9], v[8:9], v[34:35]
	s_waitcnt lgkmcnt(1)
	v_add_f64 v[8:9], v[8:9], v[36:37]
	v_add_f64 v[8:9], v[8:9], v[38:39]
	;; [unrolled: 3-line block ×3, first 2 shown]
.LBB178_52:
	s_or_b64 exec, exec, s[10:11]
	v_mov_b32_e32 v3, s39
	v_subrev_co_u32_e64 v24, s[10:11], s38, v2
	s_and_b64 vcc, exec, s[16:17]
	v_subb_co_u32_e64 v25, s[10:11], v1, v3, s[10:11]
	s_barrier
	s_cbranch_vccnz .LBB178_57
; %bb.53:
	flat_load_dwordx2 v[2:3], v[24:25]
	s_lshl_b32 s10, s24, 3
	s_ashr_i32 s11, s10, 31
	v_mad_u32_u24 v1, v10, 33, v0
	s_lshl_b64 s[10:11], s[10:11], 3
	v_lshlrev_b32_e32 v14, 3, v1
	v_mov_b32_e32 v5, s11
	v_add_co_u32_e32 v4, vcc, s10, v24
	v_addc_co_u32_e32 v5, vcc, v25, v5, vcc
	s_ashr_i32 s25, s24, 31
	s_lshl_b64 s[10:11], s[24:25], 6
	v_mov_b32_e32 v6, s11
	v_add_u32_e32 v8, 8, v10
	v_add_u32_e32 v9, 16, v10
	;; [unrolled: 1-line block ×5, first 2 shown]
	s_waitcnt vmcnt(0) lgkmcnt(0)
	ds_write_b64 v14, v[2:3]
	flat_load_dwordx2 v[2:3], v[4:5]
	v_add_co_u32_e32 v4, vcc, s10, v4
	v_addc_co_u32_e32 v5, vcc, v5, v6, vcc
	s_waitcnt vmcnt(0) lgkmcnt(0)
	ds_write_b64 v14, v[2:3] offset:2112
	flat_load_dwordx2 v[2:3], v[4:5]
	v_add_co_u32_e32 v4, vcc, s10, v4
	v_addc_co_u32_e32 v5, vcc, v5, v6, vcc
	v_add_u32_e32 v6, 24, v10
	s_waitcnt vmcnt(0) lgkmcnt(0)
	ds_write_b64 v14, v[2:3] offset:4224
	flat_load_dwordx2 v[2:3], v[4:5]
	s_waitcnt vmcnt(0) lgkmcnt(0)
	ds_write_b64 v14, v[2:3] offset:6336
	s_cbranch_execz .LBB178_58
	s_branch .LBB178_67
.LBB178_54:
	ds_read_b64 v[4:5], v13
	s_waitcnt lgkmcnt(0)
	ds_write_b64 v30, v[4:5]
	s_or_b64 exec, exec, s[18:19]
	s_and_saveexec_b64 s[8:9], s[10:11]
	s_cbranch_execz .LBB178_47
.LBB178_55:
	ds_read_b64 v[4:5], v14
	s_waitcnt lgkmcnt(0)
	ds_write_b64 v30, v[4:5] offset:8
	s_or_b64 exec, exec, s[8:9]
	s_and_saveexec_b64 s[8:9], s[12:13]
	s_cbranch_execz .LBB178_48
.LBB178_56:
	ds_read_b64 v[4:5], v14 offset:264
	s_waitcnt lgkmcnt(0)
	ds_write_b64 v30, v[4:5] offset:16
	s_or_b64 exec, exec, s[8:9]
	s_and_saveexec_b64 s[8:9], s[14:15]
	s_cbranch_execnz .LBB178_49
	s_branch .LBB178_50
.LBB178_57:
                                        ; implicit-def: $vgpr1
                                        ; implicit-def: $vgpr8
                                        ; implicit-def: $vgpr13
                                        ; implicit-def: $vgpr9
                                        ; implicit-def: $vgpr7
                                        ; implicit-def: $vgpr6
                                        ; implicit-def: $vgpr11
.LBB178_58:
	v_or_b32_e32 v1, 32, v0
	v_lshlrev_b32_e32 v2, 3, v1
	v_sub_co_u32_e32 v2, vcc, v24, v2
	s_ashr_i32 s27, s26, 31
	v_subbrev_co_u32_e32 v3, vcc, 0, v25, vcc
	s_lshl_b64 s[12:13], s[26:27], 3
	v_mov_b32_e32 v4, s13
	v_add_co_u32_e32 v2, vcc, s12, v2
	v_addc_co_u32_e32 v3, vcc, v3, v4, vcc
	v_add_co_u32_e32 v2, vcc, -8, v2
	v_addc_co_u32_e32 v3, vcc, -1, v3, vcc
	v_cmp_gt_i32_e64 s[10:11], s26, v1
	v_pk_mov_b32 v[4:5], 0, 0
	v_cndmask_b32_e64 v3, v3, v25, s[10:11]
	v_cndmask_b32_e64 v2, v2, v24, s[10:11]
	v_cmp_gt_i32_e32 vcc, s26, v10
	v_pk_mov_b32 v[6:7], v[4:5], v[4:5] op_sel:[0,1]
	s_and_saveexec_b64 s[14:15], vcc
	s_cbranch_execz .LBB178_60
; %bb.59:
	flat_load_dwordx2 v[6:7], v[2:3]
.LBB178_60:
	s_or_b64 exec, exec, s[14:15]
	v_mad_u32_u24 v1, v10, 33, v0
	v_add_u32_e32 v8, 8, v10
	v_lshlrev_b32_e32 v14, 3, v1
	v_cmp_gt_i32_e32 vcc, s26, v8
	s_waitcnt vmcnt(0) lgkmcnt(0)
	ds_write_b64 v14, v[6:7]
	s_and_saveexec_b64 s[14:15], vcc
	s_cbranch_execz .LBB178_62
; %bb.61:
	s_lshl_b32 s16, s24, 3
	s_ashr_i32 s17, s16, 31
	s_lshl_b64 s[16:17], s[16:17], 3
	v_mov_b32_e32 v5, s17
	v_add_co_u32_e32 v4, vcc, s16, v2
	v_addc_co_u32_e32 v5, vcc, v3, v5, vcc
	flat_load_dwordx2 v[4:5], v[4:5]
.LBB178_62:
	s_or_b64 exec, exec, s[14:15]
	s_waitcnt vmcnt(0) lgkmcnt(0)
	ds_write_b64 v14, v[4:5] offset:2112
	v_add_u32_e32 v9, 16, v10
	v_pk_mov_b32 v[4:5], 0, 0
	v_cmp_gt_i32_e32 vcc, s26, v9
	v_pk_mov_b32 v[6:7], v[4:5], v[4:5] op_sel:[0,1]
	s_and_saveexec_b64 s[14:15], vcc
	s_cbranch_execz .LBB178_64
; %bb.63:
	s_lshl_b32 s16, s24, 4
	s_ashr_i32 s17, s16, 31
	s_lshl_b64 s[16:17], s[16:17], 3
	v_mov_b32_e32 v7, s17
	v_add_co_u32_e32 v6, vcc, s16, v2
	v_addc_co_u32_e32 v7, vcc, v3, v7, vcc
	flat_load_dwordx2 v[6:7], v[6:7]
.LBB178_64:
	s_or_b64 exec, exec, s[14:15]
	s_waitcnt vmcnt(0) lgkmcnt(0)
	ds_write_b64 v14, v[6:7] offset:4224
	v_add_u32_e32 v6, 24, v10
	v_cmp_gt_i32_e32 vcc, s26, v6
	s_and_saveexec_b64 s[14:15], vcc
	s_cbranch_execz .LBB178_66
; %bb.65:
	s_mul_i32 s16, s24, 24
	s_ashr_i32 s17, s16, 31
	s_lshl_b64 s[16:17], s[16:17], 3
	v_mov_b32_e32 v5, s17
	v_add_co_u32_e32 v4, vcc, s16, v2
	v_addc_co_u32_e32 v5, vcc, v3, v5, vcc
	flat_load_dwordx2 v[4:5], v[4:5]
.LBB178_66:
	s_or_b64 exec, exec, s[14:15]
	v_lshlrev_b32_e32 v0, 3, v0
	v_add_co_u32_e32 v0, vcc, v2, v0
	v_addc_co_u32_e32 v2, vcc, 0, v3, vcc
	v_mov_b32_e32 v3, s13
	v_subrev_co_u32_e32 v0, vcc, s12, v0
	v_subb_co_u32_e32 v2, vcc, v2, v3, vcc
	v_add_co_u32_e32 v0, vcc, 0x108, v0
	v_addc_co_u32_e32 v2, vcc, 0, v2, vcc
	v_add_u32_e32 v13, 0x108, v1
	v_add_u32_e32 v7, 0x210, v1
	v_add_u32_e32 v11, 0x318, v1
	v_cndmask_b32_e64 v25, v2, v25, s[10:11]
	v_cndmask_b32_e64 v24, v0, v24, s[10:11]
	s_waitcnt vmcnt(0) lgkmcnt(0)
	ds_write_b64 v14, v[4:5] offset:6336
.LBB178_67:
	v_lshlrev_b32_e32 v0, 3, v1
	s_waitcnt lgkmcnt(0)
	s_barrier
	v_lshlrev_b32_e32 v1, 3, v10
	v_lshlrev_b32_e32 v2, 3, v13
	v_lshlrev_b32_e32 v3, 3, v8
	ds_read_b64 v[32:33], v0
	ds_read_b64 v[34:35], v1 offset:9088
	ds_read_b64 v[36:37], v2
	ds_read_b64 v[38:39], v3 offset:9088
	v_lshlrev_b32_e32 v0, 3, v7
	v_lshlrev_b32_e32 v1, 3, v9
	;; [unrolled: 1-line block ×4, first 2 shown]
	ds_read_b64 v[40:41], v0
	ds_read_b64 v[42:43], v1 offset:9088
	ds_read_b64 v[44:45], v2
	ds_read_b64 v[46:47], v3 offset:9088
	ds_read_b128 v[8:11], v12 offset:256
	ds_read_b128 v[0:3], v12 offset:272
	ds_read2_b64 v[12:15], v30 offset1:1
	ds_read2_b64 v[4:7], v30 offset0:2 offset1:3
	s_waitcnt lgkmcnt(10)
	v_fma_f64 v[30:31], v[32:33], v[34:35], 0
	s_waitcnt lgkmcnt(8)
	v_fmac_f64_e32 v[30:31], v[36:37], v[38:39]
	s_waitcnt lgkmcnt(6)
	v_fmac_f64_e32 v[30:31], v[40:41], v[42:43]
	;; [unrolled: 2-line block ×3, first 2 shown]
	s_waitcnt lgkmcnt(0)
	s_barrier
	ds_write_b64 v29, v[30:31]
	s_waitcnt lgkmcnt(0)
	s_barrier
	s_and_saveexec_b64 s[10:11], s[8:9]
	s_cbranch_execz .LBB178_69
; %bb.68:
	v_lshlrev_b32_e32 v42, 3, v28
	ds_read2_b64 v[30:33], v42 offset1:1
	ds_read2_b64 v[34:37], v42 offset0:2 offset1:3
	ds_read2_b64 v[38:41], v42 offset0:4 offset1:5
	s_waitcnt lgkmcnt(2)
	v_add_f64 v[18:19], v[18:19], v[30:31]
	v_add_f64 v[18:19], v[18:19], v[32:33]
	ds_read2_b64 v[30:33], v42 offset0:6 offset1:7
	s_waitcnt lgkmcnt(2)
	v_add_f64 v[18:19], v[18:19], v[34:35]
	v_add_f64 v[18:19], v[18:19], v[36:37]
	s_waitcnt lgkmcnt(1)
	v_add_f64 v[18:19], v[18:19], v[38:39]
	v_add_f64 v[18:19], v[18:19], v[40:41]
	;; [unrolled: 3-line block ×3, first 2 shown]
.LBB178_69:
	s_or_b64 exec, exec, s[10:11]
	v_fma_f64 v[8:9], v[12:13], v[8:9], 0
	v_fmac_f64_e32 v[8:9], v[14:15], v[10:11]
	v_fmac_f64_e32 v[8:9], v[4:5], v[0:1]
	;; [unrolled: 1-line block ×3, first 2 shown]
	s_barrier
	ds_write_b64 v29, v[8:9]
	s_waitcnt lgkmcnt(0)
	s_barrier
	s_and_saveexec_b64 s[8:9], s[20:21]
	s_cbranch_execz .LBB178_71
; %bb.70:
	v_lshlrev_b32_e32 v14, 3, v28
	ds_read2_b64 v[0:3], v14 offset1:1
	ds_read2_b64 v[4:7], v14 offset0:2 offset1:3
	ds_read2_b64 v[8:11], v14 offset0:4 offset1:5
	s_waitcnt lgkmcnt(2)
	v_add_f64 v[0:1], v[18:19], v[0:1]
	v_add_f64 v[12:13], v[0:1], v[2:3]
	ds_read2_b64 v[0:3], v14 offset0:6 offset1:7
	s_waitcnt lgkmcnt(2)
	v_add_f64 v[4:5], v[12:13], v[4:5]
	v_add_f64 v[4:5], v[4:5], v[6:7]
	s_waitcnt lgkmcnt(1)
	v_add_f64 v[4:5], v[4:5], v[8:9]
	v_add_f64 v[4:5], v[4:5], v[10:11]
	;; [unrolled: 3-line block ×3, first 2 shown]
.LBB178_71:
	s_or_b64 exec, exec, s[8:9]
	s_load_dwordx2 s[4:5], s[4:5], 0x68
	s_mul_hi_u32 s8, s23, s22
	s_mul_i32 s42, s42, s22
	s_add_i32 s8, s8, s42
	s_mul_i32 s10, s23, s22
	s_mul_i32 s8, s8, s33
	s_mul_hi_u32 s9, s10, s33
	s_add_i32 s9, s9, s8
	s_mul_i32 s8, s10, s33
	s_lshl_b64 s[8:9], s[8:9], 3
	s_waitcnt lgkmcnt(0)
	s_add_u32 s8, s4, s8
	s_mul_i32 s4, s6, s23
	s_addc_u32 s9, s5, s9
	s_ashr_i32 s5, s4, 31
	s_lshl_b64 s[4:5], s[4:5], 3
	s_add_u32 s29, s8, s4
	v_cmp_le_i32_e32 vcc, s26, v26
	s_addc_u32 s33, s9, s5
	s_and_b64 vcc, s[34:35], vcc
	s_cmp_lt_i32 s6, 1
	v_lshlrev_b32_e32 v72, 3, v26
	s_barrier
	s_cbranch_scc1 .LBB178_78
; %bb.72:
	s_mul_i32 s4, s28, s7
	s_ashr_i32 s5, s4, 31
	s_lshl_b64 s[4:5], s[4:5], 3
	v_mov_b32_e32 v0, s5
	v_subrev_co_u32_e64 v73, s[4:5], s4, v20
	v_subb_co_u32_e64 v74, s[4:5], v21, v0, s[4:5]
	v_mov_b32_e32 v0, s31
	v_subrev_co_u32_e64 v1, s[4:5], s30, v24
	v_subb_co_u32_e64 v0, s[4:5], v25, v0, s[4:5]
	v_sub_co_u32_e64 v2, s[4:5], v1, v22
	v_subb_co_u32_e64 v3, s[4:5], v0, v23, s[4:5]
	v_mul_lo_u32 v0, v17, s24
	v_lshl_add_u32 v0, v0, 2, v26
	v_ashrrev_i32_e32 v1, 31, v0
	v_lshlrev_b64 v[0:1], 3, v[0:1]
	v_add_co_u32_e64 v0, s[4:5], v2, v0
	v_addc_co_u32_e64 v1, s[4:5], v3, v1, s[4:5]
	s_movk_i32 s4, 0xff00
	v_add_co_u32_e64 v0, s[4:5], s4, v0
	v_addc_co_u32_e64 v2, s[4:5], -1, v1, s[4:5]
	v_sub_co_u32_e64 v3, s[4:5], v0, v72
	v_subbrev_co_u32_e64 v6, s[4:5], 0, v2, s[4:5]
	s_ashr_i32 s27, s26, 31
	s_lshl_b64 s[4:5], s[26:27], 3
	v_mov_b32_e32 v7, s5
	v_add_co_u32_e64 v3, s[4:5], s4, v3
	v_addc_co_u32_e64 v6, s[4:5], v6, v7, s[4:5]
	v_add_co_u32_e64 v7, s[4:5], -8, v3
	v_addc_co_u32_e64 v3, s[4:5], -1, v6, s[4:5]
	v_cndmask_b32_e32 v3, v2, v3, vcc
	v_cndmask_b32_e32 v2, v0, v7, vcc
	v_and_b32_e32 v0, 48, v26
	v_and_b32_e32 v4, 15, v26
	v_lshlrev_b32_e32 v6, 3, v0
	s_movk_i32 s8, 0x218
	v_lshrrev_b32_e32 v5, 4, v27
	v_mad_u32_u24 v77, v4, s8, v6
	v_or_b32_e32 v6, 0x78, v72
	v_mad_u32_u24 v78, v4, s8, v6
	v_lshlrev_b32_e32 v6, 5, v5
	s_ashr_i32 s25, s24, 31
	s_movk_i32 s9, 0x860
	v_lshlrev_b32_e32 v5, 3, v5
	v_mad_u32_u24 v79, v4, s8, v6
	v_mov_b32_e32 v6, 0x2180
	v_mad_u32_u24 v81, v17, s9, v72
	v_mad_u32_u24 v82, v4, s8, v5
	s_lshl_b64 s[10:11], s[24:25], 3
	s_lshl_b64 s[12:13], s[24:25], 4
	s_mul_hi_i32 s8, s24, 24
	s_lshl_b64 s[16:17], s[24:25], 7
	s_mul_hi_i32 s9, s24, 0x90
	s_mul_hi_i32 s21, s24, 0x98
	s_lshl_b64 s[18:19], s[24:25], 8
	s_mul_hi_i32 s22, s24, 0x110
	s_mul_hi_i32 s23, s24, 0x118
	;; [unrolled: 1-line block ×8, first 2 shown]
	v_mov_b32_e32 v1, 0
	s_lshl_b32 s7, s7, 6
	v_add_u32_e32 v75, 0x2180, v72
	v_add_u32_e32 v76, 0x2380, v72
	v_cmp_gt_u32_e64 s[4:5], 64, v27
	v_lshl_add_u32 v80, v17, 5, v6
	s_lshl_b64 s[14:15], s[24:25], 9
	s_mul_i32 s26, s24, 24
	s_mul_i32 s27, s24, 0x90
	;; [unrolled: 1-line block ×10, first 2 shown]
	s_mulk_i32 s24, 0x88
	v_or_b32_e32 v0, v0, v4
	s_mov_b32 s20, 0
	v_mov_b32_e32 v83, s11
	v_mov_b32_e32 v84, s13
	;; [unrolled: 1-line block ×15, first 2 shown]
	s_branch .LBB178_74
.LBB178_73:                             ;   in Loop: Header=BB178_74 Depth=1
	s_or_b64 exec, exec, s[22:23]
	v_fmac_f64_e32 v[18:19], v[4:5], v[12:13]
	v_fmac_f64_e32 v[18:19], v[6:7], v[14:15]
	;; [unrolled: 1-line block ×15, first 2 shown]
	v_mov_b32_e32 v4, s15
	v_add_co_u32_e64 v2, s[8:9], s14, v2
	s_add_i32 s6, s6, -1
	s_add_i32 s20, s20, s7
	v_fmac_f64_e32 v[18:19], v[60:61], v[70:71]
	v_addc_co_u32_e64 v3, s[8:9], v3, v4, s[8:9]
	s_cmp_eq_u32 s6, 0
	v_add_u32_e32 v0, 64, v0
	s_barrier
	s_cbranch_scc1 .LBB178_78
.LBB178_74:                             ; =>This Inner Loop Header: Depth=1
	s_and_saveexec_b64 s[22:23], s[2:3]
	s_cbranch_execz .LBB178_76
; %bb.75:                               ;   in Loop: Header=BB178_74 Depth=1
	s_ashr_i32 s21, s20, 31
	s_lshl_b64 s[8:9], s[20:21], 3
	v_mov_b32_e32 v5, s9
	v_add_co_u32_e64 v4, s[8:9], s8, v73
	v_addc_co_u32_e64 v5, s[8:9], v74, v5, s[8:9]
	flat_load_dwordx2 v[4:5], v[4:5]
	s_waitcnt vmcnt(0) lgkmcnt(0)
	ds_write_b64 v75, v[4:5]
.LBB178_76:                             ;   in Loop: Header=BB178_74 Depth=1
	s_or_b64 exec, exec, s[22:23]
	v_add_co_u32_e64 v10, s[8:9], s10, v2
	v_addc_co_u32_e64 v11, s[8:9], v3, v83, s[8:9]
	v_add_co_u32_e64 v12, s[8:9], s12, v2
	v_addc_co_u32_e64 v13, s[8:9], v3, v84, s[8:9]
	s_waitcnt lgkmcnt(0)
	s_barrier
	flat_load_dwordx2 v[4:5], v[2:3]
	flat_load_dwordx2 v[6:7], v[10:11]
	;; [unrolled: 1-line block ×3, first 2 shown]
	v_add_co_u32_e64 v10, s[8:9], s26, v2
	v_addc_co_u32_e64 v11, s[8:9], v3, v85, s[8:9]
	flat_load_dwordx2 v[10:11], v[10:11]
	ds_read_b64 v[14:15], v76
	ds_read_b64 v[12:13], v80
	v_add_co_u32_e64 v32, s[8:9], s16, v2
	v_addc_co_u32_e64 v33, s[8:9], v3, v86, s[8:9]
	v_add_co_u32_e64 v34, s[8:9], s24, v2
	v_addc_co_u32_e64 v35, s[8:9], v3, v87, s[8:9]
	;; [unrolled: 2-line block ×12, first 2 shown]
	s_waitcnt vmcnt(0) lgkmcnt(0)
	v_mul_f64 v[20:21], v[4:5], v[14:15]
	ds_write_b64 v81, v[20:21]
	v_mul_f64 v[20:21], v[6:7], v[14:15]
	v_mul_f64 v[22:23], v[8:9], v[14:15]
	;; [unrolled: 1-line block ×3, first 2 shown]
	ds_read_b64 v[14:15], v80 offset:8
	ds_write_b64 v81, v[20:21] offset:536
	ds_read_b64 v[20:21], v80 offset:16
	ds_write_b64 v81, v[22:23] offset:1072
	;; [unrolled: 2-line block ×3, first 2 shown]
	s_waitcnt lgkmcnt(0)
	s_barrier
	ds_read2_b64 v[64:67], v79 offset1:1
	ds_read2_b64 v[68:71], v79 offset0:2 offset1:3
	s_waitcnt lgkmcnt(0)
	s_barrier
	flat_load_dwordx2 v[30:31], v[32:33]
	flat_load_dwordx2 v[26:27], v[34:35]
	;; [unrolled: 1-line block ×4, first 2 shown]
	ds_read_b64 v[34:35], v76
	ds_read_b64 v[32:33], v80 offset:128
	v_add_f64 v[64:65], v[64:65], 0
	v_add_f64 v[64:65], v[64:65], v[66:67]
	v_add_f64 v[64:65], v[64:65], v[68:69]
	s_waitcnt vmcnt(0) lgkmcnt(0)
	v_mul_f64 v[36:37], v[30:31], v[34:35]
	v_mul_f64 v[38:39], v[26:27], v[34:35]
	ds_write_b64 v81, v[36:37]
	v_mul_f64 v[40:41], v[24:25], v[34:35]
	v_mul_f64 v[42:43], v[28:29], v[34:35]
	ds_read_b64 v[34:35], v80 offset:136
	ds_write_b64 v81, v[38:39] offset:536
	ds_read_b64 v[36:37], v80 offset:144
	ds_write_b64 v81, v[40:41] offset:1072
	;; [unrolled: 2-line block ×3, first 2 shown]
	s_waitcnt lgkmcnt(0)
	s_barrier
	ds_read2_b64 v[98:101], v79 offset1:1
	ds_read2_b64 v[102:105], v79 offset0:2 offset1:3
	s_waitcnt lgkmcnt(0)
	s_barrier
	flat_load_dwordx2 v[46:47], v[48:49]
	flat_load_dwordx2 v[42:43], v[50:51]
	;; [unrolled: 1-line block ×4, first 2 shown]
	ds_read_b64 v[50:51], v76
	ds_read_b64 v[48:49], v80 offset:256
	s_waitcnt vmcnt(0) lgkmcnt(0)
	v_mul_f64 v[52:53], v[46:47], v[50:51]
	v_mul_f64 v[54:55], v[42:43], v[50:51]
	ds_write_b64 v81, v[52:53]
	v_mul_f64 v[56:57], v[40:41], v[50:51]
	v_mul_f64 v[58:59], v[44:45], v[50:51]
	ds_read_b64 v[50:51], v80 offset:264
	ds_write_b64 v81, v[54:55] offset:536
	ds_read_b64 v[52:53], v80 offset:272
	ds_write_b64 v81, v[56:57] offset:1072
	;; [unrolled: 2-line block ×3, first 2 shown]
	s_waitcnt lgkmcnt(0)
	s_barrier
	ds_read2_b64 v[106:109], v79 offset1:1
	ds_read2_b64 v[110:113], v79 offset0:2 offset1:3
	s_waitcnt lgkmcnt(0)
	s_barrier
	flat_load_dwordx2 v[62:63], v[114:115]
	flat_load_dwordx2 v[58:59], v[116:117]
	;; [unrolled: 1-line block ×4, first 2 shown]
	v_add_f64 v[114:115], v[64:65], v[70:71]
	v_add_f64 v[64:65], v[98:99], 0
	v_add_f64 v[64:65], v[64:65], v[100:101]
	v_add_f64 v[64:65], v[64:65], v[102:103]
	v_add_f64 v[116:117], v[64:65], v[104:105]
	ds_read_b64 v[66:67], v76
	ds_read_b64 v[64:65], v80 offset:384
	v_add_f64 v[68:69], v[106:107], 0
	v_add_f64 v[68:69], v[68:69], v[108:109]
	;; [unrolled: 1-line block ×4, first 2 shown]
	s_waitcnt vmcnt(0) lgkmcnt(0)
	v_mul_f64 v[68:69], v[62:63], v[66:67]
	v_mul_f64 v[70:71], v[58:59], v[66:67]
	ds_write_b64 v81, v[68:69]
	v_mul_f64 v[98:99], v[56:57], v[66:67]
	v_mul_f64 v[100:101], v[60:61], v[66:67]
	ds_read_b64 v[66:67], v80 offset:392
	ds_write_b64 v81, v[70:71] offset:536
	ds_read_b64 v[68:69], v80 offset:400
	ds_write_b64 v81, v[98:99] offset:1072
	;; [unrolled: 2-line block ×3, first 2 shown]
	s_waitcnt lgkmcnt(0)
	s_barrier
	ds_read2_b64 v[98:101], v79 offset1:1
	ds_read2_b64 v[102:105], v79 offset0:2 offset1:3
	s_waitcnt lgkmcnt(0)
	s_barrier
	v_add_f64 v[98:99], v[98:99], 0
	v_add_f64 v[98:99], v[98:99], v[100:101]
	;; [unrolled: 1-line block ×4, first 2 shown]
	ds_write2_b64 v82, v[114:115], v[116:117] offset1:16
	ds_write2_b64 v82, v[106:107], v[98:99] offset0:32 offset1:48
	s_waitcnt lgkmcnt(0)
	s_barrier
	s_and_saveexec_b64 s[22:23], s[4:5]
	s_cbranch_execz .LBB178_73
; %bb.77:                               ;   in Loop: Header=BB178_74 Depth=1
	ds_read2_b64 v[98:101], v77 offset1:1
	ds_read2_b64 v[102:105], v77 offset0:2 offset1:3
	ds_read2_b64 v[106:109], v77 offset0:4 offset1:5
	;; [unrolled: 1-line block ×3, first 2 shown]
	s_waitcnt lgkmcnt(3)
	v_add_f64 v[98:99], v[98:99], v[100:101]
	s_waitcnt lgkmcnt(2)
	v_add_f64 v[98:99], v[98:99], v[102:103]
	v_add_f64 v[98:99], v[98:99], v[104:105]
	s_waitcnt lgkmcnt(1)
	v_add_f64 v[102:103], v[98:99], v[106:107]
	ds_read2_b64 v[98:101], v77 offset0:8 offset1:9
	v_add_f64 v[102:103], v[102:103], v[108:109]
	s_waitcnt lgkmcnt(1)
	v_add_f64 v[106:107], v[102:103], v[110:111]
	ds_read2_b64 v[102:105], v77 offset0:10 offset1:11
	v_add_f64 v[106:107], v[106:107], v[112:113]
	s_waitcnt lgkmcnt(1)
	v_add_f64 v[98:99], v[106:107], v[98:99]
	v_add_f64 v[106:107], v[98:99], v[100:101]
	ds_read2_b64 v[98:101], v77 offset0:12 offset1:13
	s_waitcnt lgkmcnt(1)
	v_add_f64 v[102:103], v[106:107], v[102:103]
	ds_read_b64 v[106:107], v77 offset:112
	ds_read_b64 v[108:109], v78
	v_add_f64 v[102:103], v[102:103], v[104:105]
	s_waitcnt lgkmcnt(2)
	v_add_f64 v[98:99], v[102:103], v[98:99]
	v_add_f64 v[98:99], v[98:99], v[100:101]
	v_lshlrev_b64 v[100:101], 3, v[0:1]
	s_waitcnt lgkmcnt(1)
	v_add_f64 v[98:99], v[98:99], v[106:107]
	v_mov_b32_e32 v102, s33
	v_add_co_u32_e64 v100, s[8:9], s29, v100
	s_waitcnt lgkmcnt(0)
	v_add_f64 v[98:99], v[98:99], v[108:109]
	v_addc_co_u32_e64 v101, s[8:9], v102, v101, s[8:9]
	global_store_dwordx2 v[100:101], v[98:99], off
	s_branch .LBB178_73
.LBB178_78:
	s_movk_i32 s2, 0x218
	s_or_b64 s[0:1], s[0:1], vcc
	v_mad_u32_u24 v0, v17, s2, v72
	s_xor_b64 s[0:1], s[0:1], -1
	ds_write_b64 v0, v[18:19]
	s_waitcnt lgkmcnt(0)
	s_barrier
	s_and_saveexec_b64 s[2:3], s[0:1]
	s_cbranch_execz .LBB178_80
; %bb.79:
	ds_read2_b64 v[0:3], v72 offset1:67
	ds_read2_b64 v[4:7], v72 offset0:134 offset1:201
	v_ashrrev_i32_e32 v17, 31, v16
	v_lshlrev_b64 v[8:9], 3, v[16:17]
	v_mov_b32_e32 v10, s33
	s_waitcnt lgkmcnt(1)
	v_add_f64 v[0:1], v[0:1], v[2:3]
	s_waitcnt lgkmcnt(0)
	v_add_f64 v[0:1], v[0:1], v[4:5]
	v_add_co_u32_e32 v2, vcc, s29, v8
	v_add_f64 v[0:1], v[0:1], v[6:7]
	v_addc_co_u32_e32 v3, vcc, v10, v9, vcc
	global_store_dwordx2 v[2:3], v[0:1], off
.LBB178_80:
	s_endpgm
	.section	.rodata,"a",@progbits
	.p2align	6, 0x0
	.amdhsa_kernel _ZL26rocblas_hemvn_kernel_lowerILb0ELi64ELi4ELi33ELi32ELi16EidPKPKdPdEviT6_lT7_lT5_lS6_lS7_lS5_lT8_i
		.amdhsa_group_segment_fixed_size 9600
		.amdhsa_private_segment_fixed_size 0
		.amdhsa_kernarg_size 376
		.amdhsa_user_sgpr_count 6
		.amdhsa_user_sgpr_private_segment_buffer 1
		.amdhsa_user_sgpr_dispatch_ptr 0
		.amdhsa_user_sgpr_queue_ptr 0
		.amdhsa_user_sgpr_kernarg_segment_ptr 1
		.amdhsa_user_sgpr_dispatch_id 0
		.amdhsa_user_sgpr_flat_scratch_init 0
		.amdhsa_user_sgpr_kernarg_preload_length 0
		.amdhsa_user_sgpr_kernarg_preload_offset 0
		.amdhsa_user_sgpr_private_segment_size 0
		.amdhsa_uses_dynamic_stack 0
		.amdhsa_system_sgpr_private_segment_wavefront_offset 0
		.amdhsa_system_sgpr_workgroup_id_x 1
		.amdhsa_system_sgpr_workgroup_id_y 0
		.amdhsa_system_sgpr_workgroup_id_z 1
		.amdhsa_system_sgpr_workgroup_info 0
		.amdhsa_system_vgpr_workitem_id 1
		.amdhsa_next_free_vgpr 122
		.amdhsa_next_free_sgpr 46
		.amdhsa_accum_offset 124
		.amdhsa_reserve_vcc 1
		.amdhsa_reserve_flat_scratch 0
		.amdhsa_float_round_mode_32 0
		.amdhsa_float_round_mode_16_64 0
		.amdhsa_float_denorm_mode_32 3
		.amdhsa_float_denorm_mode_16_64 3
		.amdhsa_dx10_clamp 1
		.amdhsa_ieee_mode 1
		.amdhsa_fp16_overflow 0
		.amdhsa_tg_split 0
		.amdhsa_exception_fp_ieee_invalid_op 0
		.amdhsa_exception_fp_denorm_src 0
		.amdhsa_exception_fp_ieee_div_zero 0
		.amdhsa_exception_fp_ieee_overflow 0
		.amdhsa_exception_fp_ieee_underflow 0
		.amdhsa_exception_fp_ieee_inexact 0
		.amdhsa_exception_int_div_zero 0
	.end_amdhsa_kernel
	.section	.text._ZL26rocblas_hemvn_kernel_lowerILb0ELi64ELi4ELi33ELi32ELi16EidPKPKdPdEviT6_lT7_lT5_lS6_lS7_lS5_lT8_i,"axG",@progbits,_ZL26rocblas_hemvn_kernel_lowerILb0ELi64ELi4ELi33ELi32ELi16EidPKPKdPdEviT6_lT7_lT5_lS6_lS7_lS5_lT8_i,comdat
.Lfunc_end178:
	.size	_ZL26rocblas_hemvn_kernel_lowerILb0ELi64ELi4ELi33ELi32ELi16EidPKPKdPdEviT6_lT7_lT5_lS6_lS7_lS5_lT8_i, .Lfunc_end178-_ZL26rocblas_hemvn_kernel_lowerILb0ELi64ELi4ELi33ELi32ELi16EidPKPKdPdEviT6_lT7_lT5_lS6_lS7_lS5_lT8_i
                                        ; -- End function
	.section	.AMDGPU.csdata,"",@progbits
; Kernel info:
; codeLenInByte = 6212
; NumSgprs: 50
; NumVgprs: 122
; NumAgprs: 0
; TotalNumVgprs: 122
; ScratchSize: 0
; MemoryBound: 0
; FloatMode: 240
; IeeeMode: 1
; LDSByteSize: 9600 bytes/workgroup (compile time only)
; SGPRBlocks: 6
; VGPRBlocks: 15
; NumSGPRsForWavesPerEU: 50
; NumVGPRsForWavesPerEU: 122
; AccumOffset: 124
; Occupancy: 4
; WaveLimiterHint : 1
; COMPUTE_PGM_RSRC2:SCRATCH_EN: 0
; COMPUTE_PGM_RSRC2:USER_SGPR: 6
; COMPUTE_PGM_RSRC2:TRAP_HANDLER: 0
; COMPUTE_PGM_RSRC2:TGID_X_EN: 1
; COMPUTE_PGM_RSRC2:TGID_Y_EN: 0
; COMPUTE_PGM_RSRC2:TGID_Z_EN: 1
; COMPUTE_PGM_RSRC2:TIDIG_COMP_CNT: 1
; COMPUTE_PGM_RSRC3_GFX90A:ACCUM_OFFSET: 30
; COMPUTE_PGM_RSRC3_GFX90A:TG_SPLIT: 0
	.section	.text._ZL36rocblas_hemvn_kernel_lower_block_sumILi64EidPKPddEviT1_lS3_lT2_lT0_lPT3_i,"axG",@progbits,_ZL36rocblas_hemvn_kernel_lower_block_sumILi64EidPKPddEviT1_lS3_lT2_lT0_lPT3_i,comdat
	.globl	_ZL36rocblas_hemvn_kernel_lower_block_sumILi64EidPKPddEviT1_lS3_lT2_lT0_lPT3_i ; -- Begin function _ZL36rocblas_hemvn_kernel_lower_block_sumILi64EidPKPddEviT1_lS3_lT2_lT0_lPT3_i
	.p2align	8
	.type	_ZL36rocblas_hemvn_kernel_lower_block_sumILi64EidPKPddEviT1_lS3_lT2_lT0_lPT3_i,@function
_ZL36rocblas_hemvn_kernel_lower_block_sumILi64EidPKPddEviT1_lS3_lT2_lT0_lPT3_i: ; @_ZL36rocblas_hemvn_kernel_lower_block_sumILi64EidPKPddEviT1_lS3_lT2_lT0_lPT3_i
; %bb.0:
	s_load_dwordx2 s[2:3], s[4:5], 0x8
	s_load_dwordx2 s[8:9], s[4:5], 0x18
	s_waitcnt lgkmcnt(0)
	v_cmp_eq_f64_e64 s[0:1], s[2:3], 0
	v_cmp_eq_f64_e64 s[10:11], s[8:9], 1.0
	s_and_b64 s[0:1], s[0:1], s[10:11]
	s_and_b64 vcc, exec, s[0:1]
	s_cbranch_vccnz .LBB179_19
; %bb.1:
	s_load_dwordx4 s[16:19], s[4:5], 0x28
	s_load_dword s20, s[4:5], 0x38
	s_load_dword s14, s[4:5], 0x0
	s_mov_b32 s12, s7
	s_mov_b32 s13, 0
	s_lshl_b64 s[0:1], s[12:13], 3
	s_waitcnt lgkmcnt(0)
	s_add_u32 s0, s16, s0
	s_addc_u32 s1, s17, s1
	s_load_dwordx2 s[0:1], s[0:1], 0x0
	s_lshl_b64 s[18:19], s[18:19], 3
	v_lshl_or_b32 v6, s6, 6, v0
	v_cmp_neq_f64_e64 s[16:17], s[2:3], 0
	s_mov_b64 s[10:11], 0
	s_waitcnt lgkmcnt(0)
	s_add_u32 s7, s0, s18
	s_addc_u32 s13, s1, s19
	s_and_b64 vcc, exec, s[16:17]
	v_cmp_gt_i32_e64 s[0:1], s14, v6
	s_cbranch_vccnz .LBB179_6
; %bb.2:
	s_mov_b64 s[16:17], 0
                                        ; implicit-def: $vgpr2_vgpr3
                                        ; implicit-def: $vgpr0_vgpr1
	s_and_saveexec_b64 s[18:19], s[0:1]
	s_cbranch_execz .LBB179_7
; %bb.3:
	v_cmp_eq_f64_e64 s[0:1], s[8:9], 0
	v_mul_lo_u32 v0, v6, s20
	v_pk_mov_b32 v[2:3], 0, 0
	v_ashrrev_i32_e32 v1, 31, v0
	s_and_b64 vcc, exec, s[0:1]
	s_cbranch_vccnz .LBB179_5
; %bb.4:
	v_lshlrev_b64 v[2:3], 3, v[0:1]
	v_mov_b32_e32 v4, s13
	v_add_co_u32_e32 v2, vcc, s7, v2
	v_addc_co_u32_e32 v3, vcc, v4, v3, vcc
	global_load_dwordx2 v[2:3], v[2:3], off
	s_waitcnt vmcnt(0)
	v_mul_f64 v[2:3], v[2:3], s[8:9]
.LBB179_5:
	s_mov_b64 s[10:11], exec
	s_or_b64 exec, exec, s[18:19]
	s_and_b64 vcc, exec, s[16:17]
	s_cbranch_vccnz .LBB179_8
	s_branch .LBB179_17
.LBB179_6:
                                        ; implicit-def: $vgpr2_vgpr3
                                        ; implicit-def: $vgpr0_vgpr1
	s_cbranch_execnz .LBB179_8
	s_branch .LBB179_17
.LBB179_7:
	s_or_b64 exec, exec, s[18:19]
	s_and_b64 vcc, exec, s[16:17]
	s_cbranch_vccz .LBB179_17
.LBB179_8:
	v_cmp_gt_i32_e32 vcc, s14, v6
                                        ; implicit-def: $vgpr2_vgpr3
                                        ; implicit-def: $vgpr0_vgpr1
	s_and_saveexec_b64 s[0:1], vcc
	s_cbranch_execz .LBB179_16
; %bb.9:
	s_load_dword s16, s[4:5], 0x58
	v_pk_mov_b32 v[4:5], 0, 0
	s_waitcnt lgkmcnt(0)
	s_cmp_ge_i32 s6, s16
	s_cbranch_scc1 .LBB179_12
; %bb.10:
	s_ashr_i32 s15, s14, 31
	s_mul_i32 s17, s6, s14
	s_load_dwordx2 s[4:5], s[4:5], 0x48
	v_add_u32_e32 v0, s17, v6
	s_mul_hi_u32 s17, s14, s12
	s_mul_i32 s18, s15, s12
	s_add_i32 s17, s17, s18
	s_mul_i32 s12, s14, s12
	s_mul_i32 s17, s17, s16
	s_mul_hi_u32 s18, s12, s16
	s_add_i32 s19, s18, s17
	s_mul_i32 s18, s12, s16
	s_lshl_b64 s[18:19], s[18:19], 3
	v_ashrrev_i32_e32 v1, 31, v0
	s_waitcnt lgkmcnt(0)
	s_add_u32 s4, s4, s18
	v_lshlrev_b64 v[0:1], 3, v[0:1]
	s_addc_u32 s5, s5, s19
	v_mov_b32_e32 v2, s5
	v_add_co_u32_e32 v0, vcc, s4, v0
	s_lshl_b64 s[4:5], s[14:15], 3
	v_addc_co_u32_e32 v1, vcc, v2, v1, vcc
	v_pk_mov_b32 v[4:5], 0, 0
	v_mov_b32_e32 v2, s5
.LBB179_11:                             ; =>This Inner Loop Header: Depth=1
	global_load_dwordx2 v[8:9], v[0:1], off
	s_add_i32 s6, s6, 1
	v_add_co_u32_e32 v0, vcc, s4, v0
	v_addc_co_u32_e32 v1, vcc, v1, v2, vcc
	s_cmp_ge_i32 s6, s16
	s_waitcnt vmcnt(0)
	v_add_f64 v[4:5], v[4:5], v[8:9]
	s_cbranch_scc0 .LBB179_11
.LBB179_12:
	v_cmp_eq_f64_e64 s[14:15], s[8:9], 0
	v_mul_lo_u32 v0, v6, s20
	s_mov_b64 s[4:5], 0
	s_and_b64 vcc, exec, s[14:15]
	v_ashrrev_i32_e32 v1, 31, v0
	s_cbranch_vccz .LBB179_20
; %bb.13:
	v_mul_f64 v[2:3], v[4:5], s[2:3]
	s_andn2_b64 vcc, exec, s[4:5]
	s_cbranch_vccnz .LBB179_15
.LBB179_14:
	v_lshlrev_b64 v[2:3], 3, v[0:1]
	v_mov_b32_e32 v6, s13
	v_add_co_u32_e32 v2, vcc, s7, v2
	v_addc_co_u32_e32 v3, vcc, v6, v3, vcc
	global_load_dwordx2 v[2:3], v[2:3], off
	s_waitcnt vmcnt(0)
	v_mul_f64 v[2:3], v[2:3], s[8:9]
	v_fmac_f64_e32 v[2:3], s[2:3], v[4:5]
.LBB179_15:
	s_or_b64 s[10:11], s[10:11], exec
.LBB179_16:
	s_or_b64 exec, exec, s[0:1]
.LBB179_17:
	s_and_saveexec_b64 s[0:1], s[10:11]
	s_cbranch_execz .LBB179_19
; %bb.18:
	v_lshlrev_b64 v[0:1], 3, v[0:1]
	v_mov_b32_e32 v4, s13
	v_add_co_u32_e32 v0, vcc, s7, v0
	v_addc_co_u32_e32 v1, vcc, v4, v1, vcc
	global_store_dwordx2 v[0:1], v[2:3], off
.LBB179_19:
	s_endpgm
.LBB179_20:
                                        ; implicit-def: $vgpr2_vgpr3
	s_branch .LBB179_14
	.section	.rodata,"a",@progbits
	.p2align	6, 0x0
	.amdhsa_kernel _ZL36rocblas_hemvn_kernel_lower_block_sumILi64EidPKPddEviT1_lS3_lT2_lT0_lPT3_i
		.amdhsa_group_segment_fixed_size 0
		.amdhsa_private_segment_fixed_size 0
		.amdhsa_kernarg_size 344
		.amdhsa_user_sgpr_count 6
		.amdhsa_user_sgpr_private_segment_buffer 1
		.amdhsa_user_sgpr_dispatch_ptr 0
		.amdhsa_user_sgpr_queue_ptr 0
		.amdhsa_user_sgpr_kernarg_segment_ptr 1
		.amdhsa_user_sgpr_dispatch_id 0
		.amdhsa_user_sgpr_flat_scratch_init 0
		.amdhsa_user_sgpr_kernarg_preload_length 0
		.amdhsa_user_sgpr_kernarg_preload_offset 0
		.amdhsa_user_sgpr_private_segment_size 0
		.amdhsa_uses_dynamic_stack 0
		.amdhsa_system_sgpr_private_segment_wavefront_offset 0
		.amdhsa_system_sgpr_workgroup_id_x 1
		.amdhsa_system_sgpr_workgroup_id_y 0
		.amdhsa_system_sgpr_workgroup_id_z 1
		.amdhsa_system_sgpr_workgroup_info 0
		.amdhsa_system_vgpr_workitem_id 0
		.amdhsa_next_free_vgpr 10
		.amdhsa_next_free_sgpr 21
		.amdhsa_accum_offset 12
		.amdhsa_reserve_vcc 1
		.amdhsa_reserve_flat_scratch 0
		.amdhsa_float_round_mode_32 0
		.amdhsa_float_round_mode_16_64 0
		.amdhsa_float_denorm_mode_32 3
		.amdhsa_float_denorm_mode_16_64 3
		.amdhsa_dx10_clamp 1
		.amdhsa_ieee_mode 1
		.amdhsa_fp16_overflow 0
		.amdhsa_tg_split 0
		.amdhsa_exception_fp_ieee_invalid_op 0
		.amdhsa_exception_fp_denorm_src 0
		.amdhsa_exception_fp_ieee_div_zero 0
		.amdhsa_exception_fp_ieee_overflow 0
		.amdhsa_exception_fp_ieee_underflow 0
		.amdhsa_exception_fp_ieee_inexact 0
		.amdhsa_exception_int_div_zero 0
	.end_amdhsa_kernel
	.section	.text._ZL36rocblas_hemvn_kernel_lower_block_sumILi64EidPKPddEviT1_lS3_lT2_lT0_lPT3_i,"axG",@progbits,_ZL36rocblas_hemvn_kernel_lower_block_sumILi64EidPKPddEviT1_lS3_lT2_lT0_lPT3_i,comdat
.Lfunc_end179:
	.size	_ZL36rocblas_hemvn_kernel_lower_block_sumILi64EidPKPddEviT1_lS3_lT2_lT0_lPT3_i, .Lfunc_end179-_ZL36rocblas_hemvn_kernel_lower_block_sumILi64EidPKPddEviT1_lS3_lT2_lT0_lPT3_i
                                        ; -- End function
	.section	.AMDGPU.csdata,"",@progbits
; Kernel info:
; codeLenInByte = 616
; NumSgprs: 25
; NumVgprs: 10
; NumAgprs: 0
; TotalNumVgprs: 10
; ScratchSize: 0
; MemoryBound: 0
; FloatMode: 240
; IeeeMode: 1
; LDSByteSize: 0 bytes/workgroup (compile time only)
; SGPRBlocks: 3
; VGPRBlocks: 1
; NumSGPRsForWavesPerEU: 25
; NumVGPRsForWavesPerEU: 10
; AccumOffset: 12
; Occupancy: 8
; WaveLimiterHint : 1
; COMPUTE_PGM_RSRC2:SCRATCH_EN: 0
; COMPUTE_PGM_RSRC2:USER_SGPR: 6
; COMPUTE_PGM_RSRC2:TRAP_HANDLER: 0
; COMPUTE_PGM_RSRC2:TGID_X_EN: 1
; COMPUTE_PGM_RSRC2:TGID_Y_EN: 0
; COMPUTE_PGM_RSRC2:TGID_Z_EN: 1
; COMPUTE_PGM_RSRC2:TIDIG_COMP_CNT: 0
; COMPUTE_PGM_RSRC3_GFX90A:ACCUM_OFFSET: 2
; COMPUTE_PGM_RSRC3_GFX90A:TG_SPLIT: 0
	.section	.text._ZL26rocblas_hemvn_kernel_upperILb0ELi64ELi4ELi33ELi32ELi16ElPK19rocblas_complex_numIfEPKS3_PS1_EviT6_lT7_lT5_lS8_lS9_lS7_lT8_i,"axG",@progbits,_ZL26rocblas_hemvn_kernel_upperILb0ELi64ELi4ELi33ELi32ELi16ElPK19rocblas_complex_numIfEPKS3_PS1_EviT6_lT7_lT5_lS8_lS9_lS7_lT8_i,comdat
	.globl	_ZL26rocblas_hemvn_kernel_upperILb0ELi64ELi4ELi33ELi32ELi16ElPK19rocblas_complex_numIfEPKS3_PS1_EviT6_lT7_lT5_lS8_lS9_lS7_lT8_i ; -- Begin function _ZL26rocblas_hemvn_kernel_upperILb0ELi64ELi4ELi33ELi32ELi16ElPK19rocblas_complex_numIfEPKS3_PS1_EviT6_lT7_lT5_lS8_lS9_lS7_lT8_i
	.p2align	8
	.type	_ZL26rocblas_hemvn_kernel_upperILb0ELi64ELi4ELi33ELi32ELi16ElPK19rocblas_complex_numIfEPKS3_PS1_EviT6_lT7_lT5_lS8_lS9_lS7_lT8_i,@function
_ZL26rocblas_hemvn_kernel_upperILb0ELi64ELi4ELi33ELi32ELi16ElPK19rocblas_complex_numIfEPKS3_PS1_EviT6_lT7_lT5_lS8_lS9_lS7_lT8_i: ; @_ZL26rocblas_hemvn_kernel_upperILb0ELi64ELi4ELi33ELi32ELi16ElPK19rocblas_complex_numIfEPKS3_PS1_EviT6_lT7_lT5_lS8_lS9_lS7_lT8_i
; %bb.0:
	s_load_dwordx2 s[0:1], s[4:5], 0x84
	s_add_u32 s18, s4, 0x78
	s_addc_u32 s19, s5, 0
	s_waitcnt lgkmcnt(0)
	s_lshr_b32 s2, s0, 16
	s_and_b32 s0, s0, 0xffff
	s_and_b32 s1, s1, 0xffff
	s_mul_i32 s0, s2, s0
	s_mul_i32 s0, s0, s1
	s_cmpk_lg_i32 s0, 0x100
	s_cbranch_scc1 .LBB180_154
; %bb.1:
	s_load_dwordx8 s[8:15], s[4:5], 0x8
	s_mov_b32 s26, s7
	s_mov_b32 s27, 0
	s_waitcnt lgkmcnt(0)
	s_mul_i32 s0, s7, s11
	s_mul_hi_u32 s1, s7, s10
	s_add_i32 s1, s1, s0
	s_mul_i32 s0, s7, s10
	s_lshl_b64 s[0:1], s[0:1], 3
	s_add_u32 s8, s8, s0
	s_addc_u32 s9, s9, s1
	s_load_dwordx2 s[10:11], s[8:9], 0x0
	s_load_dwordx2 s[28:29], s[4:5], 0x68
	;; [unrolled: 1-line block ×3, first 2 shown]
	s_load_dwordx4 s[0:3], s[4:5], 0x58
	s_waitcnt lgkmcnt(0)
	s_or_b32 s7, s10, s11
	s_bitset0_b32 s7, 31
	s_cmp_lg_u32 s7, 0
	s_cselect_b64 s[20:21], -1, 0
	s_and_b64 vcc, exec, s[20:21]
	s_cbranch_vccnz .LBB180_4
; %bb.2:
	s_mul_i32 s3, s26, s3
	s_mul_hi_u32 s7, s26, s2
	s_add_i32 s3, s7, s3
	s_mul_i32 s2, s26, s2
	s_lshl_b64 s[2:3], s[2:3], 3
	s_add_u32 s0, s0, s2
	s_addc_u32 s1, s1, s3
	s_load_dwordx2 s[0:1], s[0:1], 0x0
	s_mov_b64 s[8:9], 0
	s_waitcnt lgkmcnt(0)
	v_cmp_eq_f32_e64 s[2:3], s0, 1.0
	v_cmp_eq_f32_e64 s[0:1], s1, 0
	s_and_b64 s[0:1], s[2:3], s[0:1]
	s_andn2_b64 vcc, exec, s[0:1]
	s_mov_b64 s[0:1], 0
                                        ; implicit-def: $sgpr2_sgpr3
	s_cbranch_vccz .LBB180_5
; %bb.3:
	s_mov_b64 s[0:1], -1
	s_mov_b64 s[2:3], 0
	s_branch .LBB180_5
.LBB180_4:
	s_mov_b64 s[8:9], -1
	s_mov_b64 s[0:1], 0
                                        ; implicit-def: $sgpr2_sgpr3
.LBB180_5:
	s_and_b64 vcc, exec, s[8:9]
	s_cbranch_vccz .LBB180_7
; %bb.6:
	s_lshl_b64 s[0:1], s[26:27], 3
	s_add_u32 s0, s12, s0
	s_addc_u32 s1, s13, s1
	s_load_dwordx2 s[0:1], s[0:1], 0x0
	s_lshl_b64 s[2:3], s[14:15], 3
	s_waitcnt lgkmcnt(0)
	s_add_u32 s2, s0, s2
	s_addc_u32 s3, s1, s3
	s_mov_b64 s[0:1], -1
.LBB180_7:
	s_andn2_b64 vcc, exec, s[0:1]
	s_cbranch_vccnz .LBB180_154
; %bb.8:
	s_load_dwordx4 s[8:11], s[4:5], 0x38
	s_load_dwordx2 s[16:17], s[4:5], 0x48
	v_cndmask_b32_e64 v1, 0, 1, s[20:21]
	v_cmp_ne_u32_e64 s[0:1], 1, v1
	s_andn2_b64 vcc, exec, s[20:21]
	s_mov_b64 s[12:13], 0
	s_cbranch_vccnz .LBB180_10
; %bb.9:
	s_lshl_b64 s[12:13], s[26:27], 3
	s_waitcnt lgkmcnt(0)
	s_add_u32 s8, s8, s12
	s_addc_u32 s9, s9, s13
	s_load_dwordx2 s[8:9], s[8:9], 0x0
	s_lshl_b64 s[10:11], s[10:11], 3
	s_waitcnt lgkmcnt(0)
	s_add_u32 s12, s8, s10
	s_addc_u32 s13, s9, s11
.LBB180_10:
	s_and_b64 vcc, exec, s[0:1]
	s_cbranch_vccnz .LBB180_154
; %bb.11:
	s_load_dword s7, s[18:19], 0x0
	s_load_dword s33, s[4:5], 0x0
	v_and_b32_e32 v65, 0x3ff, v0
	s_lshl_b32 s24, s6, 6
	v_add_u32_e32 v28, s24, v65
	s_waitcnt lgkmcnt(0)
	s_add_i32 s0, s7, -1
	s_ashr_i32 s38, s33, 31
	s_lshr_b32 s1, s38, 26
	s_add_i32 s1, s33, s1
	s_andn2_b32 s1, s1, 63
	s_sub_i32 s27, s33, s1
	v_ashrrev_i32_e32 v29, 31, v28
	v_bfe_u32 v120, v0, 10, 10
	s_cmp_eq_u32 s6, s0
	v_mul_lo_u32 v2, v29, s16
	v_mul_lo_u32 v3, v28, s17
	v_mad_u64_u32 v[0:1], s[0:1], v28, s16, 0
	v_add3_u32 v1, v1, v3, v2
	v_lshlrev_b64 v[0:1], 3, v[0:1]
	v_mov_b32_e32 v2, s13
	v_add_co_u32_e32 v14, vcc, s12, v0
	s_cselect_b32 s18, s27, 0
	v_addc_co_u32_e32 v15, vcc, v2, v1, vcc
	v_cmp_eq_u32_e64 s[0:1], 0, v120
	s_and_saveexec_b64 s[4:5], s[0:1]
	s_cbranch_execz .LBB180_16
; %bb.12:
	s_cmp_lg_u32 s18, 0
	s_cselect_b64 s[8:9], -1, 0
	v_cmp_le_i32_e32 vcc, s18, v65
	v_mov_b32_e32 v0, 0x2380
	s_and_b64 s[8:9], s[8:9], vcc
	v_lshl_add_u32 v0, v65, 3, v0
	s_and_saveexec_b64 s[10:11], s[8:9]
	s_xor_b64 s[8:9], exec, s[10:11]
	s_cbranch_execz .LBB180_14
; %bb.13:
	v_mov_b32_e32 v2, 0
	v_mov_b32_e32 v3, v2
	ds_write_b64 v0, v[2:3]
                                        ; implicit-def: $vgpr0
.LBB180_14:
	s_andn2_saveexec_b64 s[8:9], s[8:9]
	s_cbranch_execz .LBB180_16
; %bb.15:
	flat_load_dwordx2 v[2:3], v[14:15]
	s_waitcnt vmcnt(0) lgkmcnt(0)
	ds_write_b64 v0, v[2:3]
.LBB180_16:
	s_or_b64 exec, exec, s[4:5]
	s_ashr_i32 s25, s24, 31
	v_lshl_add_u32 v22, v120, 6, v65
	s_lshl_b64 s[4:5], s[24:25], 3
	v_and_b32_e32 v0, 31, v65
	v_lshrrev_b32_e32 v10, 5, v22
	s_add_u32 s4, s2, s4
	v_mov_b32_e32 v1, 0
	s_addc_u32 s5, s3, s5
	v_mad_u64_u32 v[2:3], s[2:3], v10, s22, v[0:1]
	v_mov_b32_e32 v4, v3
	v_mad_u64_u32 v[4:5], s[2:3], v10, s23, v[4:5]
	s_mul_i32 s2, s24, s23
	s_mul_hi_u32 s3, s24, s22
	s_add_i32 s2, s3, s2
	s_mul_i32 s3, s25, s22
	s_add_i32 s3, s2, s3
	s_mul_i32 s2, s24, s22
	s_lshl_b64 s[2:3], s[2:3], 3
	s_add_u32 s2, s2, s4
	v_mov_b32_e32 v3, v4
	s_addc_u32 s3, s3, s5
	v_lshlrev_b64 v[12:13], 3, v[2:3]
	s_cmp_eq_u32 s18, 0
	v_mov_b32_e32 v3, s3
	v_add_co_u32_e32 v2, vcc, s2, v12
	s_cselect_b64 s[20:21], -1, 0
	s_cmp_lg_u32 s18, 0
	v_addc_co_u32_e32 v3, vcc, v3, v13, vcc
	s_cselect_b64 s[30:31], -1, 0
	s_and_b64 vcc, exec, s[30:31]
	v_cmp_gt_i32_e64 s[2:3], s18, v0
	v_lshlrev_b32_e32 v11, 3, v0
	s_mul_i32 s39, s23, 0xc0
	s_cbranch_vccz .LBB180_32
; %bb.17:
	v_sub_co_u32_e32 v4, vcc, v2, v11
	s_ashr_i32 s19, s18, 31
	v_subbrev_co_u32_e32 v5, vcc, 0, v3, vcc
	s_lshl_b64 s[4:5], s[18:19], 3
	v_mov_b32_e32 v6, s5
	v_add_co_u32_e32 v4, vcc, s4, v4
	v_addc_co_u32_e32 v5, vcc, v5, v6, vcc
	v_add_co_u32_e32 v4, vcc, -8, v4
	v_addc_co_u32_e32 v5, vcc, -1, v5, vcc
	v_cndmask_b32_e64 v5, v5, v3, s[2:3]
	v_cndmask_b32_e64 v4, v4, v2, s[2:3]
	v_cmp_gt_i32_e32 vcc, s18, v10
	v_mov_b32_e32 v7, 0
	s_and_saveexec_b64 s[8:9], vcc
	s_cbranch_execz .LBB180_19
; %bb.18:
	flat_load_dwordx2 v[6:7], v[4:5]
	s_waitcnt vmcnt(0) lgkmcnt(0)
	v_mov_b32_e32 v1, v6
.LBB180_19:
	s_or_b64 exec, exec, s[8:9]
	v_mul_u32_u24_e32 v6, 33, v10
	v_add_lshl_u32 v8, v6, v0, 3
	v_mov_b32_e32 v6, v1
	v_add_u32_e32 v1, 8, v10
	v_cmp_le_i32_e32 vcc, s18, v1
	ds_write_b64 v8, v[6:7]
	s_and_saveexec_b64 s[8:9], vcc
	s_xor_b64 s[8:9], exec, s[8:9]
	s_cbranch_execz .LBB180_21
; %bb.20:
	v_mul_u32_u24_e32 v1, 33, v1
	v_mov_b32_e32 v6, 0
	v_add_lshl_u32 v1, v1, v0, 3
	v_mov_b32_e32 v7, v6
	ds_write_b64 v1, v[6:7]
.LBB180_21:
	s_andn2_saveexec_b64 s[8:9], s[8:9]
	s_cbranch_execz .LBB180_23
; %bb.22:
	s_lshl_b64 s[10:11], s[22:23], 6
	v_mov_b32_e32 v1, s11
	v_add_co_u32_e32 v6, vcc, s10, v4
	v_addc_co_u32_e32 v7, vcc, v5, v1, vcc
	flat_load_dwordx2 v[6:7], v[6:7]
	s_waitcnt vmcnt(0) lgkmcnt(0)
	ds_write_b64 v8, v[6:7] offset:2112
.LBB180_23:
	s_or_b64 exec, exec, s[8:9]
	v_add_u32_e32 v1, 16, v10
	v_cmp_le_i32_e32 vcc, s18, v1
	s_and_saveexec_b64 s[8:9], vcc
	s_xor_b64 s[8:9], exec, s[8:9]
	s_cbranch_execz .LBB180_25
; %bb.24:
	v_mov_b32_e32 v6, 0
	v_mov_b32_e32 v7, v6
	ds_write_b64 v8, v[6:7] offset:4224
.LBB180_25:
	s_andn2_saveexec_b64 s[8:9], s[8:9]
	s_cbranch_execz .LBB180_27
; %bb.26:
	s_lshl_b64 s[10:11], s[22:23], 7
	v_mov_b32_e32 v1, s11
	v_add_co_u32_e32 v6, vcc, s10, v4
	v_addc_co_u32_e32 v7, vcc, v5, v1, vcc
	flat_load_dwordx2 v[6:7], v[6:7]
	s_waitcnt vmcnt(0) lgkmcnt(0)
	ds_write_b64 v8, v[6:7] offset:4224
.LBB180_27:
	s_or_b64 exec, exec, s[8:9]
	v_add_u32_e32 v1, 24, v10
	v_cmp_le_i32_e32 vcc, s18, v1
	s_and_saveexec_b64 s[8:9], vcc
	s_xor_b64 s[8:9], exec, s[8:9]
	s_cbranch_execz .LBB180_29
; %bb.28:
	v_mov_b32_e32 v6, 0
	v_mov_b32_e32 v7, v6
	ds_write_b64 v8, v[6:7] offset:6336
                                        ; implicit-def: $vgpr8
.LBB180_29:
	s_andn2_saveexec_b64 s[8:9], s[8:9]
	s_cbranch_execz .LBB180_31
; %bb.30:
	v_mov_b32_e32 v1, 0xc0
	v_mad_u64_u32 v[6:7], s[10:11], s22, v1, v[4:5]
	v_add_u32_e32 v7, s39, v7
	flat_load_dwordx2 v[6:7], v[6:7]
	s_waitcnt vmcnt(0) lgkmcnt(0)
	ds_write_b64 v8, v[6:7] offset:6336
.LBB180_31:
	s_or_b64 exec, exec, s[8:9]
	v_add_co_u32_e32 v1, vcc, v4, v11
	v_addc_co_u32_e32 v4, vcc, 0, v5, vcc
	v_mov_b32_e32 v5, s5
	v_subrev_co_u32_e32 v1, vcc, s4, v1
	v_subb_co_u32_e32 v4, vcc, v4, v5, vcc
	v_add_co_u32_e32 v1, vcc, 8, v1
	v_addc_co_u32_e32 v4, vcc, 0, v4, vcc
	v_cndmask_b32_e64 v5, v4, v3, s[2:3]
	v_cndmask_b32_e64 v4, v1, v2, s[2:3]
	v_mul_u32_u24_e32 v18, 33, v10
	s_branch .LBB180_34
.LBB180_32:
                                        ; implicit-def: $vgpr4_vgpr5
	v_mul_u32_u24_e32 v18, 33, v10
	s_cbranch_execz .LBB180_34
; %bb.33:
	flat_load_dwordx2 v[4:5], v[2:3]
	s_lshl_b64 s[2:3], s[22:23], 6
	v_add_lshl_u32 v1, v18, v0, 3
	v_mov_b32_e32 v8, s3
	v_add_co_u32_e32 v6, vcc, s2, v2
	v_addc_co_u32_e32 v7, vcc, v3, v8, vcc
	s_waitcnt vmcnt(0) lgkmcnt(0)
	ds_write_b64 v1, v[4:5]
	flat_load_dwordx2 v[4:5], v[6:7]
	v_add_co_u32_e32 v6, vcc, s2, v6
	v_addc_co_u32_e32 v7, vcc, v7, v8, vcc
	s_waitcnt vmcnt(0) lgkmcnt(0)
	ds_write_b64 v1, v[4:5] offset:2112
	flat_load_dwordx2 v[4:5], v[6:7]
	v_mov_b32_e32 v6, 0xc0
	v_mad_u64_u32 v[6:7], s[2:3], s22, v6, v[2:3]
	v_add_u32_e32 v7, s39, v7
	s_waitcnt vmcnt(0) lgkmcnt(0)
	ds_write_b64 v1, v[4:5] offset:4224
	flat_load_dwordx2 v[4:5], v[6:7]
	s_waitcnt vmcnt(0) lgkmcnt(0)
	ds_write_b64 v1, v[4:5] offset:6336
	v_pk_mov_b32 v[4:5], v[2:3], v[2:3] op_sel:[0,1]
.LBB180_34:
	v_lshlrev_b32_e32 v2, 2, v10
	v_mul_u32_u24_e32 v1, 33, v0
	v_cmp_gt_u32_e64 s[4:5], v2, v0
	v_add_lshl_u32 v16, v2, v1, 3
	s_waitcnt lgkmcnt(0)
	s_barrier
	s_and_saveexec_b64 s[2:3], s[4:5]
	s_cbranch_execz .LBB180_36
; %bb.35:
	v_mul_u32_u24_e32 v3, 0x84, v10
	v_add_lshl_u32 v3, v3, v0, 3
	ds_read_b64 v[6:7], v3
	s_waitcnt lgkmcnt(0)
	ds_write_b64 v16, v[6:7]
.LBB180_36:
	s_or_b64 exec, exec, s[2:3]
	v_cmp_ge_u32_e64 s[14:15], v2, v0
	s_and_saveexec_b64 s[2:3], s[14:15]
	s_cbranch_execz .LBB180_38
; %bb.37:
	v_or_b32_e32 v3, 1, v2
	v_mul_u32_u24_e32 v3, 33, v3
	v_add_lshl_u32 v3, v3, v0, 3
	ds_read_b64 v[6:7], v3
	s_waitcnt lgkmcnt(0)
	ds_write_b64 v16, v[6:7] offset:8
.LBB180_38:
	s_or_b64 exec, exec, s[2:3]
	v_or_b32_e32 v3, 2, v2
	v_cmp_gt_u32_e64 s[8:9], v3, v0
	s_and_saveexec_b64 s[2:3], s[8:9]
	s_cbranch_execz .LBB180_40
; %bb.39:
	v_mul_u32_u24_e32 v3, 33, v3
	v_add_lshl_u32 v3, v3, v0, 3
	ds_read_b64 v[6:7], v3
	s_waitcnt lgkmcnt(0)
	ds_write_b64 v16, v[6:7] offset:16
.LBB180_40:
	s_or_b64 exec, exec, s[2:3]
	v_or_b32_e32 v3, 3, v2
	v_cmp_gt_u32_e64 s[10:11], v3, v0
	v_mad_u32_u24 v3, v3, 33, v0
	v_lshlrev_b32_e32 v19, 3, v3
	s_and_saveexec_b64 s[2:3], s[10:11]
	s_cbranch_execz .LBB180_42
; %bb.41:
	ds_read_b64 v[6:7], v19
	s_waitcnt lgkmcnt(0)
	ds_write_b64 v16, v[6:7] offset:24
.LBB180_42:
	s_or_b64 exec, exec, s[2:3]
	v_mul_u32_u24_e32 v3, 0x84, v10
	v_add_lshl_u32 v20, v3, v0, 3
	s_waitcnt lgkmcnt(0)
	s_barrier
	v_lshlrev_b32_e32 v17, 3, v2
	v_add_u32_e32 v21, 0xfffffdf0, v19
	ds_read_b64 v[2:3], v20
	ds_read_b128 v[6:9], v17 offset:9088
	ds_read2_b64 v[24:27], v21 offset1:33
	ds_read_b64 v[34:35], v19
	ds_read_b128 v[30:33], v17 offset:9104
	s_mov_b32 s12, 0
	s_mov_b32 s13, s12
	s_waitcnt lgkmcnt(3)
	v_pk_mul_f32 v[36:37], v[6:7], v[2:3] op_sel:[0,1]
	v_pk_fma_f32 v[38:39], v[6:7], v[2:3], v[36:37] op_sel:[0,0,1] op_sel_hi:[1,1,0] neg_lo:[0,0,1] neg_hi:[0,0,1]
	v_pk_fma_f32 v[2:3], v[6:7], v[2:3], v[36:37] op_sel:[0,0,1] op_sel_hi:[1,0,0]
	s_waitcnt lgkmcnt(2)
	v_pk_mul_f32 v[6:7], v[8:9], v[24:25] op_sel:[0,1]
	v_pk_fma_f32 v[36:37], v[8:9], v[24:25], v[6:7] op_sel:[0,0,1] op_sel_hi:[1,1,0] neg_lo:[0,0,1] neg_hi:[0,0,1]
	v_pk_fma_f32 v[6:7], v[8:9], v[24:25], v[6:7] op_sel:[0,0,1] op_sel_hi:[1,0,0]
	v_mov_b32_e32 v39, v3
	v_mov_b32_e32 v37, v7
	s_waitcnt lgkmcnt(0)
	v_pk_mul_f32 v[6:7], v[30:31], v[26:27] op_sel:[0,1]
	v_pk_add_f32 v[2:3], v[38:39], 0 op_sel_hi:[1,0]
	v_pk_fma_f32 v[8:9], v[30:31], v[26:27], v[6:7] op_sel:[0,0,1] op_sel_hi:[1,1,0] neg_lo:[0,0,1] neg_hi:[0,0,1]
	v_pk_fma_f32 v[6:7], v[30:31], v[26:27], v[6:7] op_sel:[0,0,1] op_sel_hi:[1,0,0]
	v_pk_add_f32 v[2:3], v[2:3], v[36:37]
	v_mov_b32_e32 v9, v7
	v_pk_mul_f32 v[6:7], v[32:33], v[34:35] op_sel:[0,1]
	v_pk_add_f32 v[2:3], v[2:3], v[8:9]
	v_pk_fma_f32 v[8:9], v[32:33], v[34:35], v[6:7] op_sel:[0,0,1] op_sel_hi:[1,1,0] neg_lo:[0,0,1] neg_hi:[0,0,1]
	v_pk_fma_f32 v[6:7], v[32:33], v[34:35], v[6:7] op_sel:[0,0,1] op_sel_hi:[1,0,0]
	v_mov_b32_e32 v9, v7
	v_add_lshl_u32 v23, v10, v1, 3
	v_pk_add_f32 v[2:3], v[2:3], v[8:9]
	v_cmp_gt_u32_e64 s[2:3], 32, v22
	v_pk_mov_b32 v[30:31], s[12:13], s[12:13] op_sel:[0,1]
	v_lshlrev_b32_e32 v24, 3, v1
	s_barrier
	ds_write_b64 v23, v[2:3]
	s_waitcnt lgkmcnt(0)
	s_barrier
	s_and_saveexec_b64 s[12:13], s[2:3]
	s_cbranch_execz .LBB180_44
; %bb.43:
	ds_read2_b64 v[6:9], v24 offset1:7
	ds_read2_b64 v[30:33], v24 offset0:1 offset1:2
	ds_read2_b64 v[34:37], v24 offset0:3 offset1:4
	s_waitcnt lgkmcnt(1)
	v_add_f32_e32 v2, v30, v6
	v_add_f32_e32 v3, v31, v7
	;; [unrolled: 1-line block ×4, first 2 shown]
	ds_read2_b64 v[30:33], v24 offset0:5 offset1:6
	s_waitcnt lgkmcnt(1)
	v_add_f32_e32 v2, v2, v34
	v_add_f32_e32 v3, v3, v35
	;; [unrolled: 1-line block ×4, first 2 shown]
	s_waitcnt lgkmcnt(0)
	v_add_f32_e32 v2, v2, v30
	v_add_f32_e32 v3, v3, v31
	v_add_f32_e32 v2, v2, v32
	v_add_f32_e32 v3, v3, v33
	v_pk_add_f32 v[30:31], v[2:3], v[8:9]
.LBB180_44:
	s_or_b64 exec, exec, s[12:13]
	s_lshl_b64 s[12:13], s[22:23], 8
	v_mov_b32_e32 v2, s13
	v_add_co_u32_e32 v4, vcc, s12, v4
	v_addc_co_u32_e32 v5, vcc, v5, v2, vcc
	v_add_co_u32_e32 v2, vcc, 0x100, v4
	v_addc_co_u32_e32 v3, vcc, 0, v5, vcc
	s_and_b64 vcc, exec, s[30:31]
	s_barrier
	s_cbranch_vccz .LBB180_60
; %bb.45:
	v_or_b32_e32 v6, 32, v0
	v_lshlrev_b32_e32 v7, 3, v6
	v_sub_co_u32_e32 v7, vcc, v2, v7
	s_ashr_i32 s19, s18, 31
	v_subbrev_co_u32_e32 v8, vcc, 0, v3, vcc
	s_lshl_b64 s[34:35], s[18:19], 3
	v_mov_b32_e32 v9, s35
	v_add_co_u32_e32 v7, vcc, s34, v7
	v_addc_co_u32_e32 v8, vcc, v8, v9, vcc
	v_add_co_u32_e32 v9, vcc, -8, v7
	v_addc_co_u32_e32 v7, vcc, -1, v8, vcc
	v_cmp_gt_i32_e64 s[12:13], s18, v6
	s_sub_i32 s19, s18, 32
	v_mov_b32_e32 v8, 0
	v_cndmask_b32_e64 v7, v7, v3, s[12:13]
	v_cndmask_b32_e64 v6, v9, v2, s[12:13]
	v_cmp_gt_i32_e32 vcc, s19, v10
	v_mov_b32_e32 v9, v8
	s_and_saveexec_b64 s[36:37], vcc
	s_cbranch_execz .LBB180_47
; %bb.46:
	flat_load_dwordx2 v[8:9], v[6:7]
.LBB180_47:
	s_or_b64 exec, exec, s[36:37]
	v_add_lshl_u32 v25, v18, v0, 3
	s_waitcnt vmcnt(0) lgkmcnt(0)
	ds_write_b64 v25, v[8:9]
	v_add_u32_e32 v8, 8, v10
	v_cmp_le_i32_e32 vcc, s19, v8
	s_and_saveexec_b64 s[36:37], vcc
	s_xor_b64 s[36:37], exec, s[36:37]
	s_cbranch_execz .LBB180_49
; %bb.48:
	v_mul_u32_u24_e32 v8, 33, v8
	v_add_lshl_u32 v26, v8, v0, 3
	v_mov_b32_e32 v8, 0
	v_mov_b32_e32 v9, v8
	ds_write_b64 v26, v[8:9]
.LBB180_49:
	s_andn2_saveexec_b64 s[36:37], s[36:37]
	s_cbranch_execz .LBB180_51
; %bb.50:
	s_lshl_b64 s[40:41], s[22:23], 6
	v_mov_b32_e32 v9, s41
	v_add_co_u32_e32 v8, vcc, s40, v6
	v_addc_co_u32_e32 v9, vcc, v7, v9, vcc
	flat_load_dwordx2 v[8:9], v[8:9]
	s_waitcnt vmcnt(0) lgkmcnt(0)
	ds_write_b64 v25, v[8:9] offset:2112
.LBB180_51:
	s_or_b64 exec, exec, s[36:37]
	v_add_u32_e32 v8, 16, v10
	v_cmp_le_i32_e32 vcc, s19, v8
	s_and_saveexec_b64 s[36:37], vcc
	s_xor_b64 s[36:37], exec, s[36:37]
	s_cbranch_execz .LBB180_53
; %bb.52:
	v_mov_b32_e32 v8, 0
	v_mov_b32_e32 v9, v8
	ds_write_b64 v25, v[8:9] offset:4224
.LBB180_53:
	s_andn2_saveexec_b64 s[36:37], s[36:37]
	s_cbranch_execz .LBB180_55
; %bb.54:
	s_lshl_b64 s[40:41], s[22:23], 7
	v_mov_b32_e32 v9, s41
	v_add_co_u32_e32 v8, vcc, s40, v6
	v_addc_co_u32_e32 v9, vcc, v7, v9, vcc
	flat_load_dwordx2 v[8:9], v[8:9]
	s_waitcnt vmcnt(0) lgkmcnt(0)
	ds_write_b64 v25, v[8:9] offset:4224
.LBB180_55:
	s_or_b64 exec, exec, s[36:37]
	v_add_u32_e32 v8, 24, v10
	v_cmp_le_i32_e32 vcc, s19, v8
	s_and_saveexec_b64 s[36:37], vcc
	s_xor_b64 s[36:37], exec, s[36:37]
	s_cbranch_execz .LBB180_57
; %bb.56:
	v_mov_b32_e32 v8, 0
	v_mov_b32_e32 v9, v8
	ds_write_b64 v25, v[8:9] offset:6336
                                        ; implicit-def: $vgpr25
.LBB180_57:
	s_andn2_saveexec_b64 s[36:37], s[36:37]
	s_cbranch_execz .LBB180_59
; %bb.58:
	v_mov_b32_e32 v8, 0xc0
	v_mad_u64_u32 v[8:9], s[40:41], s22, v8, v[6:7]
	v_add_u32_e32 v9, s39, v9
	flat_load_dwordx2 v[8:9], v[8:9]
	s_waitcnt vmcnt(0) lgkmcnt(0)
	ds_write_b64 v25, v[8:9] offset:6336
.LBB180_59:
	s_or_b64 exec, exec, s[36:37]
	v_add_co_u32_e32 v6, vcc, v6, v11
	v_addc_co_u32_e32 v7, vcc, 0, v7, vcc
	v_mov_b32_e32 v8, s35
	v_subrev_co_u32_e32 v6, vcc, s34, v6
	v_subb_co_u32_e32 v7, vcc, v7, v8, vcc
	v_add_co_u32_e32 v6, vcc, 0x108, v6
	v_addc_co_u32_e32 v7, vcc, 0, v7, vcc
	v_cndmask_b32_e64 v7, v7, v3, s[12:13]
	v_cndmask_b32_e64 v6, v6, v2, s[12:13]
	s_branch .LBB180_62
.LBB180_60:
                                        ; implicit-def: $vgpr6_vgpr7
	s_cbranch_execz .LBB180_62
; %bb.61:
	flat_load_dwordx2 v[6:7], v[4:5] offset:256
	s_lshl_b64 s[12:13], s[22:23], 6
	v_add_lshl_u32 v25, v18, v0, 3
	v_mov_b32_e32 v26, s13
	v_add_co_u32_e32 v8, vcc, s12, v4
	v_addc_co_u32_e32 v9, vcc, v5, v26, vcc
	s_waitcnt vmcnt(0) lgkmcnt(0)
	ds_write_b64 v25, v[6:7]
	flat_load_dwordx2 v[6:7], v[8:9] offset:256
	v_add_co_u32_e32 v8, vcc, s12, v8
	v_addc_co_u32_e32 v9, vcc, v9, v26, vcc
	s_waitcnt vmcnt(0) lgkmcnt(0)
	ds_write_b64 v25, v[6:7] offset:2112
	flat_load_dwordx2 v[6:7], v[8:9] offset:256
	v_mov_b32_e32 v8, 0xc0
	v_mad_u64_u32 v[4:5], s[12:13], s22, v8, v[4:5]
	v_add_u32_e32 v5, s39, v5
	s_waitcnt vmcnt(0) lgkmcnt(0)
	ds_write_b64 v25, v[6:7] offset:4224
	flat_load_dwordx2 v[4:5], v[4:5] offset:256
	v_pk_mov_b32 v[6:7], v[2:3], v[2:3] op_sel:[0,1]
	s_waitcnt vmcnt(0) lgkmcnt(0)
	ds_write_b64 v25, v[4:5] offset:6336
.LBB180_62:
	s_waitcnt lgkmcnt(0)
	s_barrier
	s_and_saveexec_b64 s[12:13], s[4:5]
	s_cbranch_execnz .LBB180_85
; %bb.63:
	s_or_b64 exec, exec, s[12:13]
	s_and_saveexec_b64 s[4:5], s[14:15]
	s_cbranch_execnz .LBB180_86
.LBB180_64:
	s_or_b64 exec, exec, s[4:5]
	s_and_saveexec_b64 s[4:5], s[8:9]
	s_cbranch_execnz .LBB180_87
.LBB180_65:
	s_or_b64 exec, exec, s[4:5]
	v_add_u32_e32 v25, 0x2380, v17
	s_and_saveexec_b64 s[4:5], s[10:11]
	s_cbranch_execz .LBB180_67
.LBB180_66:
	ds_read_b64 v[2:3], v19
	s_waitcnt lgkmcnt(0)
	ds_write_b64 v16, v[2:3] offset:24
.LBB180_67:
	s_or_b64 exec, exec, s[4:5]
	s_waitcnt lgkmcnt(0)
	s_barrier
	ds_read_b64 v[8:9], v20
	ds_read_b128 v[2:5], v25 offset:256
	ds_read2_b64 v[32:35], v21 offset1:33
	ds_read_b64 v[16:17], v19
	ds_read_b128 v[36:39], v25 offset:272
	v_cmp_eq_u32_e64 s[4:5], 1, v10
	s_waitcnt lgkmcnt(3)
	v_pk_mul_f32 v[26:27], v[2:3], v[8:9] op_sel:[0,1]
	v_pk_fma_f32 v[40:41], v[2:3], v[8:9], v[26:27] op_sel:[0,0,1] op_sel_hi:[1,1,0] neg_lo:[0,0,1] neg_hi:[0,0,1]
	v_pk_fma_f32 v[2:3], v[2:3], v[8:9], v[26:27] op_sel:[0,0,1] op_sel_hi:[1,0,0]
	s_waitcnt lgkmcnt(2)
	v_pk_mul_f32 v[8:9], v[4:5], v[32:33] op_sel:[0,1]
	v_pk_fma_f32 v[26:27], v[4:5], v[32:33], v[8:9] op_sel:[0,0,1] op_sel_hi:[1,1,0] neg_lo:[0,0,1] neg_hi:[0,0,1]
	v_pk_fma_f32 v[4:5], v[4:5], v[32:33], v[8:9] op_sel:[0,0,1] op_sel_hi:[1,0,0]
	v_mov_b32_e32 v41, v3
	v_mov_b32_e32 v27, v5
	s_waitcnt lgkmcnt(0)
	v_pk_mul_f32 v[4:5], v[36:37], v[34:35] op_sel:[0,1]
	v_pk_add_f32 v[2:3], v[40:41], 0 op_sel_hi:[1,0]
	v_pk_fma_f32 v[8:9], v[36:37], v[34:35], v[4:5] op_sel:[0,0,1] op_sel_hi:[1,1,0] neg_lo:[0,0,1] neg_hi:[0,0,1]
	v_pk_fma_f32 v[4:5], v[36:37], v[34:35], v[4:5] op_sel:[0,0,1] op_sel_hi:[1,0,0]
	v_pk_add_f32 v[2:3], v[2:3], v[26:27]
	v_mov_b32_e32 v9, v5
	v_pk_mul_f32 v[4:5], v[38:39], v[16:17] op_sel:[0,1]
	v_pk_add_f32 v[2:3], v[2:3], v[8:9]
	v_pk_fma_f32 v[8:9], v[38:39], v[16:17], v[4:5] op_sel:[0,0,1] op_sel_hi:[1,1,0] neg_lo:[0,0,1] neg_hi:[0,0,1]
	v_pk_fma_f32 v[4:5], v[38:39], v[16:17], v[4:5] op_sel:[0,0,1] op_sel_hi:[1,0,0]
	v_mov_b32_e32 v9, v5
	v_pk_add_f32 v[2:3], v[2:3], v[8:9]
	s_barrier
	ds_write_b64 v23, v[2:3]
	s_waitcnt lgkmcnt(0)
	s_barrier
	s_and_saveexec_b64 s[8:9], s[4:5]
	s_cbranch_execz .LBB180_69
; %bb.68:
	ds_read2_b64 v[2:5], v24 offset1:7
	ds_read2_b64 v[30:33], v24 offset0:1 offset1:2
	ds_read2_b64 v[34:37], v24 offset0:3 offset1:4
	s_waitcnt lgkmcnt(1)
	v_add_f32_e32 v2, v30, v2
	v_add_f32_e32 v3, v31, v3
	;; [unrolled: 1-line block ×4, first 2 shown]
	ds_read2_b64 v[30:33], v24 offset0:5 offset1:6
	s_waitcnt lgkmcnt(1)
	v_add_f32_e32 v2, v2, v34
	v_add_f32_e32 v3, v3, v35
	;; [unrolled: 1-line block ×4, first 2 shown]
	s_waitcnt lgkmcnt(0)
	v_add_f32_e32 v2, v2, v30
	v_add_f32_e32 v3, v3, v31
	v_pk_add_f32 v[2:3], v[2:3], v[32:33]
	v_pk_add_f32 v[30:31], v[2:3], v[4:5]
.LBB180_69:
	s_or_b64 exec, exec, s[8:9]
	v_add_co_u32_e32 v2, vcc, 0xffffff00, v6
	v_addc_co_u32_e32 v3, vcc, -1, v7, vcc
	s_and_b64 vcc, exec, s[30:31]
	s_barrier
	s_cbranch_vccz .LBB180_88
; %bb.70:
	v_sub_co_u32_e32 v4, vcc, v2, v11
	s_ashr_i32 s19, s18, 31
	v_subbrev_co_u32_e32 v5, vcc, 0, v3, vcc
	s_lshl_b64 s[10:11], s[18:19], 3
	v_mov_b32_e32 v6, s11
	v_add_co_u32_e32 v4, vcc, s10, v4
	v_addc_co_u32_e32 v5, vcc, v5, v6, vcc
	v_add_co_u32_e32 v4, vcc, -8, v4
	v_addc_co_u32_e32 v5, vcc, -1, v5, vcc
	v_cmp_gt_i32_e32 vcc, s18, v0
	s_sub_i32 s14, s18, 32
	v_mov_b32_e32 v6, 0
	v_cndmask_b32_e32 v5, v5, v3, vcc
	v_cndmask_b32_e32 v4, v4, v2, vcc
	v_cmp_gt_i32_e64 s[8:9], s14, v10
	v_mov_b32_e32 v7, v6
	s_and_saveexec_b64 s[12:13], s[8:9]
	s_cbranch_execz .LBB180_72
; %bb.71:
	flat_load_dwordx2 v[6:7], v[4:5]
.LBB180_72:
	s_or_b64 exec, exec, s[12:13]
	v_add_lshl_u32 v8, v18, v0, 3
	s_waitcnt vmcnt(0) lgkmcnt(0)
	ds_write_b64 v8, v[6:7]
	v_add_u32_e32 v6, 8, v10
	v_cmp_le_i32_e64 s[8:9], s14, v6
	s_and_saveexec_b64 s[12:13], s[8:9]
	s_xor_b64 s[8:9], exec, s[12:13]
	s_cbranch_execz .LBB180_74
; %bb.73:
	v_mul_u32_u24_e32 v7, 33, v6
	v_mov_b32_e32 v16, 0
	v_add_lshl_u32 v7, v7, v0, 3
	v_mov_b32_e32 v17, v16
	ds_write_b64 v7, v[16:17]
.LBB180_74:
	s_andn2_saveexec_b64 s[12:13], s[8:9]
	s_cbranch_execz .LBB180_76
; %bb.75:
	s_lshl_b64 s[8:9], s[22:23], 6
	v_mov_b32_e32 v7, s9
	v_add_co_u32_e64 v16, s[8:9], s8, v4
	v_addc_co_u32_e64 v17, s[8:9], v5, v7, s[8:9]
	flat_load_dwordx2 v[16:17], v[16:17]
	s_waitcnt vmcnt(0) lgkmcnt(0)
	ds_write_b64 v8, v[16:17] offset:2112
.LBB180_76:
	s_or_b64 exec, exec, s[12:13]
	v_add_u32_e32 v7, 16, v10
	v_cmp_le_i32_e64 s[8:9], s14, v7
	s_and_saveexec_b64 s[12:13], s[8:9]
	s_xor_b64 s[8:9], exec, s[12:13]
	s_cbranch_execz .LBB180_78
; %bb.77:
	v_mov_b32_e32 v16, 0
	v_mov_b32_e32 v17, v16
	ds_write_b64 v8, v[16:17] offset:4224
.LBB180_78:
	s_andn2_saveexec_b64 s[12:13], s[8:9]
	s_cbranch_execz .LBB180_80
; %bb.79:
	s_lshl_b64 s[8:9], s[22:23], 7
	v_mov_b32_e32 v9, s9
	v_add_co_u32_e64 v16, s[8:9], s8, v4
	v_addc_co_u32_e64 v17, s[8:9], v5, v9, s[8:9]
	flat_load_dwordx2 v[16:17], v[16:17]
	s_waitcnt vmcnt(0) lgkmcnt(0)
	ds_write_b64 v8, v[16:17] offset:4224
.LBB180_80:
	s_or_b64 exec, exec, s[12:13]
	v_add_u32_e32 v9, 24, v10
	v_cmp_le_i32_e64 s[8:9], s14, v9
	s_and_saveexec_b64 s[12:13], s[8:9]
	s_xor_b64 s[8:9], exec, s[12:13]
	s_cbranch_execz .LBB180_82
; %bb.81:
	v_mov_b32_e32 v16, 0
	v_mov_b32_e32 v17, v16
	ds_write_b64 v8, v[16:17] offset:6336
                                        ; implicit-def: $vgpr8
.LBB180_82:
	s_andn2_saveexec_b64 s[8:9], s[8:9]
	s_cbranch_execz .LBB180_84
; %bb.83:
	v_mov_b32_e32 v16, 0xc0
	v_mad_u64_u32 v[16:17], s[12:13], s22, v16, v[4:5]
	v_add_u32_e32 v17, s39, v17
	flat_load_dwordx2 v[16:17], v[16:17]
	s_waitcnt vmcnt(0) lgkmcnt(0)
	ds_write_b64 v8, v[16:17] offset:6336
.LBB180_84:
	s_or_b64 exec, exec, s[8:9]
	v_add_co_u32_e64 v4, s[8:9], v4, v11
	v_addc_co_u32_e64 v5, s[8:9], 0, v5, s[8:9]
	v_mov_b32_e32 v8, s11
	v_subrev_co_u32_e64 v4, s[8:9], s10, v4
	v_subb_co_u32_e64 v5, s[8:9], v5, v8, s[8:9]
	v_add_co_u32_e64 v4, s[8:9], 8, v4
	v_addc_co_u32_e64 v5, s[8:9], 0, v5, s[8:9]
	v_cndmask_b32_e32 v17, v5, v3, vcc
	v_cndmask_b32_e32 v16, v4, v2, vcc
	s_branch .LBB180_90
.LBB180_85:
	ds_read_b64 v[2:3], v20
	s_waitcnt lgkmcnt(0)
	ds_write_b64 v16, v[2:3]
	s_or_b64 exec, exec, s[12:13]
	s_and_saveexec_b64 s[4:5], s[14:15]
	s_cbranch_execz .LBB180_64
.LBB180_86:
	ds_read_b64 v[2:3], v21
	s_waitcnt lgkmcnt(0)
	ds_write_b64 v16, v[2:3] offset:8
	s_or_b64 exec, exec, s[4:5]
	s_and_saveexec_b64 s[4:5], s[8:9]
	s_cbranch_execz .LBB180_65
.LBB180_87:
	ds_read_b64 v[2:3], v21 offset:264
	s_waitcnt lgkmcnt(0)
	ds_write_b64 v16, v[2:3] offset:16
	s_or_b64 exec, exec, s[4:5]
	v_add_u32_e32 v25, 0x2380, v17
	s_and_saveexec_b64 s[4:5], s[10:11]
	s_cbranch_execnz .LBB180_66
	s_branch .LBB180_67
.LBB180_88:
                                        ; implicit-def: $vgpr16_vgpr17
                                        ; implicit-def: $vgpr6
                                        ; implicit-def: $vgpr7
                                        ; implicit-def: $vgpr9
	s_cbranch_execz .LBB180_90
; %bb.89:
	flat_load_dwordx2 v[4:5], v[2:3]
	s_lshl_b64 s[8:9], s[22:23], 6
	v_add_lshl_u32 v0, v18, v0, 3
	v_mov_b32_e32 v8, s9
	v_add_co_u32_e32 v6, vcc, s8, v2
	v_addc_co_u32_e32 v7, vcc, v3, v8, vcc
	v_add_u32_e32 v9, 24, v10
	v_pk_mov_b32 v[16:17], v[2:3], v[2:3] op_sel:[0,1]
	s_waitcnt vmcnt(0) lgkmcnt(0)
	ds_write_b64 v0, v[4:5]
	flat_load_dwordx2 v[4:5], v[6:7]
	v_add_co_u32_e32 v6, vcc, s8, v6
	v_addc_co_u32_e32 v7, vcc, v7, v8, vcc
	s_waitcnt vmcnt(0) lgkmcnt(0)
	ds_write_b64 v0, v[4:5] offset:2112
	flat_load_dwordx2 v[4:5], v[6:7]
	v_mov_b32_e32 v6, 0xc0
	v_mad_u64_u32 v[6:7], s[8:9], s22, v6, v[2:3]
	v_add_u32_e32 v7, s39, v7
	s_waitcnt vmcnt(0) lgkmcnt(0)
	ds_write_b64 v0, v[4:5] offset:4224
	flat_load_dwordx2 v[4:5], v[6:7]
	v_add_u32_e32 v6, 8, v10
	v_add_u32_e32 v7, 16, v10
	s_waitcnt vmcnt(0) lgkmcnt(0)
	ds_write_b64 v0, v[4:5] offset:6336
.LBB180_90:
	v_lshlrev_b32_e32 v18, 3, v10
	v_add_lshl_u32 v36, v6, v1, 3
	v_lshlrev_b32_e32 v34, 3, v6
	v_add_lshl_u32 v32, v7, v1, 3
	;; [unrolled: 2-line block ×3, first 2 shown]
	v_lshlrev_b32_e32 v40, 3, v9
	s_waitcnt lgkmcnt(0)
	s_barrier
	ds_read2_b64 v[4:7], v21 offset1:33
	ds_read_b64 v[20:21], v20
	ds_read_b128 v[8:11], v25 offset:256
	ds_read_b64 v[26:27], v23
	ds_read_b128 v[0:3], v25 offset:272
	ds_read_b64 v[32:33], v32
	ds_read_b64 v[34:35], v34 offset:9088
	ds_read_b64 v[36:37], v36
	ds_read_b64 v[38:39], v18 offset:9088
	;; [unrolled: 2-line block ×4, first 2 shown]
	s_waitcnt lgkmcnt(4)
	v_pk_mul_f32 v[46:47], v[38:39], v[26:27] op_sel:[0,1]
	v_pk_fma_f32 v[48:49], v[38:39], v[26:27], v[46:47] op_sel:[0,0,1] op_sel_hi:[1,1,0] neg_lo:[0,0,1] neg_hi:[0,0,1]
	v_pk_fma_f32 v[26:27], v[38:39], v[26:27], v[46:47] op_sel:[0,0,1] op_sel_hi:[1,0,0]
	v_pk_mul_f32 v[38:39], v[34:35], v[36:37] op_sel:[0,1]
	v_pk_fma_f32 v[46:47], v[34:35], v[36:37], v[38:39] op_sel:[0,0,1] op_sel_hi:[1,1,0] neg_lo:[0,0,1] neg_hi:[0,0,1]
	v_pk_fma_f32 v[34:35], v[34:35], v[36:37], v[38:39] op_sel:[0,0,1] op_sel_hi:[1,0,0]
	v_mov_b32_e32 v47, v35
	s_waitcnt lgkmcnt(0)
	v_pk_mul_f32 v[34:35], v[44:45], v[32:33] op_sel:[0,1]
	v_mov_b32_e32 v49, v27
	v_pk_fma_f32 v[36:37], v[44:45], v[32:33], v[34:35] op_sel:[0,0,1] op_sel_hi:[1,1,0] neg_lo:[0,0,1] neg_hi:[0,0,1]
	v_pk_fma_f32 v[32:33], v[44:45], v[32:33], v[34:35] op_sel:[0,0,1] op_sel_hi:[1,0,0]
	v_pk_add_f32 v[26:27], v[48:49], 0 op_sel_hi:[1,0]
	v_mov_b32_e32 v37, v33
	v_pk_mul_f32 v[32:33], v[40:41], v[42:43] op_sel:[0,1]
	v_pk_add_f32 v[26:27], v[26:27], v[46:47]
	v_pk_fma_f32 v[34:35], v[40:41], v[42:43], v[32:33] op_sel:[0,0,1] op_sel_hi:[1,1,0] neg_lo:[0,0,1] neg_hi:[0,0,1]
	v_pk_fma_f32 v[32:33], v[40:41], v[42:43], v[32:33] op_sel:[0,0,1] op_sel_hi:[1,0,0]
	v_pk_add_f32 v[26:27], v[26:27], v[36:37]
	v_mov_b32_e32 v35, v33
	v_pk_add_f32 v[26:27], v[26:27], v[34:35]
	s_barrier
	ds_write_b64 v23, v[26:27]
	s_waitcnt lgkmcnt(0)
	s_barrier
	s_and_saveexec_b64 s[8:9], s[4:5]
	s_cbranch_execz .LBB180_92
; %bb.91:
	ds_read2_b64 v[32:35], v24 offset1:1
	ds_read2_b64 v[36:39], v24 offset0:2 offset1:3
	ds_read2_b64 v[40:43], v24 offset0:6 offset1:7
	s_waitcnt lgkmcnt(2)
	v_pk_add_f32 v[26:27], v[30:31], v[32:33]
	ds_read2_b64 v[30:33], v24 offset0:4 offset1:5
	v_pk_add_f32 v[26:27], v[26:27], v[34:35]
	s_waitcnt lgkmcnt(2)
	v_pk_add_f32 v[26:27], v[26:27], v[36:37]
	v_pk_add_f32 v[26:27], v[26:27], v[38:39]
	s_waitcnt lgkmcnt(0)
	v_pk_add_f32 v[26:27], v[26:27], v[30:31]
	v_pk_add_f32 v[26:27], v[26:27], v[32:33]
	;; [unrolled: 1-line block ×4, first 2 shown]
.LBB180_92:
	s_or_b64 exec, exec, s[8:9]
	v_pk_mul_f32 v[26:27], v[8:9], v[20:21] op_sel:[0,1]
	v_pk_fma_f32 v[32:33], v[8:9], v[20:21], v[26:27] op_sel:[0,0,1] op_sel_hi:[1,1,0] neg_lo:[0,0,1] neg_hi:[0,0,1]
	v_pk_fma_f32 v[8:9], v[8:9], v[20:21], v[26:27] op_sel:[0,0,1] op_sel_hi:[1,0,0]
	v_pk_mul_f32 v[20:21], v[10:11], v[4:5] op_sel:[0,1]
	v_mov_b32_e32 v33, v9
	v_pk_fma_f32 v[26:27], v[10:11], v[4:5], v[20:21] op_sel:[0,0,1] op_sel_hi:[1,1,0] neg_lo:[0,0,1] neg_hi:[0,0,1]
	v_pk_fma_f32 v[4:5], v[10:11], v[4:5], v[20:21] op_sel:[0,0,1] op_sel_hi:[1,0,0]
	v_pk_add_f32 v[8:9], v[32:33], 0 op_sel_hi:[1,0]
	v_mov_b32_e32 v27, v5
	v_pk_add_f32 v[4:5], v[8:9], v[26:27]
	v_pk_mul_f32 v[8:9], v[0:1], v[6:7] op_sel:[0,1]
	v_pk_fma_f32 v[10:11], v[0:1], v[6:7], v[8:9] op_sel:[0,0,1] op_sel_hi:[1,1,0] neg_lo:[0,0,1] neg_hi:[0,0,1]
	v_pk_fma_f32 v[0:1], v[0:1], v[6:7], v[8:9] op_sel:[0,0,1] op_sel_hi:[1,0,0]
	v_mov_b32_e32 v11, v1
	v_pk_add_f32 v[0:1], v[4:5], v[10:11]
	v_pk_mul_f32 v[4:5], v[2:3], v[18:19] op_sel:[0,1]
	v_pk_fma_f32 v[6:7], v[2:3], v[18:19], v[4:5] op_sel:[0,0,1] op_sel_hi:[1,1,0] neg_lo:[0,0,1] neg_hi:[0,0,1]
	v_pk_fma_f32 v[2:3], v[2:3], v[18:19], v[4:5] op_sel:[0,0,1] op_sel_hi:[1,0,0]
	v_mov_b32_e32 v7, v3
	v_pk_add_f32 v[0:1], v[0:1], v[6:7]
	s_barrier
	ds_write_b64 v23, v[0:1]
	s_waitcnt lgkmcnt(0)
	s_barrier
	s_and_saveexec_b64 s[4:5], s[2:3]
	s_cbranch_execz .LBB180_94
; %bb.93:
	ds_read2_b64 v[0:3], v24 offset1:1
	ds_read2_b64 v[4:7], v24 offset0:2 offset1:3
	ds_read2_b64 v[8:11], v24 offset0:4 offset1:5
	s_waitcnt lgkmcnt(2)
	v_pk_add_f32 v[0:1], v[30:31], v[0:1]
	v_pk_add_f32 v[18:19], v[0:1], v[2:3]
	ds_read2_b64 v[0:3], v24 offset0:6 offset1:7
	s_waitcnt lgkmcnt(2)
	v_pk_add_f32 v[4:5], v[18:19], v[4:5]
	v_pk_add_f32 v[4:5], v[4:5], v[6:7]
	s_waitcnt lgkmcnt(1)
	v_pk_add_f32 v[4:5], v[4:5], v[8:9]
	v_pk_add_f32 v[4:5], v[4:5], v[10:11]
	;; [unrolled: 3-line block ×3, first 2 shown]
.LBB180_94:
	s_or_b64 exec, exec, s[4:5]
	s_mul_hi_u32 s2, s33, s26
	s_mul_i32 s38, s38, s26
	s_add_i32 s2, s2, s38
	s_mul_i32 s4, s33, s26
	s_mul_i32 s2, s2, s7
	s_mul_hi_u32 s3, s4, s7
	s_add_i32 s3, s3, s2
	s_mul_i32 s2, s4, s7
	s_lshl_b64 s[2:3], s[2:3], 3
	s_add_u32 s4, s28, s2
	s_addc_u32 s5, s29, s3
	s_mul_hi_i32 s3, s33, s6
	s_mul_i32 s2, s33, s6
	s_lshl_b64 s[2:3], s[2:3], 3
	s_add_u32 s19, s4, s2
	s_addc_u32 s26, s5, s3
	s_add_i32 s2, s6, 1
	s_cmp_ge_u32 s2, s7
	v_lshlrev_b32_e32 v32, 3, v65
	s_barrier
	s_cbranch_scc1 .LBB180_152
; %bb.95:
	s_mul_i32 s2, s24, s17
	s_mul_hi_u32 s3, s24, s16
	s_add_i32 s2, s3, s2
	s_mul_i32 s3, s25, s16
	s_add_i32 s3, s2, s3
	s_mul_i32 s2, s24, s16
	s_lshl_b64 s[2:3], s[2:3], 3
	v_mov_b32_e32 v0, s3
	v_subrev_co_u32_e32 v121, vcc, s2, v14
	v_and_b32_e32 v1, 48, v65
	v_subb_co_u32_e32 v122, vcc, v15, v0, vcc
	v_and_b32_e32 v0, 15, v65
	v_lshlrev_b32_e32 v2, 3, v1
	s_movk_i32 s4, 0x218
	v_lshrrev_b32_e32 v4, 4, v22
	v_mad_u32_u24 v123, v0, s4, v2
	v_or_b32_e32 v2, 0x78, v32
	v_lshlrev_b32_e32 v5, 5, v120
	v_mad_u32_u24 v124, v0, s4, v2
	v_lshlrev_b32_e32 v2, 5, v4
	v_add_u32_e32 v3, 0x110, v5
	v_mad_u32_u24 v125, v0, s4, v2
	v_or_b32_e32 v126, v1, v0
	v_mad_u64_u32 v[0:1], s[4:5], s22, v3, 0
	v_mov_b32_e32 v2, v1
	v_mad_u64_u32 v[2:3], s[4:5], s23, v3, v[2:3]
	v_mov_b32_e32 v1, v2
	v_sub_co_u32_e32 v0, vcc, v0, v12
	v_subb_co_u32_e32 v1, vcc, v1, v13, vcc
	v_add_co_u32_e32 v34, vcc, v16, v0
	v_add_u32_e32 v3, 0x108, v5
	v_addc_co_u32_e32 v33, vcc, v17, v1, vcc
	v_mad_u64_u32 v[0:1], s[4:5], s22, v3, 0
	v_mov_b32_e32 v2, v1
	v_mad_u64_u32 v[2:3], s[4:5], s23, v3, v[2:3]
	v_mov_b32_e32 v1, v2
	v_sub_co_u32_e32 v0, vcc, v0, v12
	v_subb_co_u32_e32 v1, vcc, v1, v13, vcc
	v_add_co_u32_e32 v36, vcc, v16, v0
	v_add_u32_e32 v3, 0x100, v5
	v_addc_co_u32_e32 v35, vcc, v17, v1, vcc
	;; [unrolled: 9-line block ×12, first 2 shown]
	v_mad_u64_u32 v[0:1], s[4:5], s22, v3, 0
	v_mov_b32_e32 v2, v1
	v_mad_u64_u32 v[2:3], s[4:5], s23, v3, v[2:3]
	v_mov_b32_e32 v1, v2
	v_sub_co_u32_e32 v6, vcc, v0, v12
	v_add_u32_e32 v3, 0x288, v5
	v_subb_co_u32_e32 v7, vcc, v1, v13, vcc
	v_mad_u64_u32 v[0:1], s[4:5], s22, v3, 0
	v_mov_b32_e32 v2, v1
	v_mad_u64_u32 v[2:3], s[4:5], s23, v3, v[2:3]
	v_mov_b32_e32 v1, v2
	v_sub_co_u32_e32 v8, vcc, v0, v12
	v_add_u32_e32 v3, 0x280, v5
	v_subb_co_u32_e32 v9, vcc, v1, v13, vcc
	;; [unrolled: 7-line block ×3, first 2 shown]
	v_mad_u64_u32 v[0:1], s[4:5], s22, v3, 0
	v_mov_b32_e32 v2, v1
	v_add_co_u32_e32 v58, vcc, v16, v6
	v_mad_u64_u32 v[2:3], s[4:5], s23, v3, v[2:3]
	v_addc_co_u32_e32 v57, vcc, v17, v7, vcc
	v_mov_b32_e32 v1, v2
	v_sub_co_u32_e32 v0, vcc, v0, v12
	v_subb_co_u32_e32 v1, vcc, v1, v13, vcc
	v_add_co_u32_e32 v60, vcc, v16, v8
	v_addc_co_u32_e32 v59, vcc, v17, v9, vcc
	v_add_co_u32_e32 v62, vcc, v16, v10
	v_addc_co_u32_e32 v61, vcc, v17, v11, vcc
	v_add_co_u32_e32 v64, vcc, v16, v0
	s_movk_i32 s4, 0x860
	v_mul_i32_i24_e32 v0, 0xffffffe8, v4
	v_lshlrev_b32_e32 v129, 2, v120
	v_cmp_gt_u32_e64 s[2:3], 64, v22
	v_addc_co_u32_e32 v63, vcc, v17, v1, vcc
	s_add_i32 s25, s7, -2
	v_add_u32_e32 v127, 0x2180, v5
	s_add_i32 s24, s24, 64
	s_lshl_b64 s[10:11], s[22:23], 9
	v_add_u32_e32 v128, v125, v0
	v_add_u32_e32 v130, 0x2180, v32
	;; [unrolled: 1-line block ×3, first 2 shown]
	v_or_b32_e32 v132, 1, v129
	v_or_b32_e32 v133, 2, v129
	;; [unrolled: 1-line block ×3, first 2 shown]
	v_mad_u32_u24 v135, v120, s4, v32
	v_add_u32_e32 v136, 16, v129
	v_add_u32_e32 v137, 17, v129
	;; [unrolled: 1-line block ×12, first 2 shown]
	v_mov_b32_e32 v66, 0
	s_branch .LBB180_97
.LBB180_96:                             ;   in Loop: Header=BB180_97 Depth=1
	s_or_b64 exec, exec, s[4:5]
	v_mul_f32_e32 v0, v77, v69
	v_fma_f32 v0, v76, v68, -v0
	v_mul_f32_e32 v2, v79, v71
	v_add_f32_e32 v0, v30, v0
	v_fma_f32 v2, v78, v70, -v2
	v_add_f32_e32 v0, v0, v2
	v_mul_f32_e32 v2, v81, v73
	v_fma_f32 v2, v80, v72, -v2
	v_mul_f32_e32 v1, v77, v68
	v_add_f32_e32 v0, v0, v2
	v_mul_f32_e32 v2, v83, v75
	v_mul_f32_e32 v3, v79, v70
	v_fma_f32 v2, v82, v74, -v2
	v_fmac_f32_e32 v1, v76, v69
	v_mul_f32_e32 v4, v81, v72
	v_add_f32_e32 v0, v0, v2
	v_add_f32_e32 v1, v31, v1
	v_fmac_f32_e32 v3, v78, v71
	v_mul_f32_e32 v2, v93, v85
	v_mul_f32_e32 v5, v83, v74
	v_add_f32_e32 v1, v1, v3
	v_fmac_f32_e32 v4, v80, v73
	v_fma_f32 v2, v92, v84, -v2
	v_add_f32_e32 v1, v1, v4
	v_fmac_f32_e32 v5, v82, v75
	v_mul_f32_e32 v6, v93, v84
	v_add_f32_e32 v0, v0, v2
	v_mul_f32_e32 v2, v95, v87
	v_add_f32_e32 v1, v1, v5
	v_fma_f32 v2, v94, v86, -v2
	v_mul_f32_e32 v7, v95, v86
	v_fmac_f32_e32 v6, v92, v85
	v_add_f32_e32 v0, v0, v2
	v_mul_f32_e32 v2, v97, v89
	v_mul_f32_e32 v3, v97, v88
	v_add_f32_e32 v1, v1, v6
	v_fmac_f32_e32 v7, v94, v87
	v_fma_f32 v2, v96, v88, -v2
	v_add_f32_e32 v1, v1, v7
	v_fmac_f32_e32 v3, v96, v89
	v_mul_f32_e32 v4, v99, v91
	v_mul_f32_e32 v5, v99, v90
	v_pk_add_f32 v[0:1], v[0:1], v[2:3]
	v_mov_b32_e32 v2, v101
	v_fma_f32 v4, v98, v90, -v4
	v_fmac_f32_e32 v5, v98, v91
	v_pk_mul_f32 v[2:3], v[108:109], v[2:3] op_sel_hi:[1,0]
	v_pk_add_f32 v[0:1], v[0:1], v[4:5]
	v_pk_fma_f32 v[4:5], v[108:109], v[100:101], v[2:3] op_sel:[0,0,1] op_sel_hi:[1,1,0] neg_lo:[0,0,1] neg_hi:[0,0,1]
	v_pk_fma_f32 v[2:3], v[108:109], v[100:101], v[2:3] op_sel:[0,0,1] op_sel_hi:[1,0,0]
	v_mov_b32_e32 v2, v103
	v_mov_b32_e32 v5, v3
	v_pk_mul_f32 v[2:3], v[8:9], v[2:3] op_sel_hi:[1,0]
	v_pk_add_f32 v[0:1], v[0:1], v[4:5]
	v_pk_fma_f32 v[4:5], v[8:9], v[102:103], v[2:3] op_sel:[0,0,1] op_sel_hi:[1,1,0] neg_lo:[0,0,1] neg_hi:[0,0,1]
	v_pk_fma_f32 v[2:3], v[8:9], v[102:103], v[2:3] op_sel:[0,0,1] op_sel_hi:[1,0,0]
	v_mov_b32_e32 v2, v105
	v_mov_b32_e32 v5, v3
	;; [unrolled: 6-line block ×5, first 2 shown]
	v_pk_mul_f32 v[2:3], v[18:19], v[2:3] op_sel_hi:[1,0]
	v_pk_fma_f32 v[6:7], v[18:19], v[114:115], v[2:3] op_sel:[0,0,1] op_sel_hi:[1,1,0] neg_lo:[0,0,1] neg_hi:[0,0,1]
	v_pk_fma_f32 v[2:3], v[18:19], v[114:115], v[2:3] op_sel:[0,0,1] op_sel_hi:[1,0,0]
	v_mov_b32_e32 v2, v117
	v_mov_b32_e32 v7, v3
	v_pk_mul_f32 v[2:3], v[12:13], v[2:3] op_sel_hi:[1,0]
	v_pk_fma_f32 v[8:9], v[12:13], v[116:117], v[2:3] op_sel:[0,0,1] op_sel_hi:[1,1,0] neg_lo:[0,0,1] neg_hi:[0,0,1]
	v_pk_fma_f32 v[2:3], v[12:13], v[116:117], v[2:3] op_sel:[0,0,1] op_sel_hi:[1,0,0]
	v_mov_b32_e32 v2, v119
	v_mov_b32_e32 v9, v3
	v_pk_mul_f32 v[2:3], v[14:15], v[2:3] op_sel_hi:[1,0]
	v_pk_add_f32 v[0:1], v[0:1], v[4:5]
	v_pk_fma_f32 v[10:11], v[14:15], v[118:119], v[2:3] op_sel:[0,0,1] op_sel_hi:[1,1,0] neg_lo:[0,0,1] neg_hi:[0,0,1]
	v_pk_fma_f32 v[2:3], v[14:15], v[118:119], v[2:3] op_sel:[0,0,1] op_sel_hi:[1,0,0]
	v_pk_add_f32 v[0:1], v[0:1], v[6:7]
	v_mov_b32_e32 v11, v3
	v_pk_add_f32 v[0:1], v[0:1], v[8:9]
	v_pk_add_f32 v[30:31], v[0:1], v[10:11]
	v_mov_b32_e32 v0, s11
	v_add_co_u32_e32 v34, vcc, s10, v34
	v_addc_co_u32_e32 v33, vcc, v33, v0, vcc
	v_add_co_u32_e32 v36, vcc, s10, v36
	v_addc_co_u32_e32 v35, vcc, v35, v0, vcc
	;; [unrolled: 2-line block ×15, first 2 shown]
	s_add_i32 s4, s6, 1
	s_add_i32 s24, s24, 64
	;; [unrolled: 1-line block ×3, first 2 shown]
	v_add_co_u32_e32 v64, vcc, s10, v64
	v_addc_co_u32_e32 v63, vcc, v63, v0, vcc
	s_cmp_ge_u32 s5, s7
	s_mov_b32 s6, s4
	s_barrier
	s_cbranch_scc1 .LBB180_152
.LBB180_97:                             ; =>This Inner Loop Header: Depth=1
	s_cmp_eq_u32 s25, s6
	s_cselect_b32 s28, s27, 0
	s_and_saveexec_b64 s[4:5], s[0:1]
	s_cbranch_execz .LBB180_102
; %bb.98:                               ;   in Loop: Header=BB180_97 Depth=1
	s_cmp_lg_u32 s28, 0
	s_cselect_b64 s[8:9], -1, 0
	v_cmp_le_i32_e32 vcc, s28, v65
	s_and_b64 s[8:9], s[8:9], vcc
	s_and_saveexec_b64 s[12:13], s[8:9]
	s_xor_b64 s[8:9], exec, s[12:13]
	s_cbranch_execz .LBB180_100
; %bb.99:                               ;   in Loop: Header=BB180_97 Depth=1
	v_mov_b32_e32 v67, v66
	ds_write_b64 v130, v[66:67]
.LBB180_100:                            ;   in Loop: Header=BB180_97 Depth=1
	s_andn2_saveexec_b64 s[8:9], s[8:9]
	s_cbranch_execz .LBB180_102
; %bb.101:                              ;   in Loop: Header=BB180_97 Depth=1
	s_ashr_i32 s8, s24, 31
	s_mul_i32 s9, s24, s17
	s_mul_hi_u32 s12, s24, s16
	s_add_i32 s9, s12, s9
	s_mul_i32 s8, s8, s16
	s_add_i32 s9, s9, s8
	s_mul_i32 s8, s24, s16
	s_lshl_b64 s[8:9], s[8:9], 3
	v_mov_b32_e32 v1, s9
	v_add_co_u32_e32 v0, vcc, s8, v121
	v_addc_co_u32_e32 v1, vcc, v122, v1, vcc
	flat_load_dwordx2 v[0:1], v[0:1]
	s_waitcnt vmcnt(0) lgkmcnt(0)
	ds_write_b64 v130, v[0:1]
.LBB180_102:                            ;   in Loop: Header=BB180_97 Depth=1
	s_or_b64 exec, exec, s[4:5]
	s_cmp_eq_u32 s28, 0
	v_add_co_u32_e32 v0, vcc, v38, v32
	s_cselect_b64 s[12:13], -1, 0
	s_cmp_lg_u32 s28, 0
	v_addc_co_u32_e32 v1, vcc, 0, v37, vcc
	s_cselect_b64 s[8:9], -1, 0
	s_and_b64 vcc, exec, s[8:9]
	s_waitcnt lgkmcnt(0)
	s_barrier
	s_cbranch_vccz .LBB180_110
; %bb.103:                              ;   in Loop: Header=BB180_97 Depth=1
	v_pk_mov_b32 v[70:71], 0, 0
	v_cmp_gt_i32_e32 vcc, s28, v129
	v_pk_mov_b32 v[68:69], v[70:71], v[70:71] op_sel:[0,1]
	s_and_saveexec_b64 s[4:5], vcc
	s_cbranch_execz .LBB180_105
; %bb.104:                              ;   in Loop: Header=BB180_97 Depth=1
	flat_load_dwordx2 v[68:69], v[0:1]
.LBB180_105:                            ;   in Loop: Header=BB180_97 Depth=1
	s_or_b64 exec, exec, s[4:5]
	v_cmp_gt_i32_e32 vcc, s28, v132
	s_and_saveexec_b64 s[4:5], vcc
	s_cbranch_execz .LBB180_107
; %bb.106:                              ;   in Loop: Header=BB180_97 Depth=1
	v_add_co_u32_e32 v2, vcc, v36, v32
	v_addc_co_u32_e32 v3, vcc, 0, v35, vcc
	flat_load_dwordx2 v[70:71], v[2:3]
.LBB180_107:                            ;   in Loop: Header=BB180_97 Depth=1
	s_or_b64 exec, exec, s[4:5]
	v_cmp_gt_i32_e32 vcc, s28, v133
	v_pk_mov_b32 v[72:73], 0, 0
	s_and_saveexec_b64 s[4:5], vcc
	s_cbranch_execz .LBB180_109
; %bb.108:                              ;   in Loop: Header=BB180_97 Depth=1
	v_add_co_u32_e32 v2, vcc, v34, v32
	v_addc_co_u32_e32 v3, vcc, 0, v33, vcc
	flat_load_dwordx2 v[72:73], v[2:3]
.LBB180_109:                            ;   in Loop: Header=BB180_97 Depth=1
	s_or_b64 exec, exec, s[4:5]
	v_cmp_gt_i32_e64 s[4:5], s28, v134
	s_mov_b64 s[14:15], 0
	s_branch .LBB180_112
.LBB180_110:                            ;   in Loop: Header=BB180_97 Depth=1
	s_mov_b64 s[4:5], 0
                                        ; implicit-def: $sgpr14_sgpr15
                                        ; implicit-def: $vgpr72_vgpr73
                                        ; implicit-def: $vgpr70_vgpr71
                                        ; implicit-def: $vgpr68_vgpr69
	s_cbranch_execz .LBB180_112
; %bb.111:                              ;   in Loop: Header=BB180_97 Depth=1
	s_waitcnt vmcnt(0) lgkmcnt(0)
	flat_load_dwordx2 v[68:69], v[0:1]
	v_add_co_u32_e32 v0, vcc, v36, v32
	v_addc_co_u32_e32 v1, vcc, 0, v35, vcc
	flat_load_dwordx2 v[70:71], v[0:1]
	v_add_co_u32_e32 v0, vcc, v34, v32
	v_addc_co_u32_e32 v1, vcc, 0, v33, vcc
	flat_load_dwordx2 v[72:73], v[0:1]
	s_or_b64 s[4:5], s[4:5], exec
                                        ; implicit-def: $sgpr14_sgpr15
.LBB180_112:                            ;   in Loop: Header=BB180_97 Depth=1
	v_pk_mov_b32 v[74:75], s[14:15], s[14:15] op_sel:[0,1]
	s_and_saveexec_b64 s[14:15], s[4:5]
	s_cbranch_execz .LBB180_114
; %bb.113:                              ;   in Loop: Header=BB180_97 Depth=1
	v_add_co_u32_e32 v0, vcc, v40, v32
	v_addc_co_u32_e32 v1, vcc, 0, v39, vcc
	flat_load_dwordx2 v[74:75], v[0:1]
.LBB180_114:                            ;   in Loop: Header=BB180_97 Depth=1
	s_or_b64 exec, exec, s[14:15]
	ds_read_b64 v[0:1], v131
	ds_read_b64 v[76:77], v127
	v_cndmask_b32_e64 v8, 0, 1, s[8:9]
	v_cmp_ne_u32_e64 s[4:5], 1, v8
	s_andn2_b64 vcc, exec, s[8:9]
	s_waitcnt vmcnt(0) lgkmcnt(0)
	v_mul_f32_e32 v2, v1, v69
	v_mul_f32_e32 v3, v1, v68
	v_fma_f32 v2, v0, v68, -v2
	v_fmac_f32_e32 v3, v0, v69
	v_mul_f32_e32 v4, v1, v71
	ds_write_b64 v135, v[2:3]
	v_mul_f32_e32 v3, v1, v70
	v_fma_f32 v2, v0, v70, -v4
	v_fmac_f32_e32 v3, v0, v71
	ds_read_b64 v[78:79], v127 offset:8
	ds_write_b64 v135, v[2:3] offset:536
	v_mul_f32_e32 v2, v1, v73
	v_mul_f32_e32 v3, v1, v72
	v_fma_f32 v2, v0, v72, -v2
	v_fmac_f32_e32 v3, v0, v73
	ds_read_b64 v[80:81], v127 offset:16
	ds_write_b64 v135, v[2:3] offset:1072
	v_mul_f32_e32 v2, v1, v75
	v_mul_f32_e32 v3, v0, v75
	v_fma_f32 v2, v0, v74, -v2
	v_fmac_f32_e32 v3, v1, v74
	ds_read_b64 v[82:83], v127 offset:24
	ds_write_b64 v135, v[2:3] offset:1608
	s_waitcnt lgkmcnt(0)
	s_barrier
	ds_read2_b64 v[4:7], v125 offset1:1
	ds_read2_b64 v[0:3], v125 offset0:2 offset1:3
	v_add_co_u32_e64 v8, s[8:9], v46, v32
	v_addc_co_u32_e64 v9, s[8:9], 0, v45, s[8:9]
	s_waitcnt lgkmcnt(0)
	s_barrier
	s_cbranch_vccnz .LBB180_122
; %bb.115:                              ;   in Loop: Header=BB180_97 Depth=1
	v_pk_mov_b32 v[86:87], 0, 0
	v_cmp_gt_i32_e32 vcc, s28, v136
	v_pk_mov_b32 v[84:85], v[86:87], v[86:87] op_sel:[0,1]
	s_and_saveexec_b64 s[8:9], vcc
	s_cbranch_execz .LBB180_117
; %bb.116:                              ;   in Loop: Header=BB180_97 Depth=1
	flat_load_dwordx2 v[84:85], v[8:9]
.LBB180_117:                            ;   in Loop: Header=BB180_97 Depth=1
	s_or_b64 exec, exec, s[8:9]
	v_cmp_gt_i32_e32 vcc, s28, v137
	s_and_saveexec_b64 s[8:9], vcc
	s_cbranch_execz .LBB180_119
; %bb.118:                              ;   in Loop: Header=BB180_97 Depth=1
	v_add_co_u32_e32 v10, vcc, v44, v32
	v_addc_co_u32_e32 v11, vcc, 0, v43, vcc
	flat_load_dwordx2 v[86:87], v[10:11]
.LBB180_119:                            ;   in Loop: Header=BB180_97 Depth=1
	s_or_b64 exec, exec, s[8:9]
	v_cmp_gt_i32_e32 vcc, s28, v138
	v_pk_mov_b32 v[88:89], 0, 0
	s_and_saveexec_b64 s[8:9], vcc
	s_cbranch_execz .LBB180_121
; %bb.120:                              ;   in Loop: Header=BB180_97 Depth=1
	v_add_co_u32_e32 v10, vcc, v42, v32
	v_addc_co_u32_e32 v11, vcc, 0, v41, vcc
	flat_load_dwordx2 v[88:89], v[10:11]
.LBB180_121:                            ;   in Loop: Header=BB180_97 Depth=1
	s_or_b64 exec, exec, s[8:9]
	v_cmp_gt_i32_e64 s[8:9], s28, v139
	s_mov_b64 s[14:15], 0
	s_branch .LBB180_124
.LBB180_122:                            ;   in Loop: Header=BB180_97 Depth=1
	s_mov_b64 s[8:9], 0
                                        ; implicit-def: $sgpr14_sgpr15
                                        ; implicit-def: $vgpr88_vgpr89
                                        ; implicit-def: $vgpr86_vgpr87
                                        ; implicit-def: $vgpr84_vgpr85
	s_cbranch_execz .LBB180_124
; %bb.123:                              ;   in Loop: Header=BB180_97 Depth=1
	s_waitcnt vmcnt(0) lgkmcnt(0)
	flat_load_dwordx2 v[84:85], v[8:9]
	v_add_co_u32_e32 v8, vcc, v44, v32
	v_addc_co_u32_e32 v9, vcc, 0, v43, vcc
	flat_load_dwordx2 v[86:87], v[8:9]
	v_add_co_u32_e32 v8, vcc, v42, v32
	v_addc_co_u32_e32 v9, vcc, 0, v41, vcc
	flat_load_dwordx2 v[88:89], v[8:9]
	s_or_b64 s[8:9], s[8:9], exec
                                        ; implicit-def: $sgpr14_sgpr15
.LBB180_124:                            ;   in Loop: Header=BB180_97 Depth=1
	v_pk_mov_b32 v[90:91], s[14:15], s[14:15] op_sel:[0,1]
	s_and_saveexec_b64 s[14:15], s[8:9]
	s_cbranch_execz .LBB180_126
; %bb.125:                              ;   in Loop: Header=BB180_97 Depth=1
	v_add_co_u32_e32 v8, vcc, v48, v32
	v_addc_co_u32_e32 v9, vcc, 0, v47, vcc
	flat_load_dwordx2 v[90:91], v[8:9]
.LBB180_126:                            ;   in Loop: Header=BB180_97 Depth=1
	s_or_b64 exec, exec, s[14:15]
	ds_read_b64 v[8:9], v131
	ds_read_b64 v[92:93], v127 offset:128
	s_and_b64 vcc, exec, s[4:5]
	s_waitcnt vmcnt(0) lgkmcnt(0)
	v_mul_f32_e32 v10, v9, v85
	v_mul_f32_e32 v11, v9, v84
	v_fma_f32 v10, v8, v84, -v10
	v_fmac_f32_e32 v11, v8, v85
	v_mul_f32_e32 v12, v9, v87
	ds_write_b64 v135, v[10:11]
	v_mul_f32_e32 v11, v9, v86
	v_fma_f32 v10, v8, v86, -v12
	v_fmac_f32_e32 v11, v8, v87
	ds_read_b64 v[94:95], v127 offset:136
	ds_write_b64 v135, v[10:11] offset:536
	v_mul_f32_e32 v10, v9, v89
	v_mul_f32_e32 v11, v9, v88
	v_fma_f32 v10, v8, v88, -v10
	v_fmac_f32_e32 v11, v8, v89
	ds_read_b64 v[96:97], v127 offset:144
	ds_write_b64 v135, v[10:11] offset:1072
	v_mul_f32_e32 v10, v9, v91
	v_mul_f32_e32 v11, v8, v91
	v_fma_f32 v10, v8, v90, -v10
	v_fmac_f32_e32 v11, v9, v90
	ds_read_b64 v[98:99], v127 offset:152
	ds_write_b64 v135, v[10:11] offset:1608
	s_waitcnt lgkmcnt(0)
	s_barrier
	ds_read2_b64 v[16:19], v125 offset1:1
	ds_read2_b64 v[12:15], v125 offset0:2 offset1:3
	v_add_co_u32_e64 v8, s[8:9], v54, v32
	v_addc_co_u32_e64 v9, s[8:9], 0, v53, s[8:9]
	s_waitcnt lgkmcnt(0)
	s_barrier
	s_cbranch_vccnz .LBB180_134
; %bb.127:                              ;   in Loop: Header=BB180_97 Depth=1
	v_pk_mov_b32 v[102:103], 0, 0
	v_cmp_gt_i32_e32 vcc, s28, v140
	v_pk_mov_b32 v[100:101], v[102:103], v[102:103] op_sel:[0,1]
	s_and_saveexec_b64 s[8:9], vcc
	s_cbranch_execz .LBB180_129
; %bb.128:                              ;   in Loop: Header=BB180_97 Depth=1
	flat_load_dwordx2 v[100:101], v[8:9]
.LBB180_129:                            ;   in Loop: Header=BB180_97 Depth=1
	s_or_b64 exec, exec, s[8:9]
	v_cmp_gt_i32_e32 vcc, s28, v141
	s_and_saveexec_b64 s[8:9], vcc
	s_cbranch_execz .LBB180_131
; %bb.130:                              ;   in Loop: Header=BB180_97 Depth=1
	v_add_co_u32_e32 v10, vcc, v52, v32
	v_addc_co_u32_e32 v11, vcc, 0, v51, vcc
	flat_load_dwordx2 v[102:103], v[10:11]
.LBB180_131:                            ;   in Loop: Header=BB180_97 Depth=1
	s_or_b64 exec, exec, s[8:9]
	v_cmp_gt_i32_e32 vcc, s28, v142
	v_pk_mov_b32 v[104:105], 0, 0
	s_and_saveexec_b64 s[8:9], vcc
	s_cbranch_execz .LBB180_133
; %bb.132:                              ;   in Loop: Header=BB180_97 Depth=1
	v_add_co_u32_e32 v10, vcc, v50, v32
	v_addc_co_u32_e32 v11, vcc, 0, v49, vcc
	flat_load_dwordx2 v[104:105], v[10:11]
.LBB180_133:                            ;   in Loop: Header=BB180_97 Depth=1
	s_or_b64 exec, exec, s[8:9]
	v_cmp_gt_i32_e64 s[8:9], s28, v143
	s_mov_b64 s[14:15], 0
	s_branch .LBB180_136
.LBB180_134:                            ;   in Loop: Header=BB180_97 Depth=1
	s_mov_b64 s[8:9], 0
                                        ; implicit-def: $sgpr14_sgpr15
                                        ; implicit-def: $vgpr104_vgpr105
                                        ; implicit-def: $vgpr102_vgpr103
                                        ; implicit-def: $vgpr100_vgpr101
	s_cbranch_execz .LBB180_136
; %bb.135:                              ;   in Loop: Header=BB180_97 Depth=1
	s_waitcnt vmcnt(0) lgkmcnt(0)
	flat_load_dwordx2 v[100:101], v[8:9]
	v_add_co_u32_e32 v8, vcc, v52, v32
	v_addc_co_u32_e32 v9, vcc, 0, v51, vcc
	flat_load_dwordx2 v[102:103], v[8:9]
	v_add_co_u32_e32 v8, vcc, v50, v32
	v_addc_co_u32_e32 v9, vcc, 0, v49, vcc
	flat_load_dwordx2 v[104:105], v[8:9]
	s_or_b64 s[8:9], s[8:9], exec
                                        ; implicit-def: $sgpr14_sgpr15
.LBB180_136:                            ;   in Loop: Header=BB180_97 Depth=1
	v_pk_mov_b32 v[106:107], s[14:15], s[14:15] op_sel:[0,1]
	s_and_saveexec_b64 s[14:15], s[8:9]
	s_cbranch_execz .LBB180_138
; %bb.137:                              ;   in Loop: Header=BB180_97 Depth=1
	v_add_co_u32_e32 v8, vcc, v56, v32
	v_addc_co_u32_e32 v9, vcc, 0, v55, vcc
	flat_load_dwordx2 v[106:107], v[8:9]
.LBB180_138:                            ;   in Loop: Header=BB180_97 Depth=1
	s_or_b64 exec, exec, s[14:15]
	ds_read_b64 v[8:9], v131
	ds_read_b64 v[108:109], v127 offset:256
	s_and_b64 vcc, exec, s[4:5]
	v_add_co_u32_e64 v118, s[4:5], v62, v32
	s_waitcnt vmcnt(0) lgkmcnt(0)
	v_mul_f32_e32 v10, v9, v101
	v_mul_f32_e32 v11, v9, v100
	v_mul_f32_e32 v20, v9, v103
	v_mul_f32_e32 v21, v9, v102
	v_fma_f32 v10, v8, v100, -v10
	v_fmac_f32_e32 v11, v8, v101
	v_fma_f32 v20, v8, v102, -v20
	v_fmac_f32_e32 v21, v8, v103
	ds_write2_b64 v135, v[10:11], v[20:21] offset1:67
	v_mul_f32_e32 v10, v9, v105
	v_mul_f32_e32 v11, v9, v104
	;; [unrolled: 1-line block ×4, first 2 shown]
	v_fma_f32 v10, v8, v104, -v10
	v_fmac_f32_e32 v11, v8, v105
	v_fma_f32 v20, v8, v106, -v20
	v_fmac_f32_e32 v21, v9, v106
	ds_write2_b64 v135, v[10:11], v[20:21] offset0:134 offset1:201
	ds_read2_b64 v[8:11], v127 offset0:33 offset1:34
	ds_read_b64 v[110:111], v127 offset:280
	s_waitcnt lgkmcnt(0)
	s_barrier
	ds_read2_b64 v[24:27], v125 offset1:1
	ds_read2_b64 v[20:23], v125 offset0:2 offset1:3
	v_addc_co_u32_e64 v119, s[4:5], 0, v61, s[4:5]
	s_waitcnt lgkmcnt(0)
	s_barrier
	s_cbranch_vccnz .LBB180_146
; %bb.139:                              ;   in Loop: Header=BB180_97 Depth=1
	v_pk_mov_b32 v[114:115], 0, 0
	v_cmp_gt_i32_e32 vcc, s28, v144
	v_pk_mov_b32 v[112:113], v[114:115], v[114:115] op_sel:[0,1]
	s_and_saveexec_b64 s[4:5], vcc
	s_cbranch_execz .LBB180_141
; %bb.140:                              ;   in Loop: Header=BB180_97 Depth=1
	flat_load_dwordx2 v[112:113], v[118:119]
.LBB180_141:                            ;   in Loop: Header=BB180_97 Depth=1
	s_or_b64 exec, exec, s[4:5]
	v_cmp_gt_i32_e32 vcc, s28, v145
	s_and_saveexec_b64 s[4:5], vcc
	s_cbranch_execz .LBB180_143
; %bb.142:                              ;   in Loop: Header=BB180_97 Depth=1
	v_add_co_u32_e32 v114, vcc, v60, v32
	v_addc_co_u32_e32 v115, vcc, 0, v59, vcc
	flat_load_dwordx2 v[114:115], v[114:115]
.LBB180_143:                            ;   in Loop: Header=BB180_97 Depth=1
	s_or_b64 exec, exec, s[4:5]
	v_cmp_gt_i32_e32 vcc, s28, v146
	v_pk_mov_b32 v[116:117], 0, 0
	s_and_saveexec_b64 s[4:5], vcc
	s_cbranch_execz .LBB180_145
; %bb.144:                              ;   in Loop: Header=BB180_97 Depth=1
	v_add_co_u32_e32 v116, vcc, v58, v32
	v_addc_co_u32_e32 v117, vcc, 0, v57, vcc
	flat_load_dwordx2 v[116:117], v[116:117]
.LBB180_145:                            ;   in Loop: Header=BB180_97 Depth=1
	s_or_b64 exec, exec, s[4:5]
	v_cmp_gt_i32_e64 s[4:5], s28, v147
	s_mov_b64 s[8:9], 0
	s_branch .LBB180_148
.LBB180_146:                            ;   in Loop: Header=BB180_97 Depth=1
	s_mov_b64 s[4:5], 0
                                        ; implicit-def: $sgpr8_sgpr9
                                        ; implicit-def: $vgpr116_vgpr117
                                        ; implicit-def: $vgpr114_vgpr115
                                        ; implicit-def: $vgpr112_vgpr113
	s_cbranch_execz .LBB180_148
; %bb.147:                              ;   in Loop: Header=BB180_97 Depth=1
	s_waitcnt vmcnt(0) lgkmcnt(0)
	v_add_co_u32_e32 v114, vcc, v60, v32
	v_addc_co_u32_e32 v115, vcc, 0, v59, vcc
	v_add_co_u32_e32 v116, vcc, v58, v32
	v_addc_co_u32_e32 v117, vcc, 0, v57, vcc
	flat_load_dwordx2 v[112:113], v[118:119]
	s_or_b64 s[4:5], s[4:5], exec
	flat_load_dwordx2 v[114:115], v[114:115]
                                        ; implicit-def: $sgpr8_sgpr9
	s_nop 0
	flat_load_dwordx2 v[116:117], v[116:117]
.LBB180_148:                            ;   in Loop: Header=BB180_97 Depth=1
	v_pk_mov_b32 v[118:119], s[8:9], s[8:9] op_sel:[0,1]
	s_and_saveexec_b64 s[8:9], s[4:5]
	s_cbranch_execz .LBB180_150
; %bb.149:                              ;   in Loop: Header=BB180_97 Depth=1
	v_add_co_u32_e32 v118, vcc, v64, v32
	v_addc_co_u32_e32 v119, vcc, 0, v63, vcc
	flat_load_dwordx2 v[118:119], v[118:119]
.LBB180_150:                            ;   in Loop: Header=BB180_97 Depth=1
	s_or_b64 exec, exec, s[8:9]
	v_pk_add_f32 v[24:25], v[24:25], 0 op_sel_hi:[1,0]
	v_pk_add_f32 v[24:25], v[24:25], v[26:27]
	v_pk_add_f32 v[20:21], v[24:25], v[20:21]
	;; [unrolled: 1-line block ×3, first 2 shown]
	ds_read_b64 v[20:21], v131
	v_pk_add_f32 v[16:17], v[16:17], 0 op_sel_hi:[1,0]
	v_pk_add_f32 v[16:17], v[16:17], v[18:19]
	v_pk_add_f32 v[12:13], v[16:17], v[12:13]
	;; [unrolled: 1-line block ×3, first 2 shown]
	s_waitcnt vmcnt(0) lgkmcnt(0)
	v_mul_f32_e32 v12, v21, v113
	v_mul_f32_e32 v13, v21, v112
	;; [unrolled: 1-line block ×4, first 2 shown]
	v_fma_f32 v12, v20, v112, -v12
	v_fmac_f32_e32 v13, v20, v113
	v_fma_f32 v14, v20, v114, -v14
	v_fmac_f32_e32 v15, v20, v115
	ds_write2_b64 v135, v[12:13], v[14:15] offset1:67
	v_mul_f32_e32 v12, v21, v117
	v_mul_f32_e32 v13, v21, v116
	;; [unrolled: 1-line block ×4, first 2 shown]
	v_fma_f32 v12, v20, v116, -v12
	v_fmac_f32_e32 v13, v20, v117
	v_fma_f32 v14, v20, v118, -v14
	v_fmac_f32_e32 v15, v21, v118
	ds_write2_b64 v135, v[12:13], v[14:15] offset0:134 offset1:201
	ds_read_b128 v[16:19], v127 offset:384
	ds_read_b128 v[12:15], v127 offset:400
	s_waitcnt lgkmcnt(0)
	s_barrier
	ds_read2_b64 v[20:23], v125 offset1:1
	v_pk_add_f32 v[4:5], v[4:5], 0 op_sel_hi:[1,0]
	v_pk_add_f32 v[148:149], v[4:5], v[6:7]
	ds_read2_b64 v[4:7], v125 offset0:2 offset1:3
	v_pk_add_f32 v[0:1], v[148:149], v[0:1]
	v_pk_add_f32 v[0:1], v[0:1], v[2:3]
	s_waitcnt lgkmcnt(1)
	v_pk_add_f32 v[2:3], v[20:21], 0 op_sel_hi:[1,0]
	v_cmp_gt_i32_e32 vcc, s28, v65
	v_pk_add_f32 v[2:3], v[2:3], v[22:23]
	s_or_b64 s[4:5], s[12:13], vcc
	s_waitcnt lgkmcnt(0)
	v_pk_add_f32 v[2:3], v[2:3], v[4:5]
	s_and_b64 s[8:9], s[2:3], s[4:5]
	v_pk_add_f32 v[2:3], v[2:3], v[6:7]
	s_barrier
	ds_write2_b64 v128, v[0:1], v[26:27] offset1:16
	ds_write2_b64 v128, v[24:25], v[2:3] offset0:32 offset1:48
	s_waitcnt lgkmcnt(0)
	s_barrier
	s_and_saveexec_b64 s[4:5], s[8:9]
	s_cbranch_execz .LBB180_96
; %bb.151:                              ;   in Loop: Header=BB180_97 Depth=1
	ds_read_b64 v[20:21], v123
	ds_read2_b64 v[0:3], v123 offset0:1 offset1:2
	ds_read2_b64 v[4:7], v123 offset0:3 offset1:4
	v_mov_b32_e32 v25, s26
	s_waitcnt lgkmcnt(1)
	v_add_f32_e32 v0, v0, v20
	v_add_f32_e32 v1, v1, v21
	;; [unrolled: 1-line block ×4, first 2 shown]
	ds_read2_b64 v[0:3], v123 offset0:5 offset1:6
	s_waitcnt lgkmcnt(1)
	v_add_f32_e32 v4, v20, v4
	v_add_f32_e32 v5, v21, v5
	;; [unrolled: 1-line block ×3, first 2 shown]
	v_add_u32_e32 v4, s24, v126
	v_add_f32_e32 v21, v5, v7
	v_ashrrev_i32_e32 v5, 31, v4
	v_lshlrev_b64 v[22:23], 3, v[4:5]
	ds_read2_b64 v[4:7], v123 offset0:7 offset1:8
	v_add_co_u32_e32 v24, vcc, s19, v22
	v_addc_co_u32_e32 v25, vcc, v25, v23, vcc
	s_waitcnt lgkmcnt(1)
	v_pk_add_f32 v[0:1], v[20:21], v[0:1]
	ds_read2_b64 v[20:23], v123 offset0:9 offset1:10
	v_pk_add_f32 v[0:1], v[0:1], v[2:3]
	s_waitcnt lgkmcnt(1)
	v_pk_add_f32 v[0:1], v[0:1], v[4:5]
	v_pk_add_f32 v[4:5], v[0:1], v[6:7]
	ds_read2_b64 v[0:3], v123 offset0:11 offset1:12
	s_waitcnt lgkmcnt(1)
	v_pk_add_f32 v[20:21], v[4:5], v[20:21]
	ds_read2_b64 v[4:7], v123 offset0:13 offset1:14
	v_pk_add_f32 v[20:21], v[20:21], v[22:23]
	ds_read_b64 v[22:23], v124
	s_waitcnt lgkmcnt(2)
	v_pk_add_f32 v[0:1], v[20:21], v[0:1]
	v_pk_add_f32 v[0:1], v[0:1], v[2:3]
	s_waitcnt lgkmcnt(1)
	v_pk_add_f32 v[0:1], v[0:1], v[4:5]
	v_pk_add_f32 v[0:1], v[0:1], v[6:7]
	s_waitcnt lgkmcnt(0)
	v_pk_add_f32 v[0:1], v[0:1], v[22:23]
	global_store_dwordx2 v[24:25], v[0:1], off
	s_branch .LBB180_96
.LBB180_152:
	s_movk_i32 s2, 0x218
	v_cmp_gt_i32_e32 vcc, s18, v65
	v_mad_u32_u24 v0, v120, s2, v32
	s_or_b64 s[2:3], s[20:21], vcc
	s_and_b64 s[0:1], s[0:1], s[2:3]
	ds_write_b64 v0, v[30:31]
	s_waitcnt lgkmcnt(0)
	s_barrier
	s_and_saveexec_b64 s[2:3], s[0:1]
	s_cbranch_execz .LBB180_154
; %bb.153:
	ds_read2_b64 v[0:3], v32 offset1:67
	ds_read2_b64 v[4:7], v32 offset0:134 offset1:201
	v_lshlrev_b64 v[8:9], 3, v[28:29]
	v_mov_b32_e32 v10, s26
	v_add_co_u32_e32 v8, vcc, s19, v8
	s_waitcnt lgkmcnt(1)
	v_pk_add_f32 v[0:1], v[2:3], v[0:1]
	s_waitcnt lgkmcnt(0)
	v_pk_add_f32 v[0:1], v[0:1], v[4:5]
	v_addc_co_u32_e32 v9, vcc, v10, v9, vcc
	v_pk_add_f32 v[0:1], v[0:1], v[6:7]
	global_store_dwordx2 v[8:9], v[0:1], off
.LBB180_154:
	s_endpgm
	.section	.rodata,"a",@progbits
	.p2align	6, 0x0
	.amdhsa_kernel _ZL26rocblas_hemvn_kernel_upperILb0ELi64ELi4ELi33ELi32ELi16ElPK19rocblas_complex_numIfEPKS3_PS1_EviT6_lT7_lT5_lS8_lS9_lS7_lT8_i
		.amdhsa_group_segment_fixed_size 9600
		.amdhsa_private_segment_fixed_size 0
		.amdhsa_kernarg_size 376
		.amdhsa_user_sgpr_count 6
		.amdhsa_user_sgpr_private_segment_buffer 1
		.amdhsa_user_sgpr_dispatch_ptr 0
		.amdhsa_user_sgpr_queue_ptr 0
		.amdhsa_user_sgpr_kernarg_segment_ptr 1
		.amdhsa_user_sgpr_dispatch_id 0
		.amdhsa_user_sgpr_flat_scratch_init 0
		.amdhsa_user_sgpr_kernarg_preload_length 0
		.amdhsa_user_sgpr_kernarg_preload_offset 0
		.amdhsa_user_sgpr_private_segment_size 0
		.amdhsa_uses_dynamic_stack 0
		.amdhsa_system_sgpr_private_segment_wavefront_offset 0
		.amdhsa_system_sgpr_workgroup_id_x 1
		.amdhsa_system_sgpr_workgroup_id_y 0
		.amdhsa_system_sgpr_workgroup_id_z 1
		.amdhsa_system_sgpr_workgroup_info 0
		.amdhsa_system_vgpr_workitem_id 1
		.amdhsa_next_free_vgpr 150
		.amdhsa_next_free_sgpr 42
		.amdhsa_accum_offset 152
		.amdhsa_reserve_vcc 1
		.amdhsa_reserve_flat_scratch 0
		.amdhsa_float_round_mode_32 0
		.amdhsa_float_round_mode_16_64 0
		.amdhsa_float_denorm_mode_32 3
		.amdhsa_float_denorm_mode_16_64 3
		.amdhsa_dx10_clamp 1
		.amdhsa_ieee_mode 1
		.amdhsa_fp16_overflow 0
		.amdhsa_tg_split 0
		.amdhsa_exception_fp_ieee_invalid_op 0
		.amdhsa_exception_fp_denorm_src 0
		.amdhsa_exception_fp_ieee_div_zero 0
		.amdhsa_exception_fp_ieee_overflow 0
		.amdhsa_exception_fp_ieee_underflow 0
		.amdhsa_exception_fp_ieee_inexact 0
		.amdhsa_exception_int_div_zero 0
	.end_amdhsa_kernel
	.section	.text._ZL26rocblas_hemvn_kernel_upperILb0ELi64ELi4ELi33ELi32ELi16ElPK19rocblas_complex_numIfEPKS3_PS1_EviT6_lT7_lT5_lS8_lS9_lS7_lT8_i,"axG",@progbits,_ZL26rocblas_hemvn_kernel_upperILb0ELi64ELi4ELi33ELi32ELi16ElPK19rocblas_complex_numIfEPKS3_PS1_EviT6_lT7_lT5_lS8_lS9_lS7_lT8_i,comdat
.Lfunc_end180:
	.size	_ZL26rocblas_hemvn_kernel_upperILb0ELi64ELi4ELi33ELi32ELi16ElPK19rocblas_complex_numIfEPKS3_PS1_EviT6_lT7_lT5_lS8_lS9_lS7_lT8_i, .Lfunc_end180-_ZL26rocblas_hemvn_kernel_upperILb0ELi64ELi4ELi33ELi32ELi16ElPK19rocblas_complex_numIfEPKS3_PS1_EviT6_lT7_lT5_lS8_lS9_lS7_lT8_i
                                        ; -- End function
	.section	.AMDGPU.csdata,"",@progbits
; Kernel info:
; codeLenInByte = 8796
; NumSgprs: 46
; NumVgprs: 150
; NumAgprs: 0
; TotalNumVgprs: 150
; ScratchSize: 0
; MemoryBound: 1
; FloatMode: 240
; IeeeMode: 1
; LDSByteSize: 9600 bytes/workgroup (compile time only)
; SGPRBlocks: 5
; VGPRBlocks: 18
; NumSGPRsForWavesPerEU: 46
; NumVGPRsForWavesPerEU: 150
; AccumOffset: 152
; Occupancy: 3
; WaveLimiterHint : 1
; COMPUTE_PGM_RSRC2:SCRATCH_EN: 0
; COMPUTE_PGM_RSRC2:USER_SGPR: 6
; COMPUTE_PGM_RSRC2:TRAP_HANDLER: 0
; COMPUTE_PGM_RSRC2:TGID_X_EN: 1
; COMPUTE_PGM_RSRC2:TGID_Y_EN: 0
; COMPUTE_PGM_RSRC2:TGID_Z_EN: 1
; COMPUTE_PGM_RSRC2:TIDIG_COMP_CNT: 1
; COMPUTE_PGM_RSRC3_GFX90A:ACCUM_OFFSET: 37
; COMPUTE_PGM_RSRC3_GFX90A:TG_SPLIT: 0
	.section	.text._ZL26rocblas_hemvn_kernel_upperILb0ELi64ELi4ELi33ELi32ELi16EiPK19rocblas_complex_numIfEPKS3_PS1_EviT6_lT7_lT5_lS8_lS9_lS7_lT8_i,"axG",@progbits,_ZL26rocblas_hemvn_kernel_upperILb0ELi64ELi4ELi33ELi32ELi16EiPK19rocblas_complex_numIfEPKS3_PS1_EviT6_lT7_lT5_lS8_lS9_lS7_lT8_i,comdat
	.globl	_ZL26rocblas_hemvn_kernel_upperILb0ELi64ELi4ELi33ELi32ELi16EiPK19rocblas_complex_numIfEPKS3_PS1_EviT6_lT7_lT5_lS8_lS9_lS7_lT8_i ; -- Begin function _ZL26rocblas_hemvn_kernel_upperILb0ELi64ELi4ELi33ELi32ELi16EiPK19rocblas_complex_numIfEPKS3_PS1_EviT6_lT7_lT5_lS8_lS9_lS7_lT8_i
	.p2align	8
	.type	_ZL26rocblas_hemvn_kernel_upperILb0ELi64ELi4ELi33ELi32ELi16EiPK19rocblas_complex_numIfEPKS3_PS1_EviT6_lT7_lT5_lS8_lS9_lS7_lT8_i,@function
_ZL26rocblas_hemvn_kernel_upperILb0ELi64ELi4ELi33ELi32ELi16EiPK19rocblas_complex_numIfEPKS3_PS1_EviT6_lT7_lT5_lS8_lS9_lS7_lT8_i: ; @_ZL26rocblas_hemvn_kernel_upperILb0ELi64ELi4ELi33ELi32ELi16EiPK19rocblas_complex_numIfEPKS3_PS1_EviT6_lT7_lT5_lS8_lS9_lS7_lT8_i
; %bb.0:
	s_load_dwordx2 s[0:1], s[4:5], 0x84
	s_add_u32 s16, s4, 0x78
	s_addc_u32 s17, s5, 0
	s_waitcnt lgkmcnt(0)
	s_lshr_b32 s2, s0, 16
	s_and_b32 s0, s0, 0xffff
	s_and_b32 s1, s1, 0xffff
	s_mul_i32 s0, s2, s0
	s_mul_i32 s0, s0, s1
	s_cmpk_lg_i32 s0, 0x100
	s_cbranch_scc1 .LBB181_154
; %bb.1:
	s_load_dwordx8 s[8:15], s[4:5], 0x8
	s_mov_b32 s24, s7
	s_mov_b32 s25, 0
	s_waitcnt lgkmcnt(0)
	s_mul_i32 s0, s7, s11
	s_mul_hi_u32 s1, s7, s10
	s_add_i32 s1, s1, s0
	s_mul_i32 s0, s7, s10
	s_lshl_b64 s[0:1], s[0:1], 3
	s_add_u32 s8, s8, s0
	s_addc_u32 s9, s9, s1
	s_load_dwordx2 s[10:11], s[8:9], 0x0
	s_load_dwordx2 s[26:27], s[4:5], 0x68
	s_load_dwordx4 s[0:3], s[4:5], 0x58
	s_waitcnt lgkmcnt(0)
	s_or_b32 s7, s10, s11
	s_bitset0_b32 s7, 31
	s_cmp_lg_u32 s7, 0
	s_cselect_b64 s[8:9], -1, 0
	s_and_b64 vcc, exec, s[8:9]
	s_cbranch_vccnz .LBB181_4
; %bb.2:
	s_mul_i32 s3, s24, s3
	s_mul_hi_u32 s7, s24, s2
	s_add_i32 s3, s7, s3
	s_mul_i32 s2, s24, s2
	s_lshl_b64 s[2:3], s[2:3], 3
	s_add_u32 s0, s0, s2
	s_addc_u32 s1, s1, s3
	s_load_dwordx2 s[0:1], s[0:1], 0x0
	s_mov_b64 s[10:11], 0
	s_waitcnt lgkmcnt(0)
	v_cmp_eq_f32_e64 s[2:3], s0, 1.0
	v_cmp_eq_f32_e64 s[0:1], s1, 0
	s_and_b64 s[0:1], s[2:3], s[0:1]
	s_andn2_b64 vcc, exec, s[0:1]
	s_mov_b64 s[0:1], 0
                                        ; implicit-def: $sgpr2_sgpr3
	s_cbranch_vccz .LBB181_5
; %bb.3:
	s_mov_b64 s[0:1], -1
	s_mov_b64 s[2:3], 0
	s_branch .LBB181_5
.LBB181_4:
	s_mov_b64 s[10:11], -1
	s_mov_b64 s[0:1], 0
                                        ; implicit-def: $sgpr2_sgpr3
.LBB181_5:
	s_and_b64 vcc, exec, s[10:11]
	s_cbranch_vccz .LBB181_7
; %bb.6:
	s_lshl_b64 s[0:1], s[24:25], 3
	s_add_u32 s0, s12, s0
	s_addc_u32 s1, s13, s1
	s_load_dwordx2 s[0:1], s[0:1], 0x0
	s_lshl_b64 s[2:3], s[14:15], 3
	s_waitcnt lgkmcnt(0)
	s_add_u32 s2, s0, s2
	s_addc_u32 s3, s1, s3
	s_mov_b64 s[0:1], -1
.LBB181_7:
	s_andn2_b64 vcc, exec, s[0:1]
	s_cbranch_vccnz .LBB181_154
; %bb.8:
	v_cndmask_b32_e64 v1, 0, 1, s[8:9]
	v_cmp_ne_u32_e64 s[0:1], 1, v1
	s_andn2_b64 vcc, exec, s[8:9]
	s_mov_b64 s[8:9], 0
	s_cbranch_vccnz .LBB181_10
; %bb.9:
	s_load_dwordx4 s[8:11], s[4:5], 0x38
	s_lshl_b64 s[12:13], s[24:25], 3
	s_waitcnt lgkmcnt(0)
	s_add_u32 s8, s8, s12
	s_addc_u32 s9, s9, s13
	s_load_dwordx2 s[8:9], s[8:9], 0x0
	s_lshl_b64 s[10:11], s[10:11], 3
	s_waitcnt lgkmcnt(0)
	s_add_u32 s8, s8, s10
	s_addc_u32 s9, s9, s11
.LBB181_10:
	s_and_b64 vcc, exec, s[0:1]
	s_cbranch_vccnz .LBB181_154
; %bb.11:
	s_load_dword s7, s[16:17], 0x0
	s_load_dword s40, s[4:5], 0x0
	;; [unrolled: 1-line block ×3, first 2 shown]
	v_and_b32_e32 v30, 0x3ff, v0
	s_lshl_b32 s20, s6, 6
	v_add_u32_e32 v28, s20, v30
	s_waitcnt lgkmcnt(0)
	s_ashr_i32 s41, s40, 31
	s_lshr_b32 s1, s41, 26
	v_bfe_u32 v71, v0, 10, 10
	s_add_i32 s1, s40, s1
	v_mul_lo_u32 v0, v28, s25
	s_andn2_b32 s1, s1, 63
	v_ashrrev_i32_e32 v1, 31, v0
	s_add_i32 s0, s7, -1
	s_sub_i32 s33, s40, s1
	v_lshlrev_b64 v[0:1], 3, v[0:1]
	s_cmp_eq_u32 s6, s0
	v_mov_b32_e32 v2, s9
	v_add_co_u32_e32 v14, vcc, s8, v0
	s_cselect_b32 s16, s33, 0
	v_addc_co_u32_e32 v15, vcc, v2, v1, vcc
	v_cmp_eq_u32_e64 s[0:1], 0, v71
	s_and_saveexec_b64 s[8:9], s[0:1]
	s_cbranch_execz .LBB181_16
; %bb.12:
	s_cmp_lg_u32 s16, 0
	s_cselect_b64 s[10:11], -1, 0
	v_cmp_le_i32_e32 vcc, s16, v30
	v_mov_b32_e32 v0, 0x2380
	s_and_b64 s[10:11], s[10:11], vcc
	v_lshl_add_u32 v0, v30, 3, v0
	s_and_saveexec_b64 s[12:13], s[10:11]
	s_xor_b64 s[10:11], exec, s[12:13]
	s_cbranch_execz .LBB181_14
; %bb.13:
	v_mov_b32_e32 v2, 0
	v_mov_b32_e32 v3, v2
	ds_write_b64 v0, v[2:3]
                                        ; implicit-def: $vgpr0
.LBB181_14:
	s_andn2_saveexec_b64 s[10:11], s[10:11]
	s_cbranch_execz .LBB181_16
; %bb.15:
	flat_load_dwordx2 v[2:3], v[14:15]
	s_waitcnt vmcnt(0) lgkmcnt(0)
	ds_write_b64 v0, v[2:3]
.LBB181_16:
	s_or_b64 exec, exec, s[8:9]
	s_load_dword s22, s[4:5], 0x28
	s_ashr_i32 s21, s20, 31
	v_lshl_add_u32 v22, v71, 6, v30
	s_lshl_b64 s[4:5], s[20:21], 3
	v_and_b32_e32 v0, 31, v30
	v_lshrrev_b32_e32 v1, 5, v22
	s_add_u32 s4, s2, s4
	s_addc_u32 s5, s3, s5
	s_waitcnt lgkmcnt(0)
	v_mad_u64_u32 v[2:3], s[2:3], v1, s22, v[0:1]
	s_mul_i32 s2, s20, s22
	s_ashr_i32 s3, s2, 31
	s_lshl_b64 s[2:3], s[2:3], 3
	s_add_u32 s2, s2, s4
	v_ashrrev_i32_e32 v3, 31, v2
	s_addc_u32 s3, s3, s5
	v_lshlrev_b64 v[12:13], 3, v[2:3]
	s_cmp_eq_u32 s16, 0
	v_mov_b32_e32 v3, s3
	v_add_co_u32_e32 v2, vcc, s2, v12
	s_cselect_b64 s[18:19], -1, 0
	s_cmp_lg_u32 s16, 0
	v_addc_co_u32_e32 v3, vcc, v3, v13, vcc
	s_cselect_b64 s[34:35], -1, 0
	s_and_b64 vcc, exec, s[34:35]
	v_cmp_gt_i32_e64 s[2:3], s16, v0
	v_lshlrev_b32_e32 v10, 3, v0
	s_cbranch_vccz .LBB181_32
; %bb.17:
	v_sub_co_u32_e32 v4, vcc, v2, v10
	s_ashr_i32 s17, s16, 31
	v_subbrev_co_u32_e32 v5, vcc, 0, v3, vcc
	s_lshl_b64 s[4:5], s[16:17], 3
	v_mov_b32_e32 v6, s5
	v_add_co_u32_e32 v4, vcc, s4, v4
	v_addc_co_u32_e32 v5, vcc, v5, v6, vcc
	v_add_co_u32_e32 v4, vcc, -8, v4
	v_addc_co_u32_e32 v5, vcc, -1, v5, vcc
	v_mov_b32_e32 v6, 0
	v_cndmask_b32_e64 v5, v5, v3, s[2:3]
	v_cndmask_b32_e64 v4, v4, v2, s[2:3]
	v_cmp_gt_i32_e32 vcc, s16, v1
	v_mov_b32_e32 v7, v6
	s_and_saveexec_b64 s[8:9], vcc
	s_cbranch_execz .LBB181_19
; %bb.18:
	flat_load_dwordx2 v[6:7], v[4:5]
.LBB181_19:
	s_or_b64 exec, exec, s[8:9]
	v_mul_u32_u24_e32 v8, 33, v1
	v_add_lshl_u32 v8, v8, v0, 3
	s_waitcnt vmcnt(0) lgkmcnt(0)
	ds_write_b64 v8, v[6:7]
	v_add_u32_e32 v6, 8, v1
	v_cmp_le_i32_e32 vcc, s16, v6
	s_and_saveexec_b64 s[8:9], vcc
	s_xor_b64 s[8:9], exec, s[8:9]
	s_cbranch_execz .LBB181_21
; %bb.20:
	v_mul_u32_u24_e32 v6, 33, v6
	v_add_lshl_u32 v9, v6, v0, 3
	v_mov_b32_e32 v6, 0
	v_mov_b32_e32 v7, v6
	ds_write_b64 v9, v[6:7]
.LBB181_21:
	s_andn2_saveexec_b64 s[8:9], s[8:9]
	s_cbranch_execz .LBB181_23
; %bb.22:
	s_lshl_b32 s10, s22, 3
	s_ashr_i32 s11, s10, 31
	s_lshl_b64 s[10:11], s[10:11], 3
	v_mov_b32_e32 v7, s11
	v_add_co_u32_e32 v6, vcc, s10, v4
	v_addc_co_u32_e32 v7, vcc, v5, v7, vcc
	flat_load_dwordx2 v[6:7], v[6:7]
	s_waitcnt vmcnt(0) lgkmcnt(0)
	ds_write_b64 v8, v[6:7] offset:2112
.LBB181_23:
	s_or_b64 exec, exec, s[8:9]
	v_add_u32_e32 v6, 16, v1
	v_cmp_le_i32_e32 vcc, s16, v6
	s_and_saveexec_b64 s[8:9], vcc
	s_xor_b64 s[8:9], exec, s[8:9]
	s_cbranch_execz .LBB181_25
; %bb.24:
	v_mov_b32_e32 v6, 0
	v_mov_b32_e32 v7, v6
	ds_write_b64 v8, v[6:7] offset:4224
.LBB181_25:
	s_andn2_saveexec_b64 s[8:9], s[8:9]
	s_cbranch_execz .LBB181_27
; %bb.26:
	s_lshl_b32 s10, s22, 4
	s_ashr_i32 s11, s10, 31
	s_lshl_b64 s[10:11], s[10:11], 3
	v_mov_b32_e32 v7, s11
	v_add_co_u32_e32 v6, vcc, s10, v4
	v_addc_co_u32_e32 v7, vcc, v5, v7, vcc
	flat_load_dwordx2 v[6:7], v[6:7]
	s_waitcnt vmcnt(0) lgkmcnt(0)
	ds_write_b64 v8, v[6:7] offset:4224
.LBB181_27:
	s_or_b64 exec, exec, s[8:9]
	v_add_u32_e32 v6, 24, v1
	v_cmp_le_i32_e32 vcc, s16, v6
	s_and_saveexec_b64 s[8:9], vcc
	s_xor_b64 s[8:9], exec, s[8:9]
	s_cbranch_execz .LBB181_29
; %bb.28:
	v_mov_b32_e32 v6, 0
	v_mov_b32_e32 v7, v6
	ds_write_b64 v8, v[6:7] offset:6336
                                        ; implicit-def: $vgpr8
.LBB181_29:
	s_andn2_saveexec_b64 s[8:9], s[8:9]
	s_cbranch_execz .LBB181_31
; %bb.30:
	s_mul_i32 s10, s22, 24
	s_ashr_i32 s11, s10, 31
	s_lshl_b64 s[10:11], s[10:11], 3
	v_mov_b32_e32 v7, s11
	v_add_co_u32_e32 v6, vcc, s10, v4
	v_addc_co_u32_e32 v7, vcc, v5, v7, vcc
	flat_load_dwordx2 v[6:7], v[6:7]
	s_waitcnt vmcnt(0) lgkmcnt(0)
	ds_write_b64 v8, v[6:7] offset:6336
.LBB181_31:
	s_or_b64 exec, exec, s[8:9]
	v_add_co_u32_e32 v4, vcc, v4, v10
	v_addc_co_u32_e32 v5, vcc, 0, v5, vcc
	v_mov_b32_e32 v6, s5
	v_subrev_co_u32_e32 v4, vcc, s4, v4
	v_subb_co_u32_e32 v5, vcc, v5, v6, vcc
	v_add_co_u32_e32 v4, vcc, 8, v4
	v_addc_co_u32_e32 v5, vcc, 0, v5, vcc
	v_cndmask_b32_e64 v5, v5, v3, s[2:3]
	v_cndmask_b32_e64 v4, v4, v2, s[2:3]
	v_mul_u32_u24_e32 v18, 33, v1
	s_branch .LBB181_34
.LBB181_32:
                                        ; implicit-def: $vgpr4_vgpr5
	v_mul_u32_u24_e32 v18, 33, v1
	s_cbranch_execz .LBB181_34
; %bb.33:
	flat_load_dwordx2 v[4:5], v[2:3]
	s_lshl_b32 s2, s22, 3
	s_ashr_i32 s3, s2, 31
	s_lshl_b64 s[2:3], s[2:3], 3
	v_add_lshl_u32 v8, v18, v0, 3
	v_mov_b32_e32 v7, s3
	v_add_co_u32_e32 v6, vcc, s2, v2
	v_addc_co_u32_e32 v7, vcc, v3, v7, vcc
	s_ashr_i32 s23, s22, 31
	s_lshl_b64 s[2:3], s[22:23], 6
	v_mov_b32_e32 v9, s3
	s_waitcnt vmcnt(0) lgkmcnt(0)
	ds_write_b64 v8, v[4:5]
	flat_load_dwordx2 v[4:5], v[6:7]
	v_add_co_u32_e32 v6, vcc, s2, v6
	v_addc_co_u32_e32 v7, vcc, v7, v9, vcc
	s_waitcnt vmcnt(0) lgkmcnt(0)
	ds_write_b64 v8, v[4:5] offset:2112
	flat_load_dwordx2 v[4:5], v[6:7]
	v_add_co_u32_e32 v6, vcc, s2, v6
	v_addc_co_u32_e32 v7, vcc, v7, v9, vcc
	s_waitcnt vmcnt(0) lgkmcnt(0)
	ds_write_b64 v8, v[4:5] offset:4224
	flat_load_dwordx2 v[4:5], v[6:7]
	s_waitcnt vmcnt(0) lgkmcnt(0)
	ds_write_b64 v8, v[4:5] offset:6336
	v_pk_mov_b32 v[4:5], v[2:3], v[2:3] op_sel:[0,1]
.LBB181_34:
	v_lshlrev_b32_e32 v2, 2, v1
	v_mul_u32_u24_e32 v11, 33, v0
	v_cmp_gt_u32_e64 s[4:5], v2, v0
	v_add_lshl_u32 v16, v2, v11, 3
	s_waitcnt lgkmcnt(0)
	s_barrier
	s_and_saveexec_b64 s[2:3], s[4:5]
	s_cbranch_execz .LBB181_36
; %bb.35:
	v_mul_u32_u24_e32 v3, 0x84, v1
	v_add_lshl_u32 v3, v3, v0, 3
	ds_read_b64 v[6:7], v3
	s_waitcnt lgkmcnt(0)
	ds_write_b64 v16, v[6:7]
.LBB181_36:
	s_or_b64 exec, exec, s[2:3]
	v_cmp_ge_u32_e64 s[14:15], v2, v0
	s_and_saveexec_b64 s[2:3], s[14:15]
	s_cbranch_execz .LBB181_38
; %bb.37:
	v_or_b32_e32 v3, 1, v2
	v_mul_u32_u24_e32 v3, 33, v3
	v_add_lshl_u32 v3, v3, v0, 3
	ds_read_b64 v[6:7], v3
	s_waitcnt lgkmcnt(0)
	ds_write_b64 v16, v[6:7] offset:8
.LBB181_38:
	s_or_b64 exec, exec, s[2:3]
	v_or_b32_e32 v3, 2, v2
	v_cmp_gt_u32_e64 s[8:9], v3, v0
	s_and_saveexec_b64 s[2:3], s[8:9]
	s_cbranch_execz .LBB181_40
; %bb.39:
	v_mul_u32_u24_e32 v3, 33, v3
	v_add_lshl_u32 v3, v3, v0, 3
	ds_read_b64 v[6:7], v3
	s_waitcnt lgkmcnt(0)
	ds_write_b64 v16, v[6:7] offset:16
.LBB181_40:
	s_or_b64 exec, exec, s[2:3]
	v_or_b32_e32 v3, 3, v2
	v_cmp_gt_u32_e64 s[10:11], v3, v0
	v_mad_u32_u24 v3, v3, 33, v0
	v_lshlrev_b32_e32 v19, 3, v3
	s_and_saveexec_b64 s[2:3], s[10:11]
	s_cbranch_execz .LBB181_42
; %bb.41:
	ds_read_b64 v[6:7], v19
	s_waitcnt lgkmcnt(0)
	ds_write_b64 v16, v[6:7] offset:24
.LBB181_42:
	s_or_b64 exec, exec, s[2:3]
	v_mul_u32_u24_e32 v3, 0x84, v1
	v_add_lshl_u32 v20, v3, v0, 3
	s_waitcnt lgkmcnt(0)
	s_barrier
	v_lshlrev_b32_e32 v17, 3, v2
	v_add_u32_e32 v21, 0xfffffdf0, v19
	ds_read_b64 v[2:3], v20
	ds_read_b128 v[6:9], v17 offset:9088
	ds_read2_b64 v[24:27], v21 offset1:33
	ds_read_b64 v[36:37], v19
	ds_read_b128 v[32:35], v17 offset:9104
	s_mov_b32 s12, 0
	s_mov_b32 s13, s12
	s_waitcnt lgkmcnt(3)
	v_pk_mul_f32 v[38:39], v[6:7], v[2:3] op_sel:[0,1]
	v_pk_fma_f32 v[40:41], v[6:7], v[2:3], v[38:39] op_sel:[0,0,1] op_sel_hi:[1,1,0] neg_lo:[0,0,1] neg_hi:[0,0,1]
	v_pk_fma_f32 v[2:3], v[6:7], v[2:3], v[38:39] op_sel:[0,0,1] op_sel_hi:[1,0,0]
	s_waitcnt lgkmcnt(2)
	v_pk_mul_f32 v[6:7], v[8:9], v[24:25] op_sel:[0,1]
	v_pk_fma_f32 v[38:39], v[8:9], v[24:25], v[6:7] op_sel:[0,0,1] op_sel_hi:[1,1,0] neg_lo:[0,0,1] neg_hi:[0,0,1]
	v_pk_fma_f32 v[6:7], v[8:9], v[24:25], v[6:7] op_sel:[0,0,1] op_sel_hi:[1,0,0]
	v_mov_b32_e32 v41, v3
	v_mov_b32_e32 v39, v7
	s_waitcnt lgkmcnt(0)
	v_pk_mul_f32 v[6:7], v[32:33], v[26:27] op_sel:[0,1]
	v_pk_add_f32 v[2:3], v[40:41], 0 op_sel_hi:[1,0]
	v_pk_fma_f32 v[8:9], v[32:33], v[26:27], v[6:7] op_sel:[0,0,1] op_sel_hi:[1,1,0] neg_lo:[0,0,1] neg_hi:[0,0,1]
	v_pk_fma_f32 v[6:7], v[32:33], v[26:27], v[6:7] op_sel:[0,0,1] op_sel_hi:[1,0,0]
	v_pk_add_f32 v[2:3], v[2:3], v[38:39]
	v_mov_b32_e32 v9, v7
	v_pk_mul_f32 v[6:7], v[34:35], v[36:37] op_sel:[0,1]
	v_pk_add_f32 v[2:3], v[2:3], v[8:9]
	v_pk_fma_f32 v[8:9], v[34:35], v[36:37], v[6:7] op_sel:[0,0,1] op_sel_hi:[1,1,0] neg_lo:[0,0,1] neg_hi:[0,0,1]
	v_pk_fma_f32 v[6:7], v[34:35], v[36:37], v[6:7] op_sel:[0,0,1] op_sel_hi:[1,0,0]
	v_mov_b32_e32 v9, v7
	v_add_lshl_u32 v23, v1, v11, 3
	v_pk_add_f32 v[2:3], v[2:3], v[8:9]
	v_cmp_gt_u32_e64 s[2:3], 32, v22
	v_pk_mov_b32 v[32:33], s[12:13], s[12:13] op_sel:[0,1]
	v_lshlrev_b32_e32 v24, 3, v11
	s_barrier
	ds_write_b64 v23, v[2:3]
	s_waitcnt lgkmcnt(0)
	s_barrier
	s_and_saveexec_b64 s[12:13], s[2:3]
	s_cbranch_execz .LBB181_44
; %bb.43:
	ds_read2_b64 v[6:9], v24 offset1:7
	ds_read2_b64 v[32:35], v24 offset0:1 offset1:2
	ds_read2_b64 v[36:39], v24 offset0:3 offset1:4
	s_waitcnt lgkmcnt(1)
	v_add_f32_e32 v2, v32, v6
	v_add_f32_e32 v3, v33, v7
	v_add_f32_e32 v2, v2, v34
	v_add_f32_e32 v3, v3, v35
	ds_read2_b64 v[32:35], v24 offset0:5 offset1:6
	s_waitcnt lgkmcnt(1)
	v_add_f32_e32 v2, v2, v36
	v_add_f32_e32 v3, v3, v37
	;; [unrolled: 1-line block ×4, first 2 shown]
	s_waitcnt lgkmcnt(0)
	v_add_f32_e32 v2, v2, v32
	v_add_f32_e32 v3, v3, v33
	v_add_f32_e32 v2, v2, v34
	v_add_f32_e32 v3, v3, v35
	v_pk_add_f32 v[32:33], v[2:3], v[8:9]
.LBB181_44:
	s_or_b64 exec, exec, s[12:13]
	s_lshl_b32 s28, s22, 5
	s_ashr_i32 s29, s28, 31
	s_lshl_b64 s[30:31], s[28:29], 3
	v_mov_b32_e32 v2, s31
	v_add_co_u32_e32 v4, vcc, s30, v4
	v_addc_co_u32_e32 v5, vcc, v5, v2, vcc
	v_add_co_u32_e32 v2, vcc, 0x100, v4
	v_addc_co_u32_e32 v3, vcc, 0, v5, vcc
	s_and_b64 vcc, exec, s[34:35]
	s_barrier
	s_cbranch_vccz .LBB181_60
; %bb.45:
	v_or_b32_e32 v6, 32, v0
	v_lshlrev_b32_e32 v7, 3, v6
	v_sub_co_u32_e32 v7, vcc, v2, v7
	s_ashr_i32 s17, s16, 31
	v_subbrev_co_u32_e32 v8, vcc, 0, v3, vcc
	s_lshl_b64 s[36:37], s[16:17], 3
	v_mov_b32_e32 v9, s37
	v_add_co_u32_e32 v7, vcc, s36, v7
	v_addc_co_u32_e32 v8, vcc, v8, v9, vcc
	v_add_co_u32_e32 v9, vcc, -8, v7
	v_addc_co_u32_e32 v7, vcc, -1, v8, vcc
	v_cmp_gt_i32_e64 s[12:13], s16, v6
	s_sub_i32 s17, s16, 32
	v_mov_b32_e32 v8, 0
	v_cndmask_b32_e64 v7, v7, v3, s[12:13]
	v_cndmask_b32_e64 v6, v9, v2, s[12:13]
	v_cmp_gt_i32_e32 vcc, s17, v1
	v_mov_b32_e32 v9, v8
	s_and_saveexec_b64 s[38:39], vcc
	s_cbranch_execz .LBB181_47
; %bb.46:
	flat_load_dwordx2 v[8:9], v[6:7]
.LBB181_47:
	s_or_b64 exec, exec, s[38:39]
	v_add_lshl_u32 v25, v18, v0, 3
	s_waitcnt vmcnt(0) lgkmcnt(0)
	ds_write_b64 v25, v[8:9]
	v_add_u32_e32 v8, 8, v1
	v_cmp_le_i32_e32 vcc, s17, v8
	s_and_saveexec_b64 s[38:39], vcc
	s_xor_b64 s[38:39], exec, s[38:39]
	s_cbranch_execz .LBB181_49
; %bb.48:
	v_mul_u32_u24_e32 v8, 33, v8
	v_add_lshl_u32 v26, v8, v0, 3
	v_mov_b32_e32 v8, 0
	v_mov_b32_e32 v9, v8
	ds_write_b64 v26, v[8:9]
.LBB181_49:
	s_andn2_saveexec_b64 s[38:39], s[38:39]
	s_cbranch_execz .LBB181_51
; %bb.50:
	s_lshl_b32 s42, s22, 3
	s_ashr_i32 s43, s42, 31
	s_lshl_b64 s[42:43], s[42:43], 3
	v_mov_b32_e32 v9, s43
	v_add_co_u32_e32 v8, vcc, s42, v6
	v_addc_co_u32_e32 v9, vcc, v7, v9, vcc
	flat_load_dwordx2 v[8:9], v[8:9]
	s_waitcnt vmcnt(0) lgkmcnt(0)
	ds_write_b64 v25, v[8:9] offset:2112
.LBB181_51:
	s_or_b64 exec, exec, s[38:39]
	v_add_u32_e32 v8, 16, v1
	v_cmp_le_i32_e32 vcc, s17, v8
	s_and_saveexec_b64 s[38:39], vcc
	s_xor_b64 s[38:39], exec, s[38:39]
	s_cbranch_execz .LBB181_53
; %bb.52:
	v_mul_u32_u24_e32 v8, 33, v8
	v_add_lshl_u32 v26, v8, v0, 3
	v_mov_b32_e32 v8, 0
	v_mov_b32_e32 v9, v8
	ds_write_b64 v26, v[8:9]
.LBB181_53:
	s_andn2_saveexec_b64 s[38:39], s[38:39]
	s_cbranch_execz .LBB181_55
; %bb.54:
	s_lshl_b32 s42, s22, 4
	s_ashr_i32 s43, s42, 31
	s_lshl_b64 s[42:43], s[42:43], 3
	v_mov_b32_e32 v9, s43
	v_add_co_u32_e32 v8, vcc, s42, v6
	v_addc_co_u32_e32 v9, vcc, v7, v9, vcc
	flat_load_dwordx2 v[8:9], v[8:9]
	s_waitcnt vmcnt(0) lgkmcnt(0)
	ds_write_b64 v25, v[8:9] offset:4224
.LBB181_55:
	s_or_b64 exec, exec, s[38:39]
	v_add_u32_e32 v8, 24, v1
	v_cmp_le_i32_e32 vcc, s17, v8
	s_and_saveexec_b64 s[38:39], vcc
	s_xor_b64 s[38:39], exec, s[38:39]
	s_cbranch_execz .LBB181_57
; %bb.56:
	v_mov_b32_e32 v8, 0
	v_mov_b32_e32 v9, v8
	ds_write_b64 v25, v[8:9] offset:6336
                                        ; implicit-def: $vgpr25
.LBB181_57:
	s_andn2_saveexec_b64 s[38:39], s[38:39]
	s_cbranch_execz .LBB181_59
; %bb.58:
	s_mul_i32 s42, s22, 24
	s_ashr_i32 s43, s42, 31
	s_lshl_b64 s[42:43], s[42:43], 3
	v_mov_b32_e32 v9, s43
	v_add_co_u32_e32 v8, vcc, s42, v6
	v_addc_co_u32_e32 v9, vcc, v7, v9, vcc
	flat_load_dwordx2 v[8:9], v[8:9]
	s_waitcnt vmcnt(0) lgkmcnt(0)
	ds_write_b64 v25, v[8:9] offset:6336
.LBB181_59:
	s_or_b64 exec, exec, s[38:39]
	v_add_co_u32_e32 v6, vcc, v6, v10
	v_addc_co_u32_e32 v7, vcc, 0, v7, vcc
	v_mov_b32_e32 v8, s37
	v_subrev_co_u32_e32 v6, vcc, s36, v6
	v_subb_co_u32_e32 v7, vcc, v7, v8, vcc
	v_add_co_u32_e32 v6, vcc, 0x108, v6
	v_addc_co_u32_e32 v7, vcc, 0, v7, vcc
	v_cndmask_b32_e64 v7, v7, v3, s[12:13]
	v_cndmask_b32_e64 v6, v6, v2, s[12:13]
	s_branch .LBB181_62
.LBB181_60:
                                        ; implicit-def: $vgpr6_vgpr7
	s_cbranch_execz .LBB181_62
; %bb.61:
	flat_load_dwordx2 v[6:7], v[4:5] offset:256
	s_lshl_b32 s12, s22, 3
	s_ashr_i32 s13, s12, 31
	s_lshl_b64 s[12:13], s[12:13], 3
	v_add_lshl_u32 v8, v18, v0, 3
	v_mov_b32_e32 v9, s13
	v_add_co_u32_e32 v4, vcc, s12, v4
	v_addc_co_u32_e32 v5, vcc, v5, v9, vcc
	s_ashr_i32 s23, s22, 31
	s_lshl_b64 s[12:13], s[22:23], 6
	v_mov_b32_e32 v9, s13
	s_waitcnt vmcnt(0) lgkmcnt(0)
	ds_write_b64 v8, v[6:7]
	flat_load_dwordx2 v[6:7], v[4:5] offset:256
	v_add_co_u32_e32 v4, vcc, s12, v4
	v_addc_co_u32_e32 v5, vcc, v5, v9, vcc
	s_waitcnt vmcnt(0) lgkmcnt(0)
	ds_write_b64 v8, v[6:7] offset:2112
	flat_load_dwordx2 v[6:7], v[4:5] offset:256
	v_add_co_u32_e32 v4, vcc, s12, v4
	v_addc_co_u32_e32 v5, vcc, v5, v9, vcc
	s_waitcnt vmcnt(0) lgkmcnt(0)
	ds_write_b64 v8, v[6:7] offset:4224
	flat_load_dwordx2 v[4:5], v[4:5] offset:256
	v_pk_mov_b32 v[6:7], v[2:3], v[2:3] op_sel:[0,1]
	s_waitcnt vmcnt(0) lgkmcnt(0)
	ds_write_b64 v8, v[4:5] offset:6336
.LBB181_62:
	s_waitcnt lgkmcnt(0)
	s_barrier
	s_and_saveexec_b64 s[12:13], s[4:5]
	s_cbranch_execnz .LBB181_85
; %bb.63:
	s_or_b64 exec, exec, s[12:13]
	s_and_saveexec_b64 s[4:5], s[14:15]
	s_cbranch_execnz .LBB181_86
.LBB181_64:
	s_or_b64 exec, exec, s[4:5]
	s_and_saveexec_b64 s[4:5], s[8:9]
	s_cbranch_execnz .LBB181_87
.LBB181_65:
	s_or_b64 exec, exec, s[4:5]
	v_add_u32_e32 v25, 0x2380, v17
	s_and_saveexec_b64 s[4:5], s[10:11]
	s_cbranch_execz .LBB181_67
.LBB181_66:
	ds_read_b64 v[2:3], v19
	s_waitcnt lgkmcnt(0)
	ds_write_b64 v16, v[2:3] offset:24
.LBB181_67:
	s_or_b64 exec, exec, s[4:5]
	s_waitcnt lgkmcnt(0)
	s_barrier
	ds_read_b64 v[8:9], v20
	ds_read_b128 v[2:5], v25 offset:256
	ds_read2_b64 v[34:37], v21 offset1:33
	ds_read_b64 v[16:17], v19
	ds_read_b128 v[38:41], v25 offset:272
	v_cmp_eq_u32_e64 s[4:5], 1, v1
	s_waitcnt lgkmcnt(3)
	v_pk_mul_f32 v[26:27], v[2:3], v[8:9] op_sel:[0,1]
	v_pk_fma_f32 v[42:43], v[2:3], v[8:9], v[26:27] op_sel:[0,0,1] op_sel_hi:[1,1,0] neg_lo:[0,0,1] neg_hi:[0,0,1]
	v_pk_fma_f32 v[2:3], v[2:3], v[8:9], v[26:27] op_sel:[0,0,1] op_sel_hi:[1,0,0]
	s_waitcnt lgkmcnt(2)
	v_pk_mul_f32 v[8:9], v[4:5], v[34:35] op_sel:[0,1]
	v_pk_fma_f32 v[26:27], v[4:5], v[34:35], v[8:9] op_sel:[0,0,1] op_sel_hi:[1,1,0] neg_lo:[0,0,1] neg_hi:[0,0,1]
	v_pk_fma_f32 v[4:5], v[4:5], v[34:35], v[8:9] op_sel:[0,0,1] op_sel_hi:[1,0,0]
	v_mov_b32_e32 v43, v3
	v_mov_b32_e32 v27, v5
	s_waitcnt lgkmcnt(0)
	v_pk_mul_f32 v[4:5], v[38:39], v[36:37] op_sel:[0,1]
	v_pk_add_f32 v[2:3], v[42:43], 0 op_sel_hi:[1,0]
	v_pk_fma_f32 v[8:9], v[38:39], v[36:37], v[4:5] op_sel:[0,0,1] op_sel_hi:[1,1,0] neg_lo:[0,0,1] neg_hi:[0,0,1]
	v_pk_fma_f32 v[4:5], v[38:39], v[36:37], v[4:5] op_sel:[0,0,1] op_sel_hi:[1,0,0]
	v_pk_add_f32 v[2:3], v[2:3], v[26:27]
	v_mov_b32_e32 v9, v5
	v_pk_mul_f32 v[4:5], v[40:41], v[16:17] op_sel:[0,1]
	v_pk_add_f32 v[2:3], v[2:3], v[8:9]
	v_pk_fma_f32 v[8:9], v[40:41], v[16:17], v[4:5] op_sel:[0,0,1] op_sel_hi:[1,1,0] neg_lo:[0,0,1] neg_hi:[0,0,1]
	v_pk_fma_f32 v[4:5], v[40:41], v[16:17], v[4:5] op_sel:[0,0,1] op_sel_hi:[1,0,0]
	v_mov_b32_e32 v9, v5
	v_pk_add_f32 v[2:3], v[2:3], v[8:9]
	s_barrier
	ds_write_b64 v23, v[2:3]
	s_waitcnt lgkmcnt(0)
	s_barrier
	s_and_saveexec_b64 s[8:9], s[4:5]
	s_cbranch_execz .LBB181_69
; %bb.68:
	ds_read2_b64 v[2:5], v24 offset1:7
	ds_read2_b64 v[32:35], v24 offset0:1 offset1:2
	ds_read2_b64 v[36:39], v24 offset0:3 offset1:4
	s_waitcnt lgkmcnt(1)
	v_add_f32_e32 v2, v32, v2
	v_add_f32_e32 v3, v33, v3
	;; [unrolled: 1-line block ×4, first 2 shown]
	ds_read2_b64 v[32:35], v24 offset0:5 offset1:6
	s_waitcnt lgkmcnt(1)
	v_add_f32_e32 v2, v2, v36
	v_add_f32_e32 v3, v3, v37
	;; [unrolled: 1-line block ×4, first 2 shown]
	s_waitcnt lgkmcnt(0)
	v_add_f32_e32 v2, v2, v32
	v_add_f32_e32 v3, v3, v33
	v_pk_add_f32 v[2:3], v[2:3], v[34:35]
	v_pk_add_f32 v[32:33], v[2:3], v[4:5]
.LBB181_69:
	s_or_b64 exec, exec, s[8:9]
	v_add_co_u32_e32 v2, vcc, 0xffffff00, v6
	v_addc_co_u32_e32 v3, vcc, -1, v7, vcc
	s_and_b64 vcc, exec, s[34:35]
	s_barrier
	s_cbranch_vccz .LBB181_88
; %bb.70:
	v_sub_co_u32_e32 v4, vcc, v2, v10
	s_ashr_i32 s17, s16, 31
	v_subbrev_co_u32_e32 v5, vcc, 0, v3, vcc
	s_lshl_b64 s[10:11], s[16:17], 3
	v_mov_b32_e32 v6, s11
	v_add_co_u32_e32 v4, vcc, s10, v4
	v_addc_co_u32_e32 v5, vcc, v5, v6, vcc
	v_add_co_u32_e32 v4, vcc, -8, v4
	v_addc_co_u32_e32 v5, vcc, -1, v5, vcc
	v_cmp_gt_i32_e32 vcc, s16, v0
	s_sub_i32 s14, s16, 32
	v_mov_b32_e32 v6, 0
	v_cndmask_b32_e32 v5, v5, v3, vcc
	v_cndmask_b32_e32 v4, v4, v2, vcc
	v_cmp_gt_i32_e64 s[8:9], s14, v1
	v_mov_b32_e32 v7, v6
	s_and_saveexec_b64 s[12:13], s[8:9]
	s_cbranch_execz .LBB181_72
; %bb.71:
	flat_load_dwordx2 v[6:7], v[4:5]
.LBB181_72:
	s_or_b64 exec, exec, s[12:13]
	v_add_lshl_u32 v8, v18, v0, 3
	s_waitcnt vmcnt(0) lgkmcnt(0)
	ds_write_b64 v8, v[6:7]
	v_add_u32_e32 v6, 8, v1
	v_cmp_le_i32_e64 s[8:9], s14, v6
	s_and_saveexec_b64 s[12:13], s[8:9]
	s_xor_b64 s[8:9], exec, s[12:13]
	s_cbranch_execz .LBB181_74
; %bb.73:
	v_mul_u32_u24_e32 v7, 33, v6
	v_mov_b32_e32 v16, 0
	v_add_lshl_u32 v7, v7, v0, 3
	v_mov_b32_e32 v17, v16
	ds_write_b64 v7, v[16:17]
.LBB181_74:
	s_andn2_saveexec_b64 s[12:13], s[8:9]
	s_cbranch_execz .LBB181_76
; %bb.75:
	s_lshl_b32 s8, s22, 3
	s_ashr_i32 s9, s8, 31
	s_lshl_b64 s[8:9], s[8:9], 3
	v_mov_b32_e32 v7, s9
	v_add_co_u32_e64 v16, s[8:9], s8, v4
	v_addc_co_u32_e64 v17, s[8:9], v5, v7, s[8:9]
	flat_load_dwordx2 v[16:17], v[16:17]
	s_waitcnt vmcnt(0) lgkmcnt(0)
	ds_write_b64 v8, v[16:17] offset:2112
.LBB181_76:
	s_or_b64 exec, exec, s[12:13]
	v_add_u32_e32 v7, 16, v1
	v_cmp_le_i32_e64 s[8:9], s14, v7
	s_and_saveexec_b64 s[12:13], s[8:9]
	s_xor_b64 s[8:9], exec, s[12:13]
	s_cbranch_execz .LBB181_78
; %bb.77:
	v_mov_b32_e32 v16, 0
	v_mov_b32_e32 v17, v16
	ds_write_b64 v8, v[16:17] offset:4224
.LBB181_78:
	s_andn2_saveexec_b64 s[12:13], s[8:9]
	s_cbranch_execz .LBB181_80
; %bb.79:
	s_lshl_b32 s8, s22, 4
	s_ashr_i32 s9, s8, 31
	s_lshl_b64 s[8:9], s[8:9], 3
	v_mov_b32_e32 v9, s9
	v_add_co_u32_e64 v16, s[8:9], s8, v4
	v_addc_co_u32_e64 v17, s[8:9], v5, v9, s[8:9]
	flat_load_dwordx2 v[16:17], v[16:17]
	s_waitcnt vmcnt(0) lgkmcnt(0)
	ds_write_b64 v8, v[16:17] offset:4224
.LBB181_80:
	s_or_b64 exec, exec, s[12:13]
	v_add_u32_e32 v9, 24, v1
	v_cmp_le_i32_e64 s[8:9], s14, v9
	s_and_saveexec_b64 s[12:13], s[8:9]
	s_xor_b64 s[8:9], exec, s[12:13]
	s_cbranch_execz .LBB181_82
; %bb.81:
	v_mov_b32_e32 v16, 0
	v_mov_b32_e32 v17, v16
	ds_write_b64 v8, v[16:17] offset:6336
                                        ; implicit-def: $vgpr8
.LBB181_82:
	s_andn2_saveexec_b64 s[12:13], s[8:9]
	s_cbranch_execz .LBB181_84
; %bb.83:
	s_mul_i32 s8, s22, 24
	s_ashr_i32 s9, s8, 31
	s_lshl_b64 s[8:9], s[8:9], 3
	v_mov_b32_e32 v17, s9
	v_add_co_u32_e64 v16, s[8:9], s8, v4
	v_addc_co_u32_e64 v17, s[8:9], v5, v17, s[8:9]
	flat_load_dwordx2 v[16:17], v[16:17]
	s_waitcnt vmcnt(0) lgkmcnt(0)
	ds_write_b64 v8, v[16:17] offset:6336
.LBB181_84:
	s_or_b64 exec, exec, s[12:13]
	v_add_co_u32_e64 v4, s[8:9], v4, v10
	v_addc_co_u32_e64 v5, s[8:9], 0, v5, s[8:9]
	v_mov_b32_e32 v8, s11
	v_subrev_co_u32_e64 v4, s[8:9], s10, v4
	v_subb_co_u32_e64 v5, s[8:9], v5, v8, s[8:9]
	v_add_co_u32_e64 v4, s[8:9], 8, v4
	v_addc_co_u32_e64 v5, s[8:9], 0, v5, s[8:9]
	v_cndmask_b32_e32 v17, v5, v3, vcc
	v_cndmask_b32_e32 v16, v4, v2, vcc
	s_branch .LBB181_90
.LBB181_85:
	ds_read_b64 v[2:3], v20
	s_waitcnt lgkmcnt(0)
	ds_write_b64 v16, v[2:3]
	s_or_b64 exec, exec, s[12:13]
	s_and_saveexec_b64 s[4:5], s[14:15]
	s_cbranch_execz .LBB181_64
.LBB181_86:
	ds_read_b64 v[2:3], v21
	s_waitcnt lgkmcnt(0)
	ds_write_b64 v16, v[2:3] offset:8
	s_or_b64 exec, exec, s[4:5]
	s_and_saveexec_b64 s[4:5], s[8:9]
	s_cbranch_execz .LBB181_65
.LBB181_87:
	ds_read_b64 v[2:3], v21 offset:264
	s_waitcnt lgkmcnt(0)
	ds_write_b64 v16, v[2:3] offset:16
	s_or_b64 exec, exec, s[4:5]
	v_add_u32_e32 v25, 0x2380, v17
	s_and_saveexec_b64 s[4:5], s[10:11]
	s_cbranch_execnz .LBB181_66
	s_branch .LBB181_67
.LBB181_88:
                                        ; implicit-def: $vgpr16_vgpr17
                                        ; implicit-def: $vgpr6
                                        ; implicit-def: $vgpr7
                                        ; implicit-def: $vgpr9
	s_cbranch_execz .LBB181_90
; %bb.89:
	flat_load_dwordx2 v[4:5], v[2:3]
	s_lshl_b32 s8, s22, 3
	s_ashr_i32 s9, s8, 31
	s_lshl_b64 s[8:9], s[8:9], 3
	v_add_lshl_u32 v0, v18, v0, 3
	v_mov_b32_e32 v7, s9
	v_add_co_u32_e32 v6, vcc, s8, v2
	v_addc_co_u32_e32 v7, vcc, v3, v7, vcc
	s_ashr_i32 s23, s22, 31
	s_lshl_b64 s[8:9], s[22:23], 6
	v_mov_b32_e32 v8, s9
	v_add_u32_e32 v9, 24, v1
	v_pk_mov_b32 v[16:17], v[2:3], v[2:3] op_sel:[0,1]
	s_waitcnt vmcnt(0) lgkmcnt(0)
	ds_write_b64 v0, v[4:5]
	flat_load_dwordx2 v[4:5], v[6:7]
	v_add_co_u32_e32 v6, vcc, s8, v6
	v_addc_co_u32_e32 v7, vcc, v7, v8, vcc
	s_waitcnt vmcnt(0) lgkmcnt(0)
	ds_write_b64 v0, v[4:5] offset:2112
	flat_load_dwordx2 v[4:5], v[6:7]
	v_add_co_u32_e32 v6, vcc, s8, v6
	v_addc_co_u32_e32 v7, vcc, v7, v8, vcc
	s_waitcnt vmcnt(0) lgkmcnt(0)
	ds_write_b64 v0, v[4:5] offset:4224
	flat_load_dwordx2 v[4:5], v[6:7]
	v_add_u32_e32 v6, 8, v1
	v_add_u32_e32 v7, 16, v1
	s_waitcnt vmcnt(0) lgkmcnt(0)
	ds_write_b64 v0, v[4:5] offset:6336
.LBB181_90:
	v_lshlrev_b32_e32 v18, 3, v1
	v_add_lshl_u32 v34, v7, v11, 3
	v_lshlrev_b32_e32 v46, 3, v7
	v_add_lshl_u32 v44, v9, v11, 3
	v_lshlrev_b32_e32 v42, 3, v9
	s_waitcnt lgkmcnt(0)
	s_barrier
	v_add_lshl_u32 v29, v6, v11, 3
	v_lshlrev_b32_e32 v31, 3, v6
	ds_read2_b64 v[4:7], v21 offset1:33
	ds_read_b64 v[20:21], v20
	ds_read_b128 v[8:11], v25 offset:256
	ds_read_b64 v[26:27], v23
	ds_read_b128 v[0:3], v25 offset:272
	ds_read_b64 v[34:35], v34
	ds_read_b64 v[36:37], v31 offset:9088
	ds_read_b64 v[38:39], v29
	ds_read_b64 v[40:41], v18 offset:9088
	ds_read_b64 v[18:19], v19
	ds_read_b64 v[42:43], v42 offset:9088
	ds_read_b64 v[44:45], v44
	ds_read_b64 v[46:47], v46 offset:9088
	s_waitcnt lgkmcnt(4)
	v_pk_mul_f32 v[48:49], v[40:41], v[26:27] op_sel:[0,1]
	v_pk_fma_f32 v[50:51], v[40:41], v[26:27], v[48:49] op_sel:[0,0,1] op_sel_hi:[1,1,0] neg_lo:[0,0,1] neg_hi:[0,0,1]
	v_pk_fma_f32 v[26:27], v[40:41], v[26:27], v[48:49] op_sel:[0,0,1] op_sel_hi:[1,0,0]
	v_pk_mul_f32 v[40:41], v[36:37], v[38:39] op_sel:[0,1]
	v_pk_fma_f32 v[48:49], v[36:37], v[38:39], v[40:41] op_sel:[0,0,1] op_sel_hi:[1,1,0] neg_lo:[0,0,1] neg_hi:[0,0,1]
	v_pk_fma_f32 v[36:37], v[36:37], v[38:39], v[40:41] op_sel:[0,0,1] op_sel_hi:[1,0,0]
	v_mov_b32_e32 v49, v37
	s_waitcnt lgkmcnt(0)
	v_pk_mul_f32 v[36:37], v[46:47], v[34:35] op_sel:[0,1]
	v_mov_b32_e32 v51, v27
	v_pk_fma_f32 v[38:39], v[46:47], v[34:35], v[36:37] op_sel:[0,0,1] op_sel_hi:[1,1,0] neg_lo:[0,0,1] neg_hi:[0,0,1]
	v_pk_fma_f32 v[34:35], v[46:47], v[34:35], v[36:37] op_sel:[0,0,1] op_sel_hi:[1,0,0]
	v_pk_add_f32 v[26:27], v[50:51], 0 op_sel_hi:[1,0]
	v_mov_b32_e32 v39, v35
	v_pk_mul_f32 v[34:35], v[42:43], v[44:45] op_sel:[0,1]
	v_pk_add_f32 v[26:27], v[26:27], v[48:49]
	v_pk_fma_f32 v[36:37], v[42:43], v[44:45], v[34:35] op_sel:[0,0,1] op_sel_hi:[1,1,0] neg_lo:[0,0,1] neg_hi:[0,0,1]
	v_pk_fma_f32 v[34:35], v[42:43], v[44:45], v[34:35] op_sel:[0,0,1] op_sel_hi:[1,0,0]
	v_pk_add_f32 v[26:27], v[26:27], v[38:39]
	v_mov_b32_e32 v37, v35
	v_pk_add_f32 v[26:27], v[26:27], v[36:37]
	s_barrier
	ds_write_b64 v23, v[26:27]
	s_waitcnt lgkmcnt(0)
	s_barrier
	s_and_saveexec_b64 s[8:9], s[4:5]
	s_cbranch_execz .LBB181_92
; %bb.91:
	ds_read2_b64 v[34:37], v24 offset1:1
	ds_read2_b64 v[38:41], v24 offset0:2 offset1:3
	ds_read2_b64 v[42:45], v24 offset0:6 offset1:7
	s_waitcnt lgkmcnt(2)
	v_pk_add_f32 v[26:27], v[32:33], v[34:35]
	ds_read2_b64 v[32:35], v24 offset0:4 offset1:5
	v_pk_add_f32 v[26:27], v[26:27], v[36:37]
	s_waitcnt lgkmcnt(2)
	v_pk_add_f32 v[26:27], v[26:27], v[38:39]
	v_pk_add_f32 v[26:27], v[26:27], v[40:41]
	s_waitcnt lgkmcnt(0)
	v_pk_add_f32 v[26:27], v[26:27], v[32:33]
	v_pk_add_f32 v[26:27], v[26:27], v[34:35]
	;; [unrolled: 1-line block ×4, first 2 shown]
.LBB181_92:
	s_or_b64 exec, exec, s[8:9]
	v_pk_mul_f32 v[26:27], v[8:9], v[20:21] op_sel:[0,1]
	v_pk_fma_f32 v[34:35], v[8:9], v[20:21], v[26:27] op_sel:[0,0,1] op_sel_hi:[1,1,0] neg_lo:[0,0,1] neg_hi:[0,0,1]
	v_pk_fma_f32 v[8:9], v[8:9], v[20:21], v[26:27] op_sel:[0,0,1] op_sel_hi:[1,0,0]
	v_pk_mul_f32 v[20:21], v[10:11], v[4:5] op_sel:[0,1]
	v_mov_b32_e32 v35, v9
	v_pk_fma_f32 v[26:27], v[10:11], v[4:5], v[20:21] op_sel:[0,0,1] op_sel_hi:[1,1,0] neg_lo:[0,0,1] neg_hi:[0,0,1]
	v_pk_fma_f32 v[4:5], v[10:11], v[4:5], v[20:21] op_sel:[0,0,1] op_sel_hi:[1,0,0]
	v_pk_add_f32 v[8:9], v[34:35], 0 op_sel_hi:[1,0]
	v_mov_b32_e32 v27, v5
	v_pk_add_f32 v[4:5], v[8:9], v[26:27]
	v_pk_mul_f32 v[8:9], v[0:1], v[6:7] op_sel:[0,1]
	v_pk_fma_f32 v[10:11], v[0:1], v[6:7], v[8:9] op_sel:[0,0,1] op_sel_hi:[1,1,0] neg_lo:[0,0,1] neg_hi:[0,0,1]
	v_pk_fma_f32 v[0:1], v[0:1], v[6:7], v[8:9] op_sel:[0,0,1] op_sel_hi:[1,0,0]
	v_mov_b32_e32 v11, v1
	v_pk_add_f32 v[0:1], v[4:5], v[10:11]
	v_pk_mul_f32 v[4:5], v[2:3], v[18:19] op_sel:[0,1]
	v_pk_fma_f32 v[6:7], v[2:3], v[18:19], v[4:5] op_sel:[0,0,1] op_sel_hi:[1,1,0] neg_lo:[0,0,1] neg_hi:[0,0,1]
	v_pk_fma_f32 v[2:3], v[2:3], v[18:19], v[4:5] op_sel:[0,0,1] op_sel_hi:[1,0,0]
	v_mov_b32_e32 v7, v3
	v_pk_add_f32 v[0:1], v[0:1], v[6:7]
	s_barrier
	ds_write_b64 v23, v[0:1]
	s_waitcnt lgkmcnt(0)
	s_barrier
	s_and_saveexec_b64 s[4:5], s[2:3]
	s_cbranch_execz .LBB181_94
; %bb.93:
	ds_read2_b64 v[0:3], v24 offset1:1
	ds_read2_b64 v[4:7], v24 offset0:2 offset1:3
	ds_read2_b64 v[8:11], v24 offset0:4 offset1:5
	s_waitcnt lgkmcnt(2)
	v_pk_add_f32 v[0:1], v[32:33], v[0:1]
	v_pk_add_f32 v[18:19], v[0:1], v[2:3]
	ds_read2_b64 v[0:3], v24 offset0:6 offset1:7
	s_waitcnt lgkmcnt(2)
	v_pk_add_f32 v[4:5], v[18:19], v[4:5]
	v_pk_add_f32 v[4:5], v[4:5], v[6:7]
	s_waitcnt lgkmcnt(1)
	v_pk_add_f32 v[4:5], v[4:5], v[8:9]
	v_pk_add_f32 v[4:5], v[4:5], v[10:11]
	;; [unrolled: 3-line block ×3, first 2 shown]
.LBB181_94:
	s_or_b64 exec, exec, s[4:5]
	s_mul_hi_u32 s2, s40, s24
	s_mul_i32 s41, s41, s24
	s_add_i32 s2, s2, s41
	s_mul_i32 s4, s40, s24
	s_mul_i32 s2, s2, s7
	s_mul_hi_u32 s3, s4, s7
	s_add_i32 s3, s3, s2
	s_mul_i32 s2, s4, s7
	s_lshl_b64 s[2:3], s[2:3], 3
	s_add_u32 s4, s26, s2
	s_addc_u32 s5, s27, s3
	s_mul_hi_i32 s3, s40, s6
	s_mul_i32 s2, s40, s6
	s_lshl_b64 s[2:3], s[2:3], 3
	s_add_u32 s17, s4, s2
	s_addc_u32 s26, s5, s3
	s_add_i32 s8, s6, 1
	s_cmp_ge_u32 s8, s7
	v_lshlrev_b32_e32 v73, 3, v30
	s_barrier
	s_cbranch_scc1 .LBB181_152
; %bb.95:
	s_mul_i32 s2, s20, s25
	s_ashr_i32 s3, s2, 31
	s_lshl_b64 s[2:3], s[2:3], 3
	v_lshlrev_b32_e32 v130, 2, v71
	v_mov_b32_e32 v0, s3
	v_subrev_co_u32_e32 v131, vcc, s2, v14
	v_subb_co_u32_e32 v132, vcc, v15, v0, vcc
	v_mad_u64_u32 v[0:1], s[2:3], v130, s22, v[30:31]
	s_lshl_b32 s34, s25, 6
	s_lshl_b32 s2, s22, 4
	s_ashr_i32 s23, s22, 31
	s_lshl_b32 s14, s22, 1
	s_mul_i32 s36, s22, 3
	s_mul_i32 s25, s25, s8
	s_add_i32 s27, s7, -2
	s_ashr_i32 s3, s2, 31
	s_ashr_i32 s15, s14, 31
	;; [unrolled: 1-line block ×3, first 2 shown]
	s_lshl_b64 s[4:5], s[22:23], 3
	s_lshl_b32 s10, s25, 6
	s_lshl_b64 s[8:9], s[22:23], 4
	v_ashrrev_i32_e32 v1, 31, v0
	v_sub_co_u32_e32 v133, vcc, 0, v12
	s_add_u32 s11, s8, s30
	v_subb_co_u32_e32 v134, vcc, 0, v13, vcc
	s_addc_u32 s21, s9, s31
	v_lshlrev_b64 v[2:3], 3, v[0:1]
	v_mov_b32_e32 v4, s21
	v_add_co_u32_e32 v5, vcc, s11, v2
	v_addc_co_u32_e32 v4, vcc, v4, v3, vcc
	s_lshl_b64 s[12:13], s[2:3], 5
	v_add_co_u32_e32 v34, vcc, v16, v5
	s_add_u32 s23, s4, s30
	v_addc_co_u32_e32 v29, vcc, v17, v4, vcc
	s_addc_u32 s35, s5, s31
	v_mov_b32_e32 v4, s35
	v_add_co_u32_e32 v5, vcc, s23, v2
	v_addc_co_u32_e32 v4, vcc, v4, v3, vcc
	v_add_co_u32_e32 v36, vcc, v16, v5
	v_addc_co_u32_e32 v31, vcc, v17, v4, vcc
	v_mov_b32_e32 v4, s31
	v_add_co_u32_e32 v5, vcc, s30, v2
	v_addc_co_u32_e32 v4, vcc, v4, v3, vcc
	s_lshl_b64 s[14:15], s[14:15], 3
	v_add_co_u32_e32 v38, vcc, v16, v5
	s_add_u32 s24, s30, s14
	v_addc_co_u32_e32 v35, vcc, v17, v4, vcc
	s_addc_u32 s25, s31, s15
	v_mov_b32_e32 v4, s25
	v_add_co_u32_e32 v5, vcc, s24, v2
	v_addc_co_u32_e32 v4, vcc, v4, v3, vcc
	s_lshl_b64 s[24:25], s[36:37], 3
	v_add_co_u32_e32 v40, vcc, v16, v5
	s_add_u32 s36, s30, s24
	v_addc_co_u32_e32 v37, vcc, v17, v4, vcc
	s_addc_u32 s37, s31, s25
	;; [unrolled: 8-line block ×3, first 2 shown]
	v_mov_b32_e32 v4, s39
	v_add_co_u32_e32 v5, vcc, s38, v2
	v_addc_co_u32_e32 v4, vcc, v4, v3, vcc
	v_add_co_u32_e32 v44, vcc, v16, v5
	s_add_u32 s23, s23, s36
	v_addc_co_u32_e32 v41, vcc, v17, v4, vcc
	s_addc_u32 s35, s35, s37
	v_mov_b32_e32 v4, s35
	v_add_co_u32_e32 v5, vcc, s23, v2
	v_addc_co_u32_e32 v4, vcc, v4, v3, vcc
	v_add_co_u32_e32 v46, vcc, v16, v5
	s_add_u32 s23, s30, s36
	v_addc_co_u32_e32 v43, vcc, v17, v4, vcc
	s_addc_u32 s35, s31, s37
	;; [unrolled: 7-line block ×4, first 2 shown]
	v_mov_b32_e32 v4, s35
	v_add_co_u32_e32 v5, vcc, s23, v2
	v_addc_co_u32_e32 v4, vcc, v4, v3, vcc
	s_lshl_b64 s[36:37], s[2:3], 4
	v_add_co_u32_e32 v52, vcc, v16, v5
	s_add_u32 s3, s11, s36
	v_addc_co_u32_e32 v49, vcc, v17, v4, vcc
	s_addc_u32 s11, s21, s37
	v_mov_b32_e32 v4, s11
	v_add_co_u32_e32 v5, vcc, s3, v2
	s_add_u32 s3, s36, s30
	v_addc_co_u32_e32 v4, vcc, v4, v3, vcc
	s_addc_u32 s11, s37, s31
	v_add_co_u32_e32 v54, vcc, v16, v5
	s_add_u32 s21, s3, s4
	v_addc_co_u32_e32 v51, vcc, v17, v4, vcc
	s_addc_u32 s23, s11, s5
	v_mov_b32_e32 v4, s23
	v_add_co_u32_e32 v5, vcc, s21, v2
	v_addc_co_u32_e32 v4, vcc, v4, v3, vcc
	v_mov_b32_e32 v6, s11
	v_add_co_u32_e32 v7, vcc, s3, v2
	s_add_u32 s21, s3, s14
	v_addc_co_u32_e32 v6, vcc, v6, v3, vcc
	s_addc_u32 s23, s11, s15
	v_mov_b32_e32 v8, s23
	v_add_co_u32_e32 v9, vcc, s21, v2
	s_add_u32 s3, s3, s24
	v_addc_co_u32_e32 v8, vcc, v8, v3, vcc
	s_addc_u32 s11, s11, s25
	v_mov_b32_e32 v10, s11
	v_add_co_u32_e32 v2, vcc, s3, v2
	v_addc_co_u32_e32 v3, vcc, v10, v3, vcc
	s_mul_i32 s3, s22, 0x180
	v_mov_b32_e32 v10, s29
	v_add_co_u32_e32 v0, vcc, s28, v0
	s_mul_hi_i32 s11, s2, 24
	s_add_u32 s3, s3, s8
	v_addc_co_u32_e32 v1, vcc, v10, v1, vcc
	s_addc_u32 s8, s11, s9
	v_lshlrev_b64 v[0:1], 3, v[0:1]
	v_mov_b32_e32 v10, s8
	v_add_co_u32_e32 v11, vcc, s3, v0
	v_addc_co_u32_e32 v10, vcc, v10, v1, vcc
	v_mad_i64_i32 v[0:1], s[2:3], s2, 24, v[0:1]
	v_mov_b32_e32 v12, s5
	v_add_co_u32_e32 v13, vcc, s4, v0
	v_addc_co_u32_e32 v12, vcc, v1, v12, vcc
	v_mov_b32_e32 v14, s15
	v_add_co_u32_e32 v15, vcc, s14, v0
	v_addc_co_u32_e32 v14, vcc, v1, v14, vcc
	;; [unrolled: 3-line block ×3, first 2 shown]
	v_add_co_u32_e32 v56, vcc, v16, v0
	v_addc_co_u32_e32 v53, vcc, v17, v1, vcc
	v_add_co_u32_e32 v58, vcc, v16, v5
	v_addc_co_u32_e32 v55, vcc, v17, v4, vcc
	;; [unrolled: 2-line block ×6, first 2 shown]
	v_add_co_u32_e32 v68, vcc, v16, v13
	v_and_b32_e32 v2, 48, v30
	v_addc_co_u32_e32 v65, vcc, v17, v12, vcc
	s_movk_i32 s4, 0x218
	v_and_b32_e32 v1, 15, v30
	v_lshlrev_b32_e32 v3, 3, v2
	v_add_co_u32_e32 v70, vcc, v16, v15
	v_lshrrev_b32_e32 v0, 4, v22
	v_mad_u32_u24 v135, v1, s4, v3
	v_or_b32_e32 v3, 0x78, v73
	v_addc_co_u32_e32 v67, vcc, v17, v14, vcc
	v_mad_u32_u24 v136, v1, s4, v3
	v_lshlrev_b32_e32 v3, 5, v0
	v_add_co_u32_e32 v72, vcc, v16, v19
	v_mad_u32_u24 v137, v1, s4, v3
	v_mov_b32_e32 v3, 0x2180
	s_movk_i32 s4, 0x860
	v_mul_i32_i24_e32 v0, 0xffffffe8, v0
	v_add_u32_e32 v2, s20, v2
	v_addc_co_u32_e32 v69, vcc, v17, v18, vcc
	v_cmp_gt_u32_e64 s[2:3], 64, v22
	v_lshl_add_u32 v138, v71, 5, v3
	v_add3_u32 v74, v2, v1, 64
	v_add_u32_e32 v139, v137, v0
	v_add_u32_e32 v140, 0x2180, v73
	;; [unrolled: 1-line block ×3, first 2 shown]
	v_or_b32_e32 v142, 1, v130
	v_or_b32_e32 v143, 2, v130
	;; [unrolled: 1-line block ×3, first 2 shown]
	v_mad_u32_u24 v145, v71, s4, v73
	v_add_u32_e32 v146, 16, v130
	v_add_u32_e32 v147, 17, v130
	;; [unrolled: 1-line block ×12, first 2 shown]
	v_mov_b32_e32 v76, 0
	s_branch .LBB181_97
.LBB181_96:                             ;   in Loop: Header=BB181_97 Depth=1
	s_or_b64 exec, exec, s[4:5]
	v_mul_f32_e32 v0, v87, v79
	v_fma_f32 v0, v86, v78, -v0
	v_mul_f32_e32 v2, v89, v81
	v_add_f32_e32 v0, v32, v0
	v_fma_f32 v2, v88, v80, -v2
	v_add_f32_e32 v0, v0, v2
	v_mul_f32_e32 v2, v91, v83
	v_fma_f32 v2, v90, v82, -v2
	v_mul_f32_e32 v1, v87, v78
	v_add_f32_e32 v0, v0, v2
	v_mul_f32_e32 v2, v93, v85
	v_mul_f32_e32 v3, v89, v80
	v_fma_f32 v2, v92, v84, -v2
	v_fmac_f32_e32 v1, v86, v79
	v_mul_f32_e32 v4, v91, v82
	v_add_f32_e32 v0, v0, v2
	v_add_f32_e32 v1, v33, v1
	v_fmac_f32_e32 v3, v88, v81
	v_mul_f32_e32 v2, v103, v95
	v_mul_f32_e32 v5, v93, v84
	v_add_f32_e32 v1, v1, v3
	v_fmac_f32_e32 v4, v90, v83
	v_fma_f32 v2, v102, v94, -v2
	v_add_f32_e32 v1, v1, v4
	v_fmac_f32_e32 v5, v92, v85
	v_mul_f32_e32 v6, v103, v94
	v_add_f32_e32 v0, v0, v2
	v_mul_f32_e32 v2, v105, v97
	v_add_f32_e32 v1, v1, v5
	v_fma_f32 v2, v104, v96, -v2
	v_mul_f32_e32 v7, v105, v96
	v_fmac_f32_e32 v6, v102, v95
	v_add_f32_e32 v0, v0, v2
	v_mul_f32_e32 v2, v107, v99
	v_mul_f32_e32 v3, v107, v98
	v_add_f32_e32 v1, v1, v6
	v_fmac_f32_e32 v7, v104, v97
	v_fma_f32 v2, v106, v98, -v2
	v_add_f32_e32 v1, v1, v7
	v_fmac_f32_e32 v3, v106, v99
	v_mul_f32_e32 v4, v109, v101
	v_mul_f32_e32 v5, v109, v100
	v_pk_add_f32 v[0:1], v[0:1], v[2:3]
	v_mov_b32_e32 v2, v111
	v_fma_f32 v4, v108, v100, -v4
	v_fmac_f32_e32 v5, v108, v101
	v_pk_mul_f32 v[2:3], v[118:119], v[2:3] op_sel_hi:[1,0]
	v_pk_add_f32 v[0:1], v[0:1], v[4:5]
	v_pk_fma_f32 v[4:5], v[118:119], v[110:111], v[2:3] op_sel:[0,0,1] op_sel_hi:[1,1,0] neg_lo:[0,0,1] neg_hi:[0,0,1]
	v_pk_fma_f32 v[2:3], v[118:119], v[110:111], v[2:3] op_sel:[0,0,1] op_sel_hi:[1,0,0]
	v_mov_b32_e32 v2, v113
	v_mov_b32_e32 v5, v3
	v_pk_mul_f32 v[2:3], v[8:9], v[2:3] op_sel_hi:[1,0]
	v_pk_add_f32 v[0:1], v[0:1], v[4:5]
	v_pk_fma_f32 v[4:5], v[8:9], v[112:113], v[2:3] op_sel:[0,0,1] op_sel_hi:[1,1,0] neg_lo:[0,0,1] neg_hi:[0,0,1]
	v_pk_fma_f32 v[2:3], v[8:9], v[112:113], v[2:3] op_sel:[0,0,1] op_sel_hi:[1,0,0]
	v_mov_b32_e32 v2, v115
	v_mov_b32_e32 v5, v3
	;; [unrolled: 6-line block ×5, first 2 shown]
	v_pk_mul_f32 v[2:3], v[18:19], v[2:3] op_sel_hi:[1,0]
	v_pk_fma_f32 v[6:7], v[18:19], v[124:125], v[2:3] op_sel:[0,0,1] op_sel_hi:[1,1,0] neg_lo:[0,0,1] neg_hi:[0,0,1]
	v_pk_fma_f32 v[2:3], v[18:19], v[124:125], v[2:3] op_sel:[0,0,1] op_sel_hi:[1,0,0]
	v_mov_b32_e32 v2, v127
	v_mov_b32_e32 v7, v3
	v_pk_mul_f32 v[2:3], v[12:13], v[2:3] op_sel_hi:[1,0]
	v_pk_fma_f32 v[8:9], v[12:13], v[126:127], v[2:3] op_sel:[0,0,1] op_sel_hi:[1,1,0] neg_lo:[0,0,1] neg_hi:[0,0,1]
	v_pk_fma_f32 v[2:3], v[12:13], v[126:127], v[2:3] op_sel:[0,0,1] op_sel_hi:[1,0,0]
	v_mov_b32_e32 v2, v129
	v_mov_b32_e32 v9, v3
	v_pk_mul_f32 v[2:3], v[14:15], v[2:3] op_sel_hi:[1,0]
	v_pk_add_f32 v[0:1], v[0:1], v[4:5]
	v_pk_fma_f32 v[10:11], v[14:15], v[128:129], v[2:3] op_sel:[0,0,1] op_sel_hi:[1,1,0] neg_lo:[0,0,1] neg_hi:[0,0,1]
	v_pk_fma_f32 v[2:3], v[14:15], v[128:129], v[2:3] op_sel:[0,0,1] op_sel_hi:[1,0,0]
	v_pk_add_f32 v[0:1], v[0:1], v[6:7]
	v_mov_b32_e32 v11, v3
	v_pk_add_f32 v[0:1], v[0:1], v[8:9]
	v_pk_add_f32 v[32:33], v[0:1], v[10:11]
	v_mov_b32_e32 v0, s13
	v_add_co_u32_e32 v34, vcc, s12, v34
	v_addc_co_u32_e32 v29, vcc, v29, v0, vcc
	v_add_co_u32_e32 v36, vcc, s12, v36
	v_addc_co_u32_e32 v31, vcc, v31, v0, vcc
	;; [unrolled: 2-line block ×19, first 2 shown]
	s_add_i32 s4, s6, 1
	s_add_i32 s10, s10, s34
	;; [unrolled: 1-line block ×3, first 2 shown]
	v_add_co_u32_e32 v72, vcc, s12, v72
	v_add_u32_e32 v74, 64, v74
	v_addc_co_u32_e32 v69, vcc, v69, v0, vcc
	s_cmp_ge_u32 s5, s7
	s_mov_b32 s6, s4
	s_barrier
	s_cbranch_scc1 .LBB181_152
.LBB181_97:                             ; =>This Inner Loop Header: Depth=1
	s_cmp_eq_u32 s27, s6
	s_cselect_b32 s24, s33, 0
	s_and_saveexec_b64 s[4:5], s[0:1]
	s_cbranch_execz .LBB181_102
; %bb.98:                               ;   in Loop: Header=BB181_97 Depth=1
	s_cmp_lg_u32 s24, 0
	s_cselect_b64 s[8:9], -1, 0
	v_cmp_le_i32_e32 vcc, s24, v30
	s_and_b64 s[8:9], s[8:9], vcc
	s_and_saveexec_b64 s[14:15], s[8:9]
	s_xor_b64 s[8:9], exec, s[14:15]
	s_cbranch_execz .LBB181_100
; %bb.99:                               ;   in Loop: Header=BB181_97 Depth=1
	v_mov_b32_e32 v77, v76
	ds_write_b64 v140, v[76:77]
.LBB181_100:                            ;   in Loop: Header=BB181_97 Depth=1
	s_andn2_saveexec_b64 s[8:9], s[8:9]
	s_cbranch_execz .LBB181_102
; %bb.101:                              ;   in Loop: Header=BB181_97 Depth=1
	s_ashr_i32 s11, s10, 31
	s_lshl_b64 s[8:9], s[10:11], 3
	v_mov_b32_e32 v1, s9
	v_add_co_u32_e32 v0, vcc, s8, v131
	v_addc_co_u32_e32 v1, vcc, v132, v1, vcc
	flat_load_dwordx2 v[0:1], v[0:1]
	s_waitcnt vmcnt(0) lgkmcnt(0)
	ds_write_b64 v140, v[0:1]
.LBB181_102:                            ;   in Loop: Header=BB181_97 Depth=1
	s_or_b64 exec, exec, s[4:5]
	s_cmp_eq_u32 s24, 0
	v_add_co_u32_e32 v0, vcc, v38, v133
	s_cselect_b64 s[14:15], -1, 0
	s_cmp_lg_u32 s24, 0
	v_addc_co_u32_e32 v1, vcc, v35, v134, vcc
	s_cselect_b64 s[8:9], -1, 0
	s_and_b64 vcc, exec, s[8:9]
	s_waitcnt lgkmcnt(0)
	s_barrier
	s_cbranch_vccz .LBB181_110
; %bb.103:                              ;   in Loop: Header=BB181_97 Depth=1
	v_pk_mov_b32 v[80:81], 0, 0
	v_cmp_gt_i32_e32 vcc, s24, v130
	v_pk_mov_b32 v[78:79], v[80:81], v[80:81] op_sel:[0,1]
	s_and_saveexec_b64 s[4:5], vcc
	s_cbranch_execz .LBB181_105
; %bb.104:                              ;   in Loop: Header=BB181_97 Depth=1
	flat_load_dwordx2 v[78:79], v[0:1]
.LBB181_105:                            ;   in Loop: Header=BB181_97 Depth=1
	s_or_b64 exec, exec, s[4:5]
	v_cmp_gt_i32_e32 vcc, s24, v142
	s_and_saveexec_b64 s[4:5], vcc
	s_cbranch_execz .LBB181_107
; %bb.106:                              ;   in Loop: Header=BB181_97 Depth=1
	v_add_co_u32_e32 v2, vcc, v36, v133
	v_addc_co_u32_e32 v3, vcc, v31, v134, vcc
	flat_load_dwordx2 v[80:81], v[2:3]
.LBB181_107:                            ;   in Loop: Header=BB181_97 Depth=1
	s_or_b64 exec, exec, s[4:5]
	v_cmp_gt_i32_e32 vcc, s24, v143
	v_pk_mov_b32 v[82:83], 0, 0
	s_and_saveexec_b64 s[4:5], vcc
	s_cbranch_execz .LBB181_109
; %bb.108:                              ;   in Loop: Header=BB181_97 Depth=1
	v_add_co_u32_e32 v2, vcc, v40, v133
	v_addc_co_u32_e32 v3, vcc, v37, v134, vcc
	flat_load_dwordx2 v[82:83], v[2:3]
.LBB181_109:                            ;   in Loop: Header=BB181_97 Depth=1
	s_or_b64 exec, exec, s[4:5]
	v_cmp_gt_i32_e64 s[4:5], s24, v144
	s_mov_b64 s[20:21], 0
	s_branch .LBB181_112
.LBB181_110:                            ;   in Loop: Header=BB181_97 Depth=1
	s_mov_b64 s[4:5], 0
                                        ; implicit-def: $sgpr20_sgpr21
                                        ; implicit-def: $vgpr82_vgpr83
                                        ; implicit-def: $vgpr80_vgpr81
                                        ; implicit-def: $vgpr78_vgpr79
	s_cbranch_execz .LBB181_112
; %bb.111:                              ;   in Loop: Header=BB181_97 Depth=1
	s_waitcnt vmcnt(0) lgkmcnt(0)
	flat_load_dwordx2 v[78:79], v[0:1]
	v_add_co_u32_e32 v0, vcc, v36, v133
	v_addc_co_u32_e32 v1, vcc, v31, v134, vcc
	flat_load_dwordx2 v[80:81], v[0:1]
	v_add_co_u32_e32 v0, vcc, v34, v133
	v_addc_co_u32_e32 v1, vcc, v29, v134, vcc
	flat_load_dwordx2 v[82:83], v[0:1]
	s_or_b64 s[4:5], s[4:5], exec
                                        ; implicit-def: $sgpr20_sgpr21
.LBB181_112:                            ;   in Loop: Header=BB181_97 Depth=1
	v_pk_mov_b32 v[84:85], s[20:21], s[20:21] op_sel:[0,1]
	s_and_saveexec_b64 s[20:21], s[4:5]
	s_cbranch_execz .LBB181_114
; %bb.113:                              ;   in Loop: Header=BB181_97 Depth=1
	v_add_co_u32_e32 v0, vcc, v42, v133
	v_addc_co_u32_e32 v1, vcc, v39, v134, vcc
	flat_load_dwordx2 v[84:85], v[0:1]
.LBB181_114:                            ;   in Loop: Header=BB181_97 Depth=1
	s_or_b64 exec, exec, s[20:21]
	ds_read_b64 v[0:1], v141
	ds_read_b64 v[86:87], v138
	v_cndmask_b32_e64 v8, 0, 1, s[8:9]
	v_cmp_ne_u32_e64 s[4:5], 1, v8
	s_andn2_b64 vcc, exec, s[8:9]
	s_waitcnt vmcnt(0) lgkmcnt(0)
	v_mul_f32_e32 v2, v1, v79
	v_mul_f32_e32 v3, v1, v78
	v_fma_f32 v2, v0, v78, -v2
	v_fmac_f32_e32 v3, v0, v79
	v_mul_f32_e32 v4, v1, v81
	ds_write_b64 v145, v[2:3]
	v_mul_f32_e32 v3, v1, v80
	v_fma_f32 v2, v0, v80, -v4
	v_fmac_f32_e32 v3, v0, v81
	ds_read_b64 v[88:89], v138 offset:8
	ds_write_b64 v145, v[2:3] offset:536
	v_mul_f32_e32 v2, v1, v83
	v_mul_f32_e32 v3, v1, v82
	v_fma_f32 v2, v0, v82, -v2
	v_fmac_f32_e32 v3, v0, v83
	ds_read_b64 v[90:91], v138 offset:16
	ds_write_b64 v145, v[2:3] offset:1072
	v_mul_f32_e32 v2, v1, v85
	v_mul_f32_e32 v3, v0, v85
	v_fma_f32 v2, v0, v84, -v2
	v_fmac_f32_e32 v3, v1, v84
	ds_read_b64 v[92:93], v138 offset:24
	ds_write_b64 v145, v[2:3] offset:1608
	s_waitcnt lgkmcnt(0)
	s_barrier
	ds_read2_b64 v[4:7], v137 offset1:1
	ds_read2_b64 v[0:3], v137 offset0:2 offset1:3
	v_add_co_u32_e64 v8, s[8:9], v48, v133
	v_addc_co_u32_e64 v9, s[8:9], v45, v134, s[8:9]
	s_waitcnt lgkmcnt(0)
	s_barrier
	s_cbranch_vccnz .LBB181_122
; %bb.115:                              ;   in Loop: Header=BB181_97 Depth=1
	v_pk_mov_b32 v[96:97], 0, 0
	v_cmp_gt_i32_e32 vcc, s24, v146
	v_pk_mov_b32 v[94:95], v[96:97], v[96:97] op_sel:[0,1]
	s_and_saveexec_b64 s[8:9], vcc
	s_cbranch_execz .LBB181_117
; %bb.116:                              ;   in Loop: Header=BB181_97 Depth=1
	flat_load_dwordx2 v[94:95], v[8:9]
.LBB181_117:                            ;   in Loop: Header=BB181_97 Depth=1
	s_or_b64 exec, exec, s[8:9]
	v_cmp_gt_i32_e32 vcc, s24, v147
	s_and_saveexec_b64 s[8:9], vcc
	s_cbranch_execz .LBB181_119
; %bb.118:                              ;   in Loop: Header=BB181_97 Depth=1
	v_add_co_u32_e32 v10, vcc, v46, v133
	v_addc_co_u32_e32 v11, vcc, v43, v134, vcc
	flat_load_dwordx2 v[96:97], v[10:11]
.LBB181_119:                            ;   in Loop: Header=BB181_97 Depth=1
	s_or_b64 exec, exec, s[8:9]
	v_cmp_gt_i32_e32 vcc, s24, v148
	v_pk_mov_b32 v[98:99], 0, 0
	s_and_saveexec_b64 s[8:9], vcc
	s_cbranch_execz .LBB181_121
; %bb.120:                              ;   in Loop: Header=BB181_97 Depth=1
	v_add_co_u32_e32 v10, vcc, v50, v133
	v_addc_co_u32_e32 v11, vcc, v47, v134, vcc
	flat_load_dwordx2 v[98:99], v[10:11]
.LBB181_121:                            ;   in Loop: Header=BB181_97 Depth=1
	s_or_b64 exec, exec, s[8:9]
	v_cmp_gt_i32_e64 s[8:9], s24, v149
	s_mov_b64 s[20:21], 0
	s_branch .LBB181_124
.LBB181_122:                            ;   in Loop: Header=BB181_97 Depth=1
	s_mov_b64 s[8:9], 0
                                        ; implicit-def: $sgpr20_sgpr21
                                        ; implicit-def: $vgpr98_vgpr99
                                        ; implicit-def: $vgpr96_vgpr97
                                        ; implicit-def: $vgpr94_vgpr95
	s_cbranch_execz .LBB181_124
; %bb.123:                              ;   in Loop: Header=BB181_97 Depth=1
	s_waitcnt vmcnt(0) lgkmcnt(0)
	flat_load_dwordx2 v[94:95], v[8:9]
	v_add_co_u32_e32 v8, vcc, v46, v133
	v_addc_co_u32_e32 v9, vcc, v43, v134, vcc
	flat_load_dwordx2 v[96:97], v[8:9]
	v_add_co_u32_e32 v8, vcc, v44, v133
	v_addc_co_u32_e32 v9, vcc, v41, v134, vcc
	flat_load_dwordx2 v[98:99], v[8:9]
	s_or_b64 s[8:9], s[8:9], exec
                                        ; implicit-def: $sgpr20_sgpr21
.LBB181_124:                            ;   in Loop: Header=BB181_97 Depth=1
	v_pk_mov_b32 v[100:101], s[20:21], s[20:21] op_sel:[0,1]
	s_and_saveexec_b64 s[20:21], s[8:9]
	s_cbranch_execz .LBB181_126
; %bb.125:                              ;   in Loop: Header=BB181_97 Depth=1
	v_add_co_u32_e32 v8, vcc, v52, v133
	v_addc_co_u32_e32 v9, vcc, v49, v134, vcc
	flat_load_dwordx2 v[100:101], v[8:9]
.LBB181_126:                            ;   in Loop: Header=BB181_97 Depth=1
	s_or_b64 exec, exec, s[20:21]
	ds_read_b64 v[8:9], v141
	ds_read_b64 v[102:103], v138 offset:128
	s_and_b64 vcc, exec, s[4:5]
	s_waitcnt vmcnt(0) lgkmcnt(0)
	v_mul_f32_e32 v10, v9, v95
	v_mul_f32_e32 v11, v9, v94
	v_fma_f32 v10, v8, v94, -v10
	v_fmac_f32_e32 v11, v8, v95
	v_mul_f32_e32 v12, v9, v97
	ds_write_b64 v145, v[10:11]
	v_mul_f32_e32 v11, v9, v96
	v_fma_f32 v10, v8, v96, -v12
	v_fmac_f32_e32 v11, v8, v97
	ds_read_b64 v[104:105], v138 offset:136
	ds_write_b64 v145, v[10:11] offset:536
	v_mul_f32_e32 v10, v9, v99
	v_mul_f32_e32 v11, v9, v98
	v_fma_f32 v10, v8, v98, -v10
	v_fmac_f32_e32 v11, v8, v99
	ds_read_b64 v[106:107], v138 offset:144
	ds_write_b64 v145, v[10:11] offset:1072
	v_mul_f32_e32 v10, v9, v101
	v_mul_f32_e32 v11, v8, v101
	v_fma_f32 v10, v8, v100, -v10
	v_fmac_f32_e32 v11, v9, v100
	ds_read_b64 v[108:109], v138 offset:152
	ds_write_b64 v145, v[10:11] offset:1608
	s_waitcnt lgkmcnt(0)
	s_barrier
	ds_read2_b64 v[16:19], v137 offset1:1
	ds_read2_b64 v[12:15], v137 offset0:2 offset1:3
	v_add_co_u32_e64 v8, s[8:9], v60, v133
	v_addc_co_u32_e64 v9, s[8:9], v57, v134, s[8:9]
	s_waitcnt lgkmcnt(0)
	s_barrier
	s_cbranch_vccnz .LBB181_134
; %bb.127:                              ;   in Loop: Header=BB181_97 Depth=1
	v_pk_mov_b32 v[112:113], 0, 0
	v_cmp_gt_i32_e32 vcc, s24, v150
	v_pk_mov_b32 v[110:111], v[112:113], v[112:113] op_sel:[0,1]
	s_and_saveexec_b64 s[8:9], vcc
	s_cbranch_execz .LBB181_129
; %bb.128:                              ;   in Loop: Header=BB181_97 Depth=1
	flat_load_dwordx2 v[110:111], v[8:9]
.LBB181_129:                            ;   in Loop: Header=BB181_97 Depth=1
	s_or_b64 exec, exec, s[8:9]
	v_cmp_gt_i32_e32 vcc, s24, v151
	s_and_saveexec_b64 s[8:9], vcc
	s_cbranch_execz .LBB181_131
; %bb.130:                              ;   in Loop: Header=BB181_97 Depth=1
	v_add_co_u32_e32 v10, vcc, v58, v133
	v_addc_co_u32_e32 v11, vcc, v55, v134, vcc
	flat_load_dwordx2 v[112:113], v[10:11]
.LBB181_131:                            ;   in Loop: Header=BB181_97 Depth=1
	s_or_b64 exec, exec, s[8:9]
	v_cmp_gt_i32_e32 vcc, s24, v152
	v_pk_mov_b32 v[114:115], 0, 0
	s_and_saveexec_b64 s[8:9], vcc
	s_cbranch_execz .LBB181_133
; %bb.132:                              ;   in Loop: Header=BB181_97 Depth=1
	v_add_co_u32_e32 v10, vcc, v62, v133
	v_addc_co_u32_e32 v11, vcc, v59, v134, vcc
	flat_load_dwordx2 v[114:115], v[10:11]
.LBB181_133:                            ;   in Loop: Header=BB181_97 Depth=1
	s_or_b64 exec, exec, s[8:9]
	v_cmp_gt_i32_e64 s[8:9], s24, v153
	s_mov_b64 s[20:21], 0
	s_branch .LBB181_136
.LBB181_134:                            ;   in Loop: Header=BB181_97 Depth=1
	s_mov_b64 s[8:9], 0
                                        ; implicit-def: $sgpr20_sgpr21
                                        ; implicit-def: $vgpr114_vgpr115
                                        ; implicit-def: $vgpr112_vgpr113
                                        ; implicit-def: $vgpr110_vgpr111
	s_cbranch_execz .LBB181_136
; %bb.135:                              ;   in Loop: Header=BB181_97 Depth=1
	s_waitcnt vmcnt(0) lgkmcnt(0)
	flat_load_dwordx2 v[110:111], v[8:9]
	v_add_co_u32_e32 v8, vcc, v58, v133
	v_addc_co_u32_e32 v9, vcc, v55, v134, vcc
	flat_load_dwordx2 v[112:113], v[8:9]
	v_add_co_u32_e32 v8, vcc, v54, v133
	v_addc_co_u32_e32 v9, vcc, v51, v134, vcc
	flat_load_dwordx2 v[114:115], v[8:9]
	s_or_b64 s[8:9], s[8:9], exec
                                        ; implicit-def: $sgpr20_sgpr21
.LBB181_136:                            ;   in Loop: Header=BB181_97 Depth=1
	v_pk_mov_b32 v[116:117], s[20:21], s[20:21] op_sel:[0,1]
	s_and_saveexec_b64 s[20:21], s[8:9]
	s_cbranch_execz .LBB181_138
; %bb.137:                              ;   in Loop: Header=BB181_97 Depth=1
	v_add_co_u32_e32 v8, vcc, v64, v133
	v_addc_co_u32_e32 v9, vcc, v61, v134, vcc
	flat_load_dwordx2 v[116:117], v[8:9]
.LBB181_138:                            ;   in Loop: Header=BB181_97 Depth=1
	s_or_b64 exec, exec, s[20:21]
	ds_read_b64 v[8:9], v141
	ds_read_b64 v[118:119], v138 offset:256
	s_and_b64 vcc, exec, s[4:5]
	v_add_co_u32_e64 v128, s[4:5], v56, v133
	s_waitcnt vmcnt(0) lgkmcnt(0)
	v_mul_f32_e32 v10, v9, v111
	v_mul_f32_e32 v11, v9, v110
	;; [unrolled: 1-line block ×4, first 2 shown]
	v_fma_f32 v10, v8, v110, -v10
	v_fmac_f32_e32 v11, v8, v111
	v_fma_f32 v20, v8, v112, -v20
	v_fmac_f32_e32 v21, v8, v113
	ds_write2_b64 v145, v[10:11], v[20:21] offset1:67
	v_mul_f32_e32 v10, v9, v115
	v_mul_f32_e32 v11, v9, v114
	;; [unrolled: 1-line block ×4, first 2 shown]
	v_fma_f32 v10, v8, v114, -v10
	v_fmac_f32_e32 v11, v8, v115
	v_fma_f32 v20, v8, v116, -v20
	v_fmac_f32_e32 v21, v9, v116
	ds_write2_b64 v145, v[10:11], v[20:21] offset0:134 offset1:201
	ds_read2_b64 v[8:11], v138 offset0:33 offset1:34
	ds_read_b64 v[120:121], v138 offset:280
	s_waitcnt lgkmcnt(0)
	s_barrier
	ds_read2_b64 v[24:27], v137 offset1:1
	ds_read2_b64 v[20:23], v137 offset0:2 offset1:3
	v_addc_co_u32_e64 v129, s[4:5], v53, v134, s[4:5]
	s_waitcnt lgkmcnt(0)
	s_barrier
	s_cbranch_vccnz .LBB181_146
; %bb.139:                              ;   in Loop: Header=BB181_97 Depth=1
	v_pk_mov_b32 v[124:125], 0, 0
	v_cmp_gt_i32_e32 vcc, s24, v154
	v_pk_mov_b32 v[122:123], v[124:125], v[124:125] op_sel:[0,1]
	s_and_saveexec_b64 s[4:5], vcc
	s_cbranch_execz .LBB181_141
; %bb.140:                              ;   in Loop: Header=BB181_97 Depth=1
	flat_load_dwordx2 v[122:123], v[128:129]
.LBB181_141:                            ;   in Loop: Header=BB181_97 Depth=1
	s_or_b64 exec, exec, s[4:5]
	v_cmp_gt_i32_e32 vcc, s24, v155
	s_and_saveexec_b64 s[4:5], vcc
	s_cbranch_execz .LBB181_143
; %bb.142:                              ;   in Loop: Header=BB181_97 Depth=1
	v_add_co_u32_e32 v124, vcc, v68, v133
	v_addc_co_u32_e32 v125, vcc, v65, v134, vcc
	flat_load_dwordx2 v[124:125], v[124:125]
.LBB181_143:                            ;   in Loop: Header=BB181_97 Depth=1
	s_or_b64 exec, exec, s[4:5]
	v_cmp_gt_i32_e32 vcc, s24, v156
	v_pk_mov_b32 v[126:127], 0, 0
	s_and_saveexec_b64 s[4:5], vcc
	s_cbranch_execz .LBB181_145
; %bb.144:                              ;   in Loop: Header=BB181_97 Depth=1
	v_add_co_u32_e32 v126, vcc, v70, v133
	v_addc_co_u32_e32 v127, vcc, v67, v134, vcc
	flat_load_dwordx2 v[126:127], v[126:127]
.LBB181_145:                            ;   in Loop: Header=BB181_97 Depth=1
	s_or_b64 exec, exec, s[4:5]
	v_cmp_gt_i32_e64 s[4:5], s24, v157
	s_mov_b64 s[8:9], 0
	s_branch .LBB181_148
.LBB181_146:                            ;   in Loop: Header=BB181_97 Depth=1
	s_mov_b64 s[4:5], 0
                                        ; implicit-def: $sgpr8_sgpr9
                                        ; implicit-def: $vgpr126_vgpr127
                                        ; implicit-def: $vgpr124_vgpr125
                                        ; implicit-def: $vgpr122_vgpr123
	s_cbranch_execz .LBB181_148
; %bb.147:                              ;   in Loop: Header=BB181_97 Depth=1
	s_waitcnt vmcnt(0) lgkmcnt(0)
	v_add_co_u32_e32 v124, vcc, v68, v133
	v_addc_co_u32_e32 v125, vcc, v65, v134, vcc
	v_add_co_u32_e32 v126, vcc, v66, v133
	v_addc_co_u32_e32 v127, vcc, v63, v134, vcc
	flat_load_dwordx2 v[122:123], v[128:129]
	s_or_b64 s[4:5], s[4:5], exec
	flat_load_dwordx2 v[124:125], v[124:125]
                                        ; implicit-def: $sgpr8_sgpr9
	s_nop 0
	flat_load_dwordx2 v[126:127], v[126:127]
.LBB181_148:                            ;   in Loop: Header=BB181_97 Depth=1
	v_pk_mov_b32 v[128:129], s[8:9], s[8:9] op_sel:[0,1]
	s_and_saveexec_b64 s[8:9], s[4:5]
	s_cbranch_execz .LBB181_150
; %bb.149:                              ;   in Loop: Header=BB181_97 Depth=1
	v_add_co_u32_e32 v128, vcc, v72, v133
	v_addc_co_u32_e32 v129, vcc, v69, v134, vcc
	flat_load_dwordx2 v[128:129], v[128:129]
.LBB181_150:                            ;   in Loop: Header=BB181_97 Depth=1
	s_or_b64 exec, exec, s[8:9]
	v_pk_add_f32 v[24:25], v[24:25], 0 op_sel_hi:[1,0]
	v_pk_add_f32 v[24:25], v[24:25], v[26:27]
	v_pk_add_f32 v[20:21], v[24:25], v[20:21]
	;; [unrolled: 1-line block ×3, first 2 shown]
	ds_read_b64 v[20:21], v141
	v_pk_add_f32 v[16:17], v[16:17], 0 op_sel_hi:[1,0]
	v_pk_add_f32 v[16:17], v[16:17], v[18:19]
	v_pk_add_f32 v[12:13], v[16:17], v[12:13]
	;; [unrolled: 1-line block ×3, first 2 shown]
	s_waitcnt vmcnt(0) lgkmcnt(0)
	v_mul_f32_e32 v12, v21, v123
	v_mul_f32_e32 v13, v21, v122
	;; [unrolled: 1-line block ×4, first 2 shown]
	v_fma_f32 v12, v20, v122, -v12
	v_fmac_f32_e32 v13, v20, v123
	v_fma_f32 v14, v20, v124, -v14
	v_fmac_f32_e32 v15, v20, v125
	ds_write2_b64 v145, v[12:13], v[14:15] offset1:67
	v_mul_f32_e32 v12, v21, v127
	v_mul_f32_e32 v13, v21, v126
	;; [unrolled: 1-line block ×4, first 2 shown]
	v_fma_f32 v12, v20, v126, -v12
	v_fmac_f32_e32 v13, v20, v127
	v_fma_f32 v14, v20, v128, -v14
	v_fmac_f32_e32 v15, v21, v128
	ds_write2_b64 v145, v[12:13], v[14:15] offset0:134 offset1:201
	ds_read_b128 v[16:19], v138 offset:384
	ds_read_b128 v[12:15], v138 offset:400
	s_waitcnt lgkmcnt(0)
	s_barrier
	ds_read2_b64 v[20:23], v137 offset1:1
	v_pk_add_f32 v[4:5], v[4:5], 0 op_sel_hi:[1,0]
	v_pk_add_f32 v[158:159], v[4:5], v[6:7]
	ds_read2_b64 v[4:7], v137 offset0:2 offset1:3
	v_pk_add_f32 v[0:1], v[158:159], v[0:1]
	v_pk_add_f32 v[0:1], v[0:1], v[2:3]
	s_waitcnt lgkmcnt(1)
	v_pk_add_f32 v[2:3], v[20:21], 0 op_sel_hi:[1,0]
	v_cmp_gt_i32_e32 vcc, s24, v30
	v_pk_add_f32 v[2:3], v[2:3], v[22:23]
	s_or_b64 s[4:5], s[14:15], vcc
	s_waitcnt lgkmcnt(0)
	v_pk_add_f32 v[2:3], v[2:3], v[4:5]
	s_and_b64 s[8:9], s[2:3], s[4:5]
	v_pk_add_f32 v[2:3], v[2:3], v[6:7]
	s_barrier
	ds_write2_b64 v139, v[0:1], v[26:27] offset1:16
	ds_write2_b64 v139, v[24:25], v[2:3] offset0:32 offset1:48
	s_waitcnt lgkmcnt(0)
	s_barrier
	s_and_saveexec_b64 s[4:5], s[8:9]
	s_cbranch_execz .LBB181_96
; %bb.151:                              ;   in Loop: Header=BB181_97 Depth=1
	ds_read_b64 v[20:21], v135
	ds_read2_b64 v[0:3], v135 offset0:1 offset1:2
	ds_read2_b64 v[4:7], v135 offset0:3 offset1:4
	v_ashrrev_i32_e32 v75, 31, v74
	v_lshlrev_b64 v[22:23], 3, v[74:75]
	v_mov_b32_e32 v25, s26
	s_waitcnt lgkmcnt(1)
	v_add_f32_e32 v0, v0, v20
	v_add_f32_e32 v1, v1, v21
	v_add_f32_e32 v20, v0, v2
	v_add_f32_e32 v21, v1, v3
	ds_read2_b64 v[0:3], v135 offset0:5 offset1:6
	s_waitcnt lgkmcnt(1)
	v_add_f32_e32 v4, v20, v4
	v_add_f32_e32 v5, v21, v5
	;; [unrolled: 1-line block ×4, first 2 shown]
	ds_read2_b64 v[4:7], v135 offset0:7 offset1:8
	v_add_co_u32_e32 v24, vcc, s17, v22
	v_addc_co_u32_e32 v25, vcc, v25, v23, vcc
	s_waitcnt lgkmcnt(1)
	v_pk_add_f32 v[0:1], v[20:21], v[0:1]
	ds_read2_b64 v[20:23], v135 offset0:9 offset1:10
	v_pk_add_f32 v[0:1], v[0:1], v[2:3]
	s_waitcnt lgkmcnt(1)
	v_pk_add_f32 v[0:1], v[0:1], v[4:5]
	v_pk_add_f32 v[4:5], v[0:1], v[6:7]
	ds_read2_b64 v[0:3], v135 offset0:11 offset1:12
	s_waitcnt lgkmcnt(1)
	v_pk_add_f32 v[20:21], v[4:5], v[20:21]
	ds_read2_b64 v[4:7], v135 offset0:13 offset1:14
	v_pk_add_f32 v[20:21], v[20:21], v[22:23]
	ds_read_b64 v[22:23], v136
	s_waitcnt lgkmcnt(2)
	v_pk_add_f32 v[0:1], v[20:21], v[0:1]
	v_pk_add_f32 v[0:1], v[0:1], v[2:3]
	s_waitcnt lgkmcnt(1)
	v_pk_add_f32 v[0:1], v[0:1], v[4:5]
	v_pk_add_f32 v[0:1], v[0:1], v[6:7]
	s_waitcnt lgkmcnt(0)
	v_pk_add_f32 v[0:1], v[0:1], v[22:23]
	global_store_dwordx2 v[24:25], v[0:1], off
	s_branch .LBB181_96
.LBB181_152:
	s_movk_i32 s2, 0x218
	v_cmp_gt_i32_e32 vcc, s16, v30
	v_mad_u32_u24 v0, v71, s2, v73
	s_or_b64 s[2:3], s[18:19], vcc
	s_and_b64 s[0:1], s[0:1], s[2:3]
	ds_write_b64 v0, v[32:33]
	s_waitcnt lgkmcnt(0)
	s_barrier
	s_and_saveexec_b64 s[2:3], s[0:1]
	s_cbranch_execz .LBB181_154
; %bb.153:
	ds_read2_b64 v[0:3], v73 offset1:67
	ds_read2_b64 v[4:7], v73 offset0:134 offset1:201
	v_ashrrev_i32_e32 v29, 31, v28
	v_lshlrev_b64 v[8:9], 3, v[28:29]
	v_mov_b32_e32 v10, s26
	s_waitcnt lgkmcnt(1)
	v_pk_add_f32 v[0:1], v[2:3], v[0:1]
	v_add_co_u32_e32 v8, vcc, s17, v8
	s_waitcnt lgkmcnt(0)
	v_pk_add_f32 v[0:1], v[0:1], v[4:5]
	v_addc_co_u32_e32 v9, vcc, v10, v9, vcc
	v_pk_add_f32 v[0:1], v[0:1], v[6:7]
	global_store_dwordx2 v[8:9], v[0:1], off
.LBB181_154:
	s_endpgm
	.section	.rodata,"a",@progbits
	.p2align	6, 0x0
	.amdhsa_kernel _ZL26rocblas_hemvn_kernel_upperILb0ELi64ELi4ELi33ELi32ELi16EiPK19rocblas_complex_numIfEPKS3_PS1_EviT6_lT7_lT5_lS8_lS9_lS7_lT8_i
		.amdhsa_group_segment_fixed_size 9600
		.amdhsa_private_segment_fixed_size 0
		.amdhsa_kernarg_size 376
		.amdhsa_user_sgpr_count 6
		.amdhsa_user_sgpr_private_segment_buffer 1
		.amdhsa_user_sgpr_dispatch_ptr 0
		.amdhsa_user_sgpr_queue_ptr 0
		.amdhsa_user_sgpr_kernarg_segment_ptr 1
		.amdhsa_user_sgpr_dispatch_id 0
		.amdhsa_user_sgpr_flat_scratch_init 0
		.amdhsa_user_sgpr_kernarg_preload_length 0
		.amdhsa_user_sgpr_kernarg_preload_offset 0
		.amdhsa_user_sgpr_private_segment_size 0
		.amdhsa_uses_dynamic_stack 0
		.amdhsa_system_sgpr_private_segment_wavefront_offset 0
		.amdhsa_system_sgpr_workgroup_id_x 1
		.amdhsa_system_sgpr_workgroup_id_y 0
		.amdhsa_system_sgpr_workgroup_id_z 1
		.amdhsa_system_sgpr_workgroup_info 0
		.amdhsa_system_vgpr_workitem_id 1
		.amdhsa_next_free_vgpr 160
		.amdhsa_next_free_sgpr 44
		.amdhsa_accum_offset 160
		.amdhsa_reserve_vcc 1
		.amdhsa_reserve_flat_scratch 0
		.amdhsa_float_round_mode_32 0
		.amdhsa_float_round_mode_16_64 0
		.amdhsa_float_denorm_mode_32 3
		.amdhsa_float_denorm_mode_16_64 3
		.amdhsa_dx10_clamp 1
		.amdhsa_ieee_mode 1
		.amdhsa_fp16_overflow 0
		.amdhsa_tg_split 0
		.amdhsa_exception_fp_ieee_invalid_op 0
		.amdhsa_exception_fp_denorm_src 0
		.amdhsa_exception_fp_ieee_div_zero 0
		.amdhsa_exception_fp_ieee_overflow 0
		.amdhsa_exception_fp_ieee_underflow 0
		.amdhsa_exception_fp_ieee_inexact 0
		.amdhsa_exception_int_div_zero 0
	.end_amdhsa_kernel
	.section	.text._ZL26rocblas_hemvn_kernel_upperILb0ELi64ELi4ELi33ELi32ELi16EiPK19rocblas_complex_numIfEPKS3_PS1_EviT6_lT7_lT5_lS8_lS9_lS7_lT8_i,"axG",@progbits,_ZL26rocblas_hemvn_kernel_upperILb0ELi64ELi4ELi33ELi32ELi16EiPK19rocblas_complex_numIfEPKS3_PS1_EviT6_lT7_lT5_lS8_lS9_lS7_lT8_i,comdat
.Lfunc_end181:
	.size	_ZL26rocblas_hemvn_kernel_upperILb0ELi64ELi4ELi33ELi32ELi16EiPK19rocblas_complex_numIfEPKS3_PS1_EviT6_lT7_lT5_lS8_lS9_lS7_lT8_i, .Lfunc_end181-_ZL26rocblas_hemvn_kernel_upperILb0ELi64ELi4ELi33ELi32ELi16EiPK19rocblas_complex_numIfEPKS3_PS1_EviT6_lT7_lT5_lS8_lS9_lS7_lT8_i
                                        ; -- End function
	.section	.AMDGPU.csdata,"",@progbits
; Kernel info:
; codeLenInByte = 8720
; NumSgprs: 48
; NumVgprs: 160
; NumAgprs: 0
; TotalNumVgprs: 160
; ScratchSize: 0
; MemoryBound: 1
; FloatMode: 240
; IeeeMode: 1
; LDSByteSize: 9600 bytes/workgroup (compile time only)
; SGPRBlocks: 5
; VGPRBlocks: 19
; NumSGPRsForWavesPerEU: 48
; NumVGPRsForWavesPerEU: 160
; AccumOffset: 160
; Occupancy: 3
; WaveLimiterHint : 1
; COMPUTE_PGM_RSRC2:SCRATCH_EN: 0
; COMPUTE_PGM_RSRC2:USER_SGPR: 6
; COMPUTE_PGM_RSRC2:TRAP_HANDLER: 0
; COMPUTE_PGM_RSRC2:TGID_X_EN: 1
; COMPUTE_PGM_RSRC2:TGID_Y_EN: 0
; COMPUTE_PGM_RSRC2:TGID_Z_EN: 1
; COMPUTE_PGM_RSRC2:TIDIG_COMP_CNT: 1
; COMPUTE_PGM_RSRC3_GFX90A:ACCUM_OFFSET: 39
; COMPUTE_PGM_RSRC3_GFX90A:TG_SPLIT: 0
	.section	.text._ZL26rocblas_hemvn_kernel_upperILb0ELi64ELi4ELi33ELi32ELi16El19rocblas_complex_numIfEPKPKS1_PS1_EviT6_lT7_lT5_lS8_lS9_lS7_lT8_i,"axG",@progbits,_ZL26rocblas_hemvn_kernel_upperILb0ELi64ELi4ELi33ELi32ELi16El19rocblas_complex_numIfEPKPKS1_PS1_EviT6_lT7_lT5_lS8_lS9_lS7_lT8_i,comdat
	.globl	_ZL26rocblas_hemvn_kernel_upperILb0ELi64ELi4ELi33ELi32ELi16El19rocblas_complex_numIfEPKPKS1_PS1_EviT6_lT7_lT5_lS8_lS9_lS7_lT8_i ; -- Begin function _ZL26rocblas_hemvn_kernel_upperILb0ELi64ELi4ELi33ELi32ELi16El19rocblas_complex_numIfEPKPKS1_PS1_EviT6_lT7_lT5_lS8_lS9_lS7_lT8_i
	.p2align	8
	.type	_ZL26rocblas_hemvn_kernel_upperILb0ELi64ELi4ELi33ELi32ELi16El19rocblas_complex_numIfEPKPKS1_PS1_EviT6_lT7_lT5_lS8_lS9_lS7_lT8_i,@function
_ZL26rocblas_hemvn_kernel_upperILb0ELi64ELi4ELi33ELi32ELi16El19rocblas_complex_numIfEPKPKS1_PS1_EviT6_lT7_lT5_lS8_lS9_lS7_lT8_i: ; @_ZL26rocblas_hemvn_kernel_upperILb0ELi64ELi4ELi33ELi32ELi16El19rocblas_complex_numIfEPKPKS1_PS1_EviT6_lT7_lT5_lS8_lS9_lS7_lT8_i
; %bb.0:
	s_load_dwordx2 s[0:1], s[4:5], 0x84
	s_add_u32 s14, s4, 0x78
	s_addc_u32 s15, s5, 0
	s_waitcnt lgkmcnt(0)
	s_lshr_b32 s2, s0, 16
	s_and_b32 s0, s0, 0xffff
	s_and_b32 s1, s1, 0xffff
	s_mul_i32 s0, s2, s0
	s_mul_i32 s0, s0, s1
	s_cmpk_lg_i32 s0, 0x100
	s_cbranch_scc1 .LBB182_154
; %bb.1:
	s_load_dwordx2 s[8:9], s[4:5], 0x4
	s_load_dwordx4 s[0:3], s[4:5], 0x18
	s_load_dwordx2 s[24:25], s[4:5], 0x28
	s_mov_b32 s28, s7
	s_waitcnt lgkmcnt(0)
	s_or_b32 s7, s8, s9
	s_bitset0_b32 s7, 31
	s_cmp_lg_u32 s7, 0
	s_cselect_b64 s[16:17], -1, 0
	s_and_b64 vcc, exec, s[16:17]
	s_cbranch_vccnz .LBB182_4
; %bb.2:
	s_load_dwordx2 s[8:9], s[4:5], 0x58
                                        ; implicit-def: $sgpr12_sgpr13
	s_waitcnt lgkmcnt(0)
	v_cmp_eq_f32_e64 s[10:11], s8, 1.0
	v_cmp_eq_f32_e64 s[8:9], s9, 0
	s_and_b64 s[8:9], s[10:11], s[8:9]
	s_mov_b64 s[10:11], 0
	s_andn2_b64 vcc, exec, s[8:9]
	s_mov_b64 s[8:9], 0
	s_cbranch_vccz .LBB182_5
; %bb.3:
	s_mov_b64 s[8:9], -1
	s_mov_b64 s[12:13], 0
	s_branch .LBB182_5
.LBB182_4:
	s_mov_b64 s[10:11], -1
	s_mov_b64 s[8:9], 0
                                        ; implicit-def: $sgpr12_sgpr13
.LBB182_5:
	s_and_b64 vcc, exec, s[10:11]
	s_cbranch_vccz .LBB182_7
; %bb.6:
	s_mov_b32 s29, 0
	s_lshl_b64 s[8:9], s[28:29], 3
	s_add_u32 s0, s0, s8
	s_addc_u32 s1, s1, s9
	s_load_dwordx2 s[0:1], s[0:1], 0x0
	s_lshl_b64 s[2:3], s[2:3], 3
	s_mov_b64 s[8:9], -1
	s_waitcnt lgkmcnt(0)
	s_add_u32 s12, s0, s2
	s_addc_u32 s13, s1, s3
.LBB182_7:
	s_andn2_b64 vcc, exec, s[8:9]
	s_cbranch_vccnz .LBB182_154
; %bb.8:
	s_load_dwordx4 s[8:11], s[4:5], 0x38
	s_load_dwordx2 s[18:19], s[4:5], 0x48
	v_cndmask_b32_e64 v1, 0, 1, s[16:17]
	v_cmp_ne_u32_e64 s[0:1], 1, v1
	s_andn2_b64 vcc, exec, s[16:17]
	s_mov_b64 s[2:3], 0
	s_cbranch_vccnz .LBB182_10
; %bb.9:
	s_mov_b32 s29, 0
	s_lshl_b64 s[2:3], s[28:29], 3
	s_waitcnt lgkmcnt(0)
	s_add_u32 s2, s8, s2
	s_addc_u32 s3, s9, s3
	s_load_dwordx2 s[2:3], s[2:3], 0x0
	s_lshl_b64 s[8:9], s[10:11], 3
	s_waitcnt lgkmcnt(0)
	s_add_u32 s2, s2, s8
	s_addc_u32 s3, s3, s9
.LBB182_10:
	s_and_b64 vcc, exec, s[0:1]
	s_cbranch_vccnz .LBB182_154
; %bb.11:
	s_load_dword s7, s[14:15], 0x0
	s_load_dword s33, s[4:5], 0x0
	v_and_b32_e32 v65, 0x3ff, v0
	s_lshl_b32 s26, s6, 6
	v_add_u32_e32 v28, s26, v65
	s_waitcnt lgkmcnt(0)
	s_add_i32 s0, s7, -1
	s_ashr_i32 s38, s33, 31
	s_lshr_b32 s1, s38, 26
	s_add_i32 s1, s33, s1
	s_andn2_b32 s1, s1, 63
	s_sub_i32 s29, s33, s1
	v_ashrrev_i32_e32 v29, 31, v28
	v_bfe_u32 v120, v0, 10, 10
	s_cmp_eq_u32 s6, s0
	v_mul_lo_u32 v2, v29, s18
	v_mul_lo_u32 v3, v28, s19
	v_mad_u64_u32 v[0:1], s[0:1], v28, s18, 0
	v_add3_u32 v1, v1, v3, v2
	v_lshlrev_b64 v[0:1], 3, v[0:1]
	v_mov_b32_e32 v2, s3
	v_add_co_u32_e32 v14, vcc, s2, v0
	s_cselect_b32 s20, s29, 0
	v_addc_co_u32_e32 v15, vcc, v2, v1, vcc
	v_cmp_eq_u32_e64 s[0:1], 0, v120
	s_and_saveexec_b64 s[2:3], s[0:1]
	s_cbranch_execz .LBB182_16
; %bb.12:
	s_cmp_lg_u32 s20, 0
	s_cselect_b64 s[8:9], -1, 0
	v_cmp_le_i32_e32 vcc, s20, v65
	v_mov_b32_e32 v0, 0x2380
	s_and_b64 s[8:9], s[8:9], vcc
	v_lshl_add_u32 v0, v65, 3, v0
	s_and_saveexec_b64 s[10:11], s[8:9]
	s_xor_b64 s[8:9], exec, s[10:11]
	s_cbranch_execz .LBB182_14
; %bb.13:
	v_mov_b32_e32 v2, 0
	v_mov_b32_e32 v3, v2
	ds_write_b64 v0, v[2:3]
                                        ; implicit-def: $vgpr0
.LBB182_14:
	s_andn2_saveexec_b64 s[8:9], s[8:9]
	s_cbranch_execz .LBB182_16
; %bb.15:
	flat_load_dwordx2 v[2:3], v[14:15]
	s_waitcnt vmcnt(0) lgkmcnt(0)
	ds_write_b64 v0, v[2:3]
.LBB182_16:
	s_or_b64 exec, exec, s[2:3]
	s_ashr_i32 s27, s26, 31
	v_lshl_add_u32 v22, v120, 6, v65
	s_lshl_b64 s[2:3], s[26:27], 3
	v_and_b32_e32 v0, 31, v65
	v_lshrrev_b32_e32 v10, 5, v22
	s_add_u32 s8, s12, s2
	v_mov_b32_e32 v1, 0
	s_addc_u32 s9, s13, s3
	v_mad_u64_u32 v[2:3], s[2:3], v10, s24, v[0:1]
	v_mov_b32_e32 v4, v3
	v_mad_u64_u32 v[4:5], s[2:3], v10, s25, v[4:5]
	s_mul_i32 s2, s26, s25
	s_mul_hi_u32 s3, s26, s24
	s_add_i32 s2, s3, s2
	s_mul_i32 s3, s27, s24
	s_add_i32 s3, s2, s3
	s_mul_i32 s2, s26, s24
	s_lshl_b64 s[2:3], s[2:3], 3
	s_add_u32 s2, s2, s8
	v_mov_b32_e32 v3, v4
	s_addc_u32 s3, s3, s9
	v_lshlrev_b64 v[12:13], 3, v[2:3]
	s_cmp_eq_u32 s20, 0
	v_mov_b32_e32 v3, s3
	v_add_co_u32_e32 v2, vcc, s2, v12
	s_cselect_b64 s[22:23], -1, 0
	s_cmp_lg_u32 s20, 0
	v_addc_co_u32_e32 v3, vcc, v3, v13, vcc
	s_cselect_b64 s[30:31], -1, 0
	s_and_b64 vcc, exec, s[30:31]
	v_cmp_gt_i32_e64 s[2:3], s20, v0
	v_lshlrev_b32_e32 v11, 3, v0
	s_mul_i32 s39, s25, 0xc0
	s_cbranch_vccz .LBB182_32
; %bb.17:
	v_sub_co_u32_e32 v4, vcc, v2, v11
	s_ashr_i32 s21, s20, 31
	v_subbrev_co_u32_e32 v5, vcc, 0, v3, vcc
	s_lshl_b64 s[8:9], s[20:21], 3
	v_mov_b32_e32 v6, s9
	v_add_co_u32_e32 v4, vcc, s8, v4
	v_addc_co_u32_e32 v5, vcc, v5, v6, vcc
	v_add_co_u32_e32 v4, vcc, -8, v4
	v_addc_co_u32_e32 v5, vcc, -1, v5, vcc
	v_cndmask_b32_e64 v5, v5, v3, s[2:3]
	v_cndmask_b32_e64 v4, v4, v2, s[2:3]
	v_cmp_gt_i32_e32 vcc, s20, v10
	v_mov_b32_e32 v7, 0
	s_and_saveexec_b64 s[10:11], vcc
	s_cbranch_execz .LBB182_19
; %bb.18:
	flat_load_dwordx2 v[6:7], v[4:5]
	s_waitcnt vmcnt(0) lgkmcnt(0)
	v_mov_b32_e32 v1, v6
.LBB182_19:
	s_or_b64 exec, exec, s[10:11]
	v_mul_u32_u24_e32 v6, 33, v10
	v_add_lshl_u32 v8, v6, v0, 3
	v_mov_b32_e32 v6, v1
	v_add_u32_e32 v1, 8, v10
	v_cmp_le_i32_e32 vcc, s20, v1
	ds_write_b64 v8, v[6:7]
	s_and_saveexec_b64 s[10:11], vcc
	s_xor_b64 s[10:11], exec, s[10:11]
	s_cbranch_execz .LBB182_21
; %bb.20:
	v_mul_u32_u24_e32 v1, 33, v1
	v_mov_b32_e32 v6, 0
	v_add_lshl_u32 v1, v1, v0, 3
	v_mov_b32_e32 v7, v6
	ds_write_b64 v1, v[6:7]
.LBB182_21:
	s_andn2_saveexec_b64 s[10:11], s[10:11]
	s_cbranch_execz .LBB182_23
; %bb.22:
	s_lshl_b64 s[12:13], s[24:25], 6
	v_mov_b32_e32 v1, s13
	v_add_co_u32_e32 v6, vcc, s12, v4
	v_addc_co_u32_e32 v7, vcc, v5, v1, vcc
	flat_load_dwordx2 v[6:7], v[6:7]
	s_waitcnt vmcnt(0) lgkmcnt(0)
	ds_write_b64 v8, v[6:7] offset:2112
.LBB182_23:
	s_or_b64 exec, exec, s[10:11]
	v_add_u32_e32 v1, 16, v10
	v_cmp_le_i32_e32 vcc, s20, v1
	s_and_saveexec_b64 s[10:11], vcc
	s_xor_b64 s[10:11], exec, s[10:11]
	s_cbranch_execz .LBB182_25
; %bb.24:
	v_mov_b32_e32 v6, 0
	v_mov_b32_e32 v7, v6
	ds_write_b64 v8, v[6:7] offset:4224
.LBB182_25:
	s_andn2_saveexec_b64 s[10:11], s[10:11]
	s_cbranch_execz .LBB182_27
; %bb.26:
	s_lshl_b64 s[12:13], s[24:25], 7
	v_mov_b32_e32 v1, s13
	v_add_co_u32_e32 v6, vcc, s12, v4
	v_addc_co_u32_e32 v7, vcc, v5, v1, vcc
	flat_load_dwordx2 v[6:7], v[6:7]
	s_waitcnt vmcnt(0) lgkmcnt(0)
	ds_write_b64 v8, v[6:7] offset:4224
.LBB182_27:
	s_or_b64 exec, exec, s[10:11]
	v_add_u32_e32 v1, 24, v10
	v_cmp_le_i32_e32 vcc, s20, v1
	s_and_saveexec_b64 s[10:11], vcc
	s_xor_b64 s[10:11], exec, s[10:11]
	s_cbranch_execz .LBB182_29
; %bb.28:
	v_mov_b32_e32 v6, 0
	v_mov_b32_e32 v7, v6
	ds_write_b64 v8, v[6:7] offset:6336
                                        ; implicit-def: $vgpr8
.LBB182_29:
	s_andn2_saveexec_b64 s[10:11], s[10:11]
	s_cbranch_execz .LBB182_31
; %bb.30:
	v_mov_b32_e32 v1, 0xc0
	v_mad_u64_u32 v[6:7], s[12:13], s24, v1, v[4:5]
	v_add_u32_e32 v7, s39, v7
	flat_load_dwordx2 v[6:7], v[6:7]
	s_waitcnt vmcnt(0) lgkmcnt(0)
	ds_write_b64 v8, v[6:7] offset:6336
.LBB182_31:
	s_or_b64 exec, exec, s[10:11]
	v_add_co_u32_e32 v1, vcc, v4, v11
	v_addc_co_u32_e32 v4, vcc, 0, v5, vcc
	v_mov_b32_e32 v5, s9
	v_subrev_co_u32_e32 v1, vcc, s8, v1
	v_subb_co_u32_e32 v4, vcc, v4, v5, vcc
	v_add_co_u32_e32 v1, vcc, 8, v1
	v_addc_co_u32_e32 v4, vcc, 0, v4, vcc
	v_cndmask_b32_e64 v5, v4, v3, s[2:3]
	v_cndmask_b32_e64 v4, v1, v2, s[2:3]
	v_mul_u32_u24_e32 v18, 33, v10
	s_branch .LBB182_34
.LBB182_32:
                                        ; implicit-def: $vgpr4_vgpr5
	v_mul_u32_u24_e32 v18, 33, v10
	s_cbranch_execz .LBB182_34
; %bb.33:
	flat_load_dwordx2 v[4:5], v[2:3]
	s_lshl_b64 s[2:3], s[24:25], 6
	v_add_lshl_u32 v1, v18, v0, 3
	v_mov_b32_e32 v8, s3
	v_add_co_u32_e32 v6, vcc, s2, v2
	v_addc_co_u32_e32 v7, vcc, v3, v8, vcc
	s_waitcnt vmcnt(0) lgkmcnt(0)
	ds_write_b64 v1, v[4:5]
	flat_load_dwordx2 v[4:5], v[6:7]
	v_add_co_u32_e32 v6, vcc, s2, v6
	v_addc_co_u32_e32 v7, vcc, v7, v8, vcc
	s_waitcnt vmcnt(0) lgkmcnt(0)
	ds_write_b64 v1, v[4:5] offset:2112
	flat_load_dwordx2 v[4:5], v[6:7]
	v_mov_b32_e32 v6, 0xc0
	v_mad_u64_u32 v[6:7], s[2:3], s24, v6, v[2:3]
	v_add_u32_e32 v7, s39, v7
	s_waitcnt vmcnt(0) lgkmcnt(0)
	ds_write_b64 v1, v[4:5] offset:4224
	flat_load_dwordx2 v[4:5], v[6:7]
	s_waitcnt vmcnt(0) lgkmcnt(0)
	ds_write_b64 v1, v[4:5] offset:6336
	v_pk_mov_b32 v[4:5], v[2:3], v[2:3] op_sel:[0,1]
.LBB182_34:
	v_lshlrev_b32_e32 v2, 2, v10
	v_mul_u32_u24_e32 v1, 33, v0
	v_cmp_gt_u32_e64 s[16:17], v2, v0
	v_add_lshl_u32 v16, v2, v1, 3
	s_waitcnt lgkmcnt(0)
	s_barrier
	s_and_saveexec_b64 s[2:3], s[16:17]
	s_cbranch_execz .LBB182_36
; %bb.35:
	v_mul_u32_u24_e32 v3, 0x84, v10
	v_add_lshl_u32 v3, v3, v0, 3
	ds_read_b64 v[6:7], v3
	s_waitcnt lgkmcnt(0)
	ds_write_b64 v16, v[6:7]
.LBB182_36:
	s_or_b64 exec, exec, s[2:3]
	v_cmp_ge_u32_e64 s[8:9], v2, v0
	s_and_saveexec_b64 s[2:3], s[8:9]
	s_cbranch_execz .LBB182_38
; %bb.37:
	v_or_b32_e32 v3, 1, v2
	v_mul_u32_u24_e32 v3, 33, v3
	v_add_lshl_u32 v3, v3, v0, 3
	ds_read_b64 v[6:7], v3
	s_waitcnt lgkmcnt(0)
	ds_write_b64 v16, v[6:7] offset:8
.LBB182_38:
	s_or_b64 exec, exec, s[2:3]
	v_or_b32_e32 v3, 2, v2
	v_cmp_gt_u32_e64 s[10:11], v3, v0
	s_and_saveexec_b64 s[2:3], s[10:11]
	s_cbranch_execz .LBB182_40
; %bb.39:
	v_mul_u32_u24_e32 v3, 33, v3
	v_add_lshl_u32 v3, v3, v0, 3
	ds_read_b64 v[6:7], v3
	s_waitcnt lgkmcnt(0)
	ds_write_b64 v16, v[6:7] offset:16
.LBB182_40:
	s_or_b64 exec, exec, s[2:3]
	v_or_b32_e32 v3, 3, v2
	v_cmp_gt_u32_e64 s[12:13], v3, v0
	v_mad_u32_u24 v3, v3, 33, v0
	v_lshlrev_b32_e32 v19, 3, v3
	s_and_saveexec_b64 s[2:3], s[12:13]
	s_cbranch_execz .LBB182_42
; %bb.41:
	ds_read_b64 v[6:7], v19
	s_waitcnt lgkmcnt(0)
	ds_write_b64 v16, v[6:7] offset:24
.LBB182_42:
	s_or_b64 exec, exec, s[2:3]
	v_mul_u32_u24_e32 v3, 0x84, v10
	v_add_lshl_u32 v20, v3, v0, 3
	s_waitcnt lgkmcnt(0)
	s_barrier
	v_lshlrev_b32_e32 v17, 3, v2
	v_add_u32_e32 v21, 0xfffffdf0, v19
	ds_read_b64 v[2:3], v20
	ds_read_b128 v[6:9], v17 offset:9088
	ds_read2_b64 v[24:27], v21 offset1:33
	ds_read_b64 v[34:35], v19
	ds_read_b128 v[30:33], v17 offset:9104
	s_mov_b32 s14, 0
	s_mov_b32 s15, s14
	s_waitcnt lgkmcnt(3)
	v_pk_mul_f32 v[36:37], v[6:7], v[2:3] op_sel:[0,1]
	v_pk_fma_f32 v[38:39], v[6:7], v[2:3], v[36:37] op_sel:[0,0,1] op_sel_hi:[1,1,0] neg_lo:[0,0,1] neg_hi:[0,0,1]
	v_pk_fma_f32 v[2:3], v[6:7], v[2:3], v[36:37] op_sel:[0,0,1] op_sel_hi:[1,0,0]
	s_waitcnt lgkmcnt(2)
	v_pk_mul_f32 v[6:7], v[8:9], v[24:25] op_sel:[0,1]
	v_pk_fma_f32 v[36:37], v[8:9], v[24:25], v[6:7] op_sel:[0,0,1] op_sel_hi:[1,1,0] neg_lo:[0,0,1] neg_hi:[0,0,1]
	v_pk_fma_f32 v[6:7], v[8:9], v[24:25], v[6:7] op_sel:[0,0,1] op_sel_hi:[1,0,0]
	v_mov_b32_e32 v39, v3
	v_mov_b32_e32 v37, v7
	s_waitcnt lgkmcnt(0)
	v_pk_mul_f32 v[6:7], v[30:31], v[26:27] op_sel:[0,1]
	v_pk_add_f32 v[2:3], v[38:39], 0 op_sel_hi:[1,0]
	v_pk_fma_f32 v[8:9], v[30:31], v[26:27], v[6:7] op_sel:[0,0,1] op_sel_hi:[1,1,0] neg_lo:[0,0,1] neg_hi:[0,0,1]
	v_pk_fma_f32 v[6:7], v[30:31], v[26:27], v[6:7] op_sel:[0,0,1] op_sel_hi:[1,0,0]
	v_pk_add_f32 v[2:3], v[2:3], v[36:37]
	v_mov_b32_e32 v9, v7
	v_pk_mul_f32 v[6:7], v[32:33], v[34:35] op_sel:[0,1]
	v_pk_add_f32 v[2:3], v[2:3], v[8:9]
	v_pk_fma_f32 v[8:9], v[32:33], v[34:35], v[6:7] op_sel:[0,0,1] op_sel_hi:[1,1,0] neg_lo:[0,0,1] neg_hi:[0,0,1]
	v_pk_fma_f32 v[6:7], v[32:33], v[34:35], v[6:7] op_sel:[0,0,1] op_sel_hi:[1,0,0]
	v_mov_b32_e32 v9, v7
	v_add_lshl_u32 v23, v10, v1, 3
	v_pk_add_f32 v[2:3], v[2:3], v[8:9]
	v_cmp_gt_u32_e64 s[2:3], 32, v22
	v_pk_mov_b32 v[30:31], s[14:15], s[14:15] op_sel:[0,1]
	v_lshlrev_b32_e32 v24, 3, v1
	s_barrier
	ds_write_b64 v23, v[2:3]
	s_waitcnt lgkmcnt(0)
	s_barrier
	s_and_saveexec_b64 s[14:15], s[2:3]
	s_cbranch_execz .LBB182_44
; %bb.43:
	ds_read2_b64 v[6:9], v24 offset1:7
	ds_read2_b64 v[30:33], v24 offset0:1 offset1:2
	ds_read2_b64 v[34:37], v24 offset0:3 offset1:4
	s_waitcnt lgkmcnt(1)
	v_add_f32_e32 v2, v30, v6
	v_add_f32_e32 v3, v31, v7
	v_add_f32_e32 v2, v2, v32
	v_add_f32_e32 v3, v3, v33
	ds_read2_b64 v[30:33], v24 offset0:5 offset1:6
	s_waitcnt lgkmcnt(1)
	v_add_f32_e32 v2, v2, v34
	v_add_f32_e32 v3, v3, v35
	;; [unrolled: 1-line block ×4, first 2 shown]
	s_waitcnt lgkmcnt(0)
	v_add_f32_e32 v2, v2, v30
	v_add_f32_e32 v3, v3, v31
	;; [unrolled: 1-line block ×4, first 2 shown]
	v_pk_add_f32 v[30:31], v[2:3], v[8:9]
.LBB182_44:
	s_or_b64 exec, exec, s[14:15]
	s_lshl_b64 s[14:15], s[24:25], 8
	v_mov_b32_e32 v2, s15
	v_add_co_u32_e32 v4, vcc, s14, v4
	v_addc_co_u32_e32 v5, vcc, v5, v2, vcc
	v_add_co_u32_e32 v2, vcc, 0x100, v4
	v_addc_co_u32_e32 v3, vcc, 0, v5, vcc
	s_and_b64 vcc, exec, s[30:31]
	s_barrier
	s_cbranch_vccz .LBB182_60
; %bb.45:
	v_or_b32_e32 v6, 32, v0
	v_lshlrev_b32_e32 v7, 3, v6
	v_sub_co_u32_e32 v7, vcc, v2, v7
	s_ashr_i32 s21, s20, 31
	v_subbrev_co_u32_e32 v8, vcc, 0, v3, vcc
	s_lshl_b64 s[34:35], s[20:21], 3
	v_mov_b32_e32 v9, s35
	v_add_co_u32_e32 v7, vcc, s34, v7
	v_addc_co_u32_e32 v8, vcc, v8, v9, vcc
	v_add_co_u32_e32 v9, vcc, -8, v7
	v_addc_co_u32_e32 v7, vcc, -1, v8, vcc
	v_cmp_gt_i32_e64 s[14:15], s20, v6
	s_sub_i32 s21, s20, 32
	v_mov_b32_e32 v8, 0
	v_cndmask_b32_e64 v7, v7, v3, s[14:15]
	v_cndmask_b32_e64 v6, v9, v2, s[14:15]
	v_cmp_gt_i32_e32 vcc, s21, v10
	v_mov_b32_e32 v9, v8
	s_and_saveexec_b64 s[36:37], vcc
	s_cbranch_execz .LBB182_47
; %bb.46:
	flat_load_dwordx2 v[8:9], v[6:7]
.LBB182_47:
	s_or_b64 exec, exec, s[36:37]
	v_add_lshl_u32 v25, v18, v0, 3
	s_waitcnt vmcnt(0) lgkmcnt(0)
	ds_write_b64 v25, v[8:9]
	v_add_u32_e32 v8, 8, v10
	v_cmp_le_i32_e32 vcc, s21, v8
	s_and_saveexec_b64 s[36:37], vcc
	s_xor_b64 s[36:37], exec, s[36:37]
	s_cbranch_execz .LBB182_49
; %bb.48:
	v_mul_u32_u24_e32 v8, 33, v8
	v_add_lshl_u32 v26, v8, v0, 3
	v_mov_b32_e32 v8, 0
	v_mov_b32_e32 v9, v8
	ds_write_b64 v26, v[8:9]
.LBB182_49:
	s_andn2_saveexec_b64 s[36:37], s[36:37]
	s_cbranch_execz .LBB182_51
; %bb.50:
	s_lshl_b64 s[40:41], s[24:25], 6
	v_mov_b32_e32 v9, s41
	v_add_co_u32_e32 v8, vcc, s40, v6
	v_addc_co_u32_e32 v9, vcc, v7, v9, vcc
	flat_load_dwordx2 v[8:9], v[8:9]
	s_waitcnt vmcnt(0) lgkmcnt(0)
	ds_write_b64 v25, v[8:9] offset:2112
.LBB182_51:
	s_or_b64 exec, exec, s[36:37]
	v_add_u32_e32 v8, 16, v10
	v_cmp_le_i32_e32 vcc, s21, v8
	s_and_saveexec_b64 s[36:37], vcc
	s_xor_b64 s[36:37], exec, s[36:37]
	s_cbranch_execz .LBB182_53
; %bb.52:
	v_mov_b32_e32 v8, 0
	v_mov_b32_e32 v9, v8
	ds_write_b64 v25, v[8:9] offset:4224
.LBB182_53:
	s_andn2_saveexec_b64 s[36:37], s[36:37]
	s_cbranch_execz .LBB182_55
; %bb.54:
	s_lshl_b64 s[40:41], s[24:25], 7
	v_mov_b32_e32 v9, s41
	v_add_co_u32_e32 v8, vcc, s40, v6
	v_addc_co_u32_e32 v9, vcc, v7, v9, vcc
	flat_load_dwordx2 v[8:9], v[8:9]
	s_waitcnt vmcnt(0) lgkmcnt(0)
	ds_write_b64 v25, v[8:9] offset:4224
.LBB182_55:
	s_or_b64 exec, exec, s[36:37]
	v_add_u32_e32 v8, 24, v10
	v_cmp_le_i32_e32 vcc, s21, v8
	s_and_saveexec_b64 s[36:37], vcc
	s_xor_b64 s[36:37], exec, s[36:37]
	s_cbranch_execz .LBB182_57
; %bb.56:
	v_mov_b32_e32 v8, 0
	v_mov_b32_e32 v9, v8
	ds_write_b64 v25, v[8:9] offset:6336
                                        ; implicit-def: $vgpr25
.LBB182_57:
	s_andn2_saveexec_b64 s[36:37], s[36:37]
	s_cbranch_execz .LBB182_59
; %bb.58:
	v_mov_b32_e32 v8, 0xc0
	v_mad_u64_u32 v[8:9], s[40:41], s24, v8, v[6:7]
	v_add_u32_e32 v9, s39, v9
	flat_load_dwordx2 v[8:9], v[8:9]
	s_waitcnt vmcnt(0) lgkmcnt(0)
	ds_write_b64 v25, v[8:9] offset:6336
.LBB182_59:
	s_or_b64 exec, exec, s[36:37]
	v_add_co_u32_e32 v6, vcc, v6, v11
	v_addc_co_u32_e32 v7, vcc, 0, v7, vcc
	v_mov_b32_e32 v8, s35
	v_subrev_co_u32_e32 v6, vcc, s34, v6
	v_subb_co_u32_e32 v7, vcc, v7, v8, vcc
	v_add_co_u32_e32 v6, vcc, 0x108, v6
	v_addc_co_u32_e32 v7, vcc, 0, v7, vcc
	v_cndmask_b32_e64 v7, v7, v3, s[14:15]
	v_cndmask_b32_e64 v6, v6, v2, s[14:15]
	s_branch .LBB182_62
.LBB182_60:
                                        ; implicit-def: $vgpr6_vgpr7
	s_cbranch_execz .LBB182_62
; %bb.61:
	flat_load_dwordx2 v[6:7], v[4:5] offset:256
	s_lshl_b64 s[14:15], s[24:25], 6
	v_add_lshl_u32 v25, v18, v0, 3
	v_mov_b32_e32 v26, s15
	v_add_co_u32_e32 v8, vcc, s14, v4
	v_addc_co_u32_e32 v9, vcc, v5, v26, vcc
	s_waitcnt vmcnt(0) lgkmcnt(0)
	ds_write_b64 v25, v[6:7]
	flat_load_dwordx2 v[6:7], v[8:9] offset:256
	v_add_co_u32_e32 v8, vcc, s14, v8
	v_addc_co_u32_e32 v9, vcc, v9, v26, vcc
	s_waitcnt vmcnt(0) lgkmcnt(0)
	ds_write_b64 v25, v[6:7] offset:2112
	flat_load_dwordx2 v[6:7], v[8:9] offset:256
	v_mov_b32_e32 v8, 0xc0
	v_mad_u64_u32 v[4:5], s[14:15], s24, v8, v[4:5]
	v_add_u32_e32 v5, s39, v5
	s_waitcnt vmcnt(0) lgkmcnt(0)
	ds_write_b64 v25, v[6:7] offset:4224
	flat_load_dwordx2 v[4:5], v[4:5] offset:256
	v_pk_mov_b32 v[6:7], v[2:3], v[2:3] op_sel:[0,1]
	s_waitcnt vmcnt(0) lgkmcnt(0)
	ds_write_b64 v25, v[4:5] offset:6336
.LBB182_62:
	s_waitcnt lgkmcnt(0)
	s_barrier
	s_and_saveexec_b64 s[14:15], s[16:17]
	s_cbranch_execnz .LBB182_85
; %bb.63:
	s_or_b64 exec, exec, s[14:15]
	s_and_saveexec_b64 s[14:15], s[8:9]
	s_cbranch_execnz .LBB182_86
.LBB182_64:
	s_or_b64 exec, exec, s[14:15]
	s_and_saveexec_b64 s[8:9], s[10:11]
	s_cbranch_execnz .LBB182_87
.LBB182_65:
	s_or_b64 exec, exec, s[8:9]
	v_add_u32_e32 v25, 0x2380, v17
	s_and_saveexec_b64 s[8:9], s[12:13]
	s_cbranch_execz .LBB182_67
.LBB182_66:
	ds_read_b64 v[2:3], v19
	s_waitcnt lgkmcnt(0)
	ds_write_b64 v16, v[2:3] offset:24
.LBB182_67:
	s_or_b64 exec, exec, s[8:9]
	s_waitcnt lgkmcnt(0)
	s_barrier
	ds_read_b64 v[8:9], v20
	ds_read_b128 v[2:5], v25 offset:256
	ds_read2_b64 v[32:35], v21 offset1:33
	ds_read_b64 v[16:17], v19
	ds_read_b128 v[36:39], v25 offset:272
	v_cmp_eq_u32_e64 s[8:9], 1, v10
	s_waitcnt lgkmcnt(3)
	v_pk_mul_f32 v[26:27], v[2:3], v[8:9] op_sel:[0,1]
	v_pk_fma_f32 v[40:41], v[2:3], v[8:9], v[26:27] op_sel:[0,0,1] op_sel_hi:[1,1,0] neg_lo:[0,0,1] neg_hi:[0,0,1]
	v_pk_fma_f32 v[2:3], v[2:3], v[8:9], v[26:27] op_sel:[0,0,1] op_sel_hi:[1,0,0]
	s_waitcnt lgkmcnt(2)
	v_pk_mul_f32 v[8:9], v[4:5], v[32:33] op_sel:[0,1]
	v_pk_fma_f32 v[26:27], v[4:5], v[32:33], v[8:9] op_sel:[0,0,1] op_sel_hi:[1,1,0] neg_lo:[0,0,1] neg_hi:[0,0,1]
	v_pk_fma_f32 v[4:5], v[4:5], v[32:33], v[8:9] op_sel:[0,0,1] op_sel_hi:[1,0,0]
	v_mov_b32_e32 v41, v3
	v_mov_b32_e32 v27, v5
	s_waitcnt lgkmcnt(0)
	v_pk_mul_f32 v[4:5], v[36:37], v[34:35] op_sel:[0,1]
	v_pk_add_f32 v[2:3], v[40:41], 0 op_sel_hi:[1,0]
	v_pk_fma_f32 v[8:9], v[36:37], v[34:35], v[4:5] op_sel:[0,0,1] op_sel_hi:[1,1,0] neg_lo:[0,0,1] neg_hi:[0,0,1]
	v_pk_fma_f32 v[4:5], v[36:37], v[34:35], v[4:5] op_sel:[0,0,1] op_sel_hi:[1,0,0]
	v_pk_add_f32 v[2:3], v[2:3], v[26:27]
	v_mov_b32_e32 v9, v5
	v_pk_mul_f32 v[4:5], v[38:39], v[16:17] op_sel:[0,1]
	v_pk_add_f32 v[2:3], v[2:3], v[8:9]
	v_pk_fma_f32 v[8:9], v[38:39], v[16:17], v[4:5] op_sel:[0,0,1] op_sel_hi:[1,1,0] neg_lo:[0,0,1] neg_hi:[0,0,1]
	v_pk_fma_f32 v[4:5], v[38:39], v[16:17], v[4:5] op_sel:[0,0,1] op_sel_hi:[1,0,0]
	v_mov_b32_e32 v9, v5
	v_pk_add_f32 v[2:3], v[2:3], v[8:9]
	s_barrier
	ds_write_b64 v23, v[2:3]
	s_waitcnt lgkmcnt(0)
	s_barrier
	s_and_saveexec_b64 s[10:11], s[8:9]
	s_cbranch_execz .LBB182_69
; %bb.68:
	ds_read2_b64 v[2:5], v24 offset1:7
	ds_read2_b64 v[30:33], v24 offset0:1 offset1:2
	ds_read2_b64 v[34:37], v24 offset0:3 offset1:4
	s_waitcnt lgkmcnt(1)
	v_add_f32_e32 v2, v30, v2
	v_add_f32_e32 v3, v31, v3
	;; [unrolled: 1-line block ×4, first 2 shown]
	ds_read2_b64 v[30:33], v24 offset0:5 offset1:6
	s_waitcnt lgkmcnt(1)
	v_add_f32_e32 v2, v2, v34
	v_add_f32_e32 v3, v3, v35
	;; [unrolled: 1-line block ×4, first 2 shown]
	s_waitcnt lgkmcnt(0)
	v_add_f32_e32 v2, v2, v30
	v_add_f32_e32 v3, v3, v31
	v_pk_add_f32 v[2:3], v[2:3], v[32:33]
	v_pk_add_f32 v[30:31], v[2:3], v[4:5]
.LBB182_69:
	s_or_b64 exec, exec, s[10:11]
	v_add_co_u32_e32 v2, vcc, 0xffffff00, v6
	v_addc_co_u32_e32 v3, vcc, -1, v7, vcc
	s_and_b64 vcc, exec, s[30:31]
	s_barrier
	s_cbranch_vccz .LBB182_88
; %bb.70:
	v_sub_co_u32_e32 v4, vcc, v2, v11
	s_ashr_i32 s21, s20, 31
	v_subbrev_co_u32_e32 v5, vcc, 0, v3, vcc
	s_lshl_b64 s[12:13], s[20:21], 3
	v_mov_b32_e32 v6, s13
	v_add_co_u32_e32 v4, vcc, s12, v4
	v_addc_co_u32_e32 v5, vcc, v5, v6, vcc
	v_add_co_u32_e32 v4, vcc, -8, v4
	v_addc_co_u32_e32 v5, vcc, -1, v5, vcc
	v_cmp_gt_i32_e32 vcc, s20, v0
	s_sub_i32 s16, s20, 32
	v_mov_b32_e32 v6, 0
	v_cndmask_b32_e32 v5, v5, v3, vcc
	v_cndmask_b32_e32 v4, v4, v2, vcc
	v_cmp_gt_i32_e64 s[10:11], s16, v10
	v_mov_b32_e32 v7, v6
	s_and_saveexec_b64 s[14:15], s[10:11]
	s_cbranch_execz .LBB182_72
; %bb.71:
	flat_load_dwordx2 v[6:7], v[4:5]
.LBB182_72:
	s_or_b64 exec, exec, s[14:15]
	v_add_lshl_u32 v8, v18, v0, 3
	s_waitcnt vmcnt(0) lgkmcnt(0)
	ds_write_b64 v8, v[6:7]
	v_add_u32_e32 v6, 8, v10
	v_cmp_le_i32_e64 s[10:11], s16, v6
	s_and_saveexec_b64 s[14:15], s[10:11]
	s_xor_b64 s[10:11], exec, s[14:15]
	s_cbranch_execz .LBB182_74
; %bb.73:
	v_mul_u32_u24_e32 v7, 33, v6
	v_mov_b32_e32 v16, 0
	v_add_lshl_u32 v7, v7, v0, 3
	v_mov_b32_e32 v17, v16
	ds_write_b64 v7, v[16:17]
.LBB182_74:
	s_andn2_saveexec_b64 s[14:15], s[10:11]
	s_cbranch_execz .LBB182_76
; %bb.75:
	s_lshl_b64 s[10:11], s[24:25], 6
	v_mov_b32_e32 v7, s11
	v_add_co_u32_e64 v16, s[10:11], s10, v4
	v_addc_co_u32_e64 v17, s[10:11], v5, v7, s[10:11]
	flat_load_dwordx2 v[16:17], v[16:17]
	s_waitcnt vmcnt(0) lgkmcnt(0)
	ds_write_b64 v8, v[16:17] offset:2112
.LBB182_76:
	s_or_b64 exec, exec, s[14:15]
	v_add_u32_e32 v7, 16, v10
	v_cmp_le_i32_e64 s[10:11], s16, v7
	s_and_saveexec_b64 s[14:15], s[10:11]
	s_xor_b64 s[10:11], exec, s[14:15]
	s_cbranch_execz .LBB182_78
; %bb.77:
	v_mov_b32_e32 v16, 0
	v_mov_b32_e32 v17, v16
	ds_write_b64 v8, v[16:17] offset:4224
.LBB182_78:
	s_andn2_saveexec_b64 s[14:15], s[10:11]
	s_cbranch_execz .LBB182_80
; %bb.79:
	s_lshl_b64 s[10:11], s[24:25], 7
	v_mov_b32_e32 v9, s11
	v_add_co_u32_e64 v16, s[10:11], s10, v4
	v_addc_co_u32_e64 v17, s[10:11], v5, v9, s[10:11]
	flat_load_dwordx2 v[16:17], v[16:17]
	s_waitcnt vmcnt(0) lgkmcnt(0)
	ds_write_b64 v8, v[16:17] offset:4224
.LBB182_80:
	s_or_b64 exec, exec, s[14:15]
	v_add_u32_e32 v9, 24, v10
	v_cmp_le_i32_e64 s[10:11], s16, v9
	s_and_saveexec_b64 s[14:15], s[10:11]
	s_xor_b64 s[10:11], exec, s[14:15]
	s_cbranch_execz .LBB182_82
; %bb.81:
	v_mov_b32_e32 v16, 0
	v_mov_b32_e32 v17, v16
	ds_write_b64 v8, v[16:17] offset:6336
                                        ; implicit-def: $vgpr8
.LBB182_82:
	s_andn2_saveexec_b64 s[10:11], s[10:11]
	s_cbranch_execz .LBB182_84
; %bb.83:
	v_mov_b32_e32 v16, 0xc0
	v_mad_u64_u32 v[16:17], s[14:15], s24, v16, v[4:5]
	v_add_u32_e32 v17, s39, v17
	flat_load_dwordx2 v[16:17], v[16:17]
	s_waitcnt vmcnt(0) lgkmcnt(0)
	ds_write_b64 v8, v[16:17] offset:6336
.LBB182_84:
	s_or_b64 exec, exec, s[10:11]
	v_add_co_u32_e64 v4, s[10:11], v4, v11
	v_addc_co_u32_e64 v5, s[10:11], 0, v5, s[10:11]
	v_mov_b32_e32 v8, s13
	v_subrev_co_u32_e64 v4, s[10:11], s12, v4
	v_subb_co_u32_e64 v5, s[10:11], v5, v8, s[10:11]
	v_add_co_u32_e64 v4, s[10:11], 8, v4
	v_addc_co_u32_e64 v5, s[10:11], 0, v5, s[10:11]
	v_cndmask_b32_e32 v17, v5, v3, vcc
	v_cndmask_b32_e32 v16, v4, v2, vcc
	s_branch .LBB182_90
.LBB182_85:
	ds_read_b64 v[2:3], v20
	s_waitcnt lgkmcnt(0)
	ds_write_b64 v16, v[2:3]
	s_or_b64 exec, exec, s[14:15]
	s_and_saveexec_b64 s[14:15], s[8:9]
	s_cbranch_execz .LBB182_64
.LBB182_86:
	ds_read_b64 v[2:3], v21
	s_waitcnt lgkmcnt(0)
	ds_write_b64 v16, v[2:3] offset:8
	s_or_b64 exec, exec, s[14:15]
	s_and_saveexec_b64 s[8:9], s[10:11]
	s_cbranch_execz .LBB182_65
.LBB182_87:
	ds_read_b64 v[2:3], v21 offset:264
	s_waitcnt lgkmcnt(0)
	ds_write_b64 v16, v[2:3] offset:16
	s_or_b64 exec, exec, s[8:9]
	v_add_u32_e32 v25, 0x2380, v17
	s_and_saveexec_b64 s[8:9], s[12:13]
	s_cbranch_execnz .LBB182_66
	s_branch .LBB182_67
.LBB182_88:
                                        ; implicit-def: $vgpr16_vgpr17
                                        ; implicit-def: $vgpr6
                                        ; implicit-def: $vgpr7
                                        ; implicit-def: $vgpr9
	s_cbranch_execz .LBB182_90
; %bb.89:
	flat_load_dwordx2 v[4:5], v[2:3]
	s_lshl_b64 s[10:11], s[24:25], 6
	v_add_lshl_u32 v0, v18, v0, 3
	v_mov_b32_e32 v8, s11
	v_add_co_u32_e32 v6, vcc, s10, v2
	v_addc_co_u32_e32 v7, vcc, v3, v8, vcc
	v_add_u32_e32 v9, 24, v10
	v_pk_mov_b32 v[16:17], v[2:3], v[2:3] op_sel:[0,1]
	s_waitcnt vmcnt(0) lgkmcnt(0)
	ds_write_b64 v0, v[4:5]
	flat_load_dwordx2 v[4:5], v[6:7]
	v_add_co_u32_e32 v6, vcc, s10, v6
	v_addc_co_u32_e32 v7, vcc, v7, v8, vcc
	s_waitcnt vmcnt(0) lgkmcnt(0)
	ds_write_b64 v0, v[4:5] offset:2112
	flat_load_dwordx2 v[4:5], v[6:7]
	v_mov_b32_e32 v6, 0xc0
	v_mad_u64_u32 v[6:7], s[10:11], s24, v6, v[2:3]
	v_add_u32_e32 v7, s39, v7
	s_waitcnt vmcnt(0) lgkmcnt(0)
	ds_write_b64 v0, v[4:5] offset:4224
	flat_load_dwordx2 v[4:5], v[6:7]
	v_add_u32_e32 v6, 8, v10
	v_add_u32_e32 v7, 16, v10
	s_waitcnt vmcnt(0) lgkmcnt(0)
	ds_write_b64 v0, v[4:5] offset:6336
.LBB182_90:
	v_lshlrev_b32_e32 v18, 3, v10
	v_add_lshl_u32 v36, v6, v1, 3
	v_lshlrev_b32_e32 v34, 3, v6
	v_add_lshl_u32 v32, v7, v1, 3
	;; [unrolled: 2-line block ×3, first 2 shown]
	v_lshlrev_b32_e32 v40, 3, v9
	s_waitcnt lgkmcnt(0)
	s_barrier
	ds_read2_b64 v[4:7], v21 offset1:33
	ds_read_b64 v[20:21], v20
	ds_read_b128 v[8:11], v25 offset:256
	ds_read_b64 v[26:27], v23
	ds_read_b128 v[0:3], v25 offset:272
	ds_read_b64 v[32:33], v32
	ds_read_b64 v[34:35], v34 offset:9088
	ds_read_b64 v[36:37], v36
	ds_read_b64 v[38:39], v18 offset:9088
	;; [unrolled: 2-line block ×4, first 2 shown]
	s_waitcnt lgkmcnt(4)
	v_pk_mul_f32 v[46:47], v[38:39], v[26:27] op_sel:[0,1]
	v_pk_fma_f32 v[48:49], v[38:39], v[26:27], v[46:47] op_sel:[0,0,1] op_sel_hi:[1,1,0] neg_lo:[0,0,1] neg_hi:[0,0,1]
	v_pk_fma_f32 v[26:27], v[38:39], v[26:27], v[46:47] op_sel:[0,0,1] op_sel_hi:[1,0,0]
	v_pk_mul_f32 v[38:39], v[34:35], v[36:37] op_sel:[0,1]
	v_pk_fma_f32 v[46:47], v[34:35], v[36:37], v[38:39] op_sel:[0,0,1] op_sel_hi:[1,1,0] neg_lo:[0,0,1] neg_hi:[0,0,1]
	v_pk_fma_f32 v[34:35], v[34:35], v[36:37], v[38:39] op_sel:[0,0,1] op_sel_hi:[1,0,0]
	v_mov_b32_e32 v47, v35
	s_waitcnt lgkmcnt(0)
	v_pk_mul_f32 v[34:35], v[44:45], v[32:33] op_sel:[0,1]
	v_mov_b32_e32 v49, v27
	v_pk_fma_f32 v[36:37], v[44:45], v[32:33], v[34:35] op_sel:[0,0,1] op_sel_hi:[1,1,0] neg_lo:[0,0,1] neg_hi:[0,0,1]
	v_pk_fma_f32 v[32:33], v[44:45], v[32:33], v[34:35] op_sel:[0,0,1] op_sel_hi:[1,0,0]
	v_pk_add_f32 v[26:27], v[48:49], 0 op_sel_hi:[1,0]
	v_mov_b32_e32 v37, v33
	v_pk_mul_f32 v[32:33], v[40:41], v[42:43] op_sel:[0,1]
	v_pk_add_f32 v[26:27], v[26:27], v[46:47]
	v_pk_fma_f32 v[34:35], v[40:41], v[42:43], v[32:33] op_sel:[0,0,1] op_sel_hi:[1,1,0] neg_lo:[0,0,1] neg_hi:[0,0,1]
	v_pk_fma_f32 v[32:33], v[40:41], v[42:43], v[32:33] op_sel:[0,0,1] op_sel_hi:[1,0,0]
	v_pk_add_f32 v[26:27], v[26:27], v[36:37]
	v_mov_b32_e32 v35, v33
	v_pk_add_f32 v[26:27], v[26:27], v[34:35]
	s_barrier
	ds_write_b64 v23, v[26:27]
	s_waitcnt lgkmcnt(0)
	s_barrier
	s_and_saveexec_b64 s[10:11], s[8:9]
	s_cbranch_execz .LBB182_92
; %bb.91:
	ds_read2_b64 v[32:35], v24 offset1:1
	ds_read2_b64 v[36:39], v24 offset0:2 offset1:3
	ds_read2_b64 v[40:43], v24 offset0:6 offset1:7
	s_waitcnt lgkmcnt(2)
	v_pk_add_f32 v[26:27], v[30:31], v[32:33]
	ds_read2_b64 v[30:33], v24 offset0:4 offset1:5
	v_pk_add_f32 v[26:27], v[26:27], v[34:35]
	s_waitcnt lgkmcnt(2)
	v_pk_add_f32 v[26:27], v[26:27], v[36:37]
	v_pk_add_f32 v[26:27], v[26:27], v[38:39]
	s_waitcnt lgkmcnt(0)
	v_pk_add_f32 v[26:27], v[26:27], v[30:31]
	v_pk_add_f32 v[26:27], v[26:27], v[32:33]
	;; [unrolled: 1-line block ×4, first 2 shown]
.LBB182_92:
	s_or_b64 exec, exec, s[10:11]
	v_pk_mul_f32 v[26:27], v[8:9], v[20:21] op_sel:[0,1]
	v_pk_fma_f32 v[32:33], v[8:9], v[20:21], v[26:27] op_sel:[0,0,1] op_sel_hi:[1,1,0] neg_lo:[0,0,1] neg_hi:[0,0,1]
	v_pk_fma_f32 v[8:9], v[8:9], v[20:21], v[26:27] op_sel:[0,0,1] op_sel_hi:[1,0,0]
	v_pk_mul_f32 v[20:21], v[10:11], v[4:5] op_sel:[0,1]
	v_mov_b32_e32 v33, v9
	v_pk_fma_f32 v[26:27], v[10:11], v[4:5], v[20:21] op_sel:[0,0,1] op_sel_hi:[1,1,0] neg_lo:[0,0,1] neg_hi:[0,0,1]
	v_pk_fma_f32 v[4:5], v[10:11], v[4:5], v[20:21] op_sel:[0,0,1] op_sel_hi:[1,0,0]
	v_pk_add_f32 v[8:9], v[32:33], 0 op_sel_hi:[1,0]
	v_mov_b32_e32 v27, v5
	v_pk_add_f32 v[4:5], v[8:9], v[26:27]
	v_pk_mul_f32 v[8:9], v[0:1], v[6:7] op_sel:[0,1]
	v_pk_fma_f32 v[10:11], v[0:1], v[6:7], v[8:9] op_sel:[0,0,1] op_sel_hi:[1,1,0] neg_lo:[0,0,1] neg_hi:[0,0,1]
	v_pk_fma_f32 v[0:1], v[0:1], v[6:7], v[8:9] op_sel:[0,0,1] op_sel_hi:[1,0,0]
	v_mov_b32_e32 v11, v1
	v_pk_add_f32 v[0:1], v[4:5], v[10:11]
	v_pk_mul_f32 v[4:5], v[2:3], v[18:19] op_sel:[0,1]
	v_pk_fma_f32 v[6:7], v[2:3], v[18:19], v[4:5] op_sel:[0,0,1] op_sel_hi:[1,1,0] neg_lo:[0,0,1] neg_hi:[0,0,1]
	v_pk_fma_f32 v[2:3], v[2:3], v[18:19], v[4:5] op_sel:[0,0,1] op_sel_hi:[1,0,0]
	v_mov_b32_e32 v7, v3
	v_pk_add_f32 v[0:1], v[0:1], v[6:7]
	s_barrier
	ds_write_b64 v23, v[0:1]
	s_waitcnt lgkmcnt(0)
	s_barrier
	s_and_saveexec_b64 s[8:9], s[2:3]
	s_cbranch_execz .LBB182_94
; %bb.93:
	ds_read2_b64 v[0:3], v24 offset1:1
	ds_read2_b64 v[4:7], v24 offset0:2 offset1:3
	ds_read2_b64 v[8:11], v24 offset0:4 offset1:5
	s_waitcnt lgkmcnt(2)
	v_pk_add_f32 v[0:1], v[30:31], v[0:1]
	v_pk_add_f32 v[18:19], v[0:1], v[2:3]
	ds_read2_b64 v[0:3], v24 offset0:6 offset1:7
	s_waitcnt lgkmcnt(2)
	v_pk_add_f32 v[4:5], v[18:19], v[4:5]
	v_pk_add_f32 v[4:5], v[4:5], v[6:7]
	s_waitcnt lgkmcnt(1)
	v_pk_add_f32 v[4:5], v[4:5], v[8:9]
	v_pk_add_f32 v[4:5], v[4:5], v[10:11]
	;; [unrolled: 3-line block ×3, first 2 shown]
.LBB182_94:
	s_or_b64 exec, exec, s[8:9]
	s_load_dwordx2 s[2:3], s[4:5], 0x68
	s_mul_hi_u32 s4, s33, s28
	s_mul_i32 s38, s38, s28
	s_add_i32 s4, s4, s38
	s_mul_i32 s8, s33, s28
	s_mul_i32 s4, s4, s7
	s_mul_hi_u32 s5, s8, s7
	s_add_i32 s5, s5, s4
	s_mul_i32 s4, s8, s7
	s_lshl_b64 s[4:5], s[4:5], 3
	s_waitcnt lgkmcnt(0)
	s_add_u32 s4, s2, s4
	s_addc_u32 s5, s3, s5
	s_mul_hi_i32 s3, s33, s6
	s_mul_i32 s2, s33, s6
	s_lshl_b64 s[2:3], s[2:3], 3
	s_add_u32 s21, s4, s2
	s_addc_u32 s28, s5, s3
	s_add_i32 s2, s6, 1
	s_cmp_ge_u32 s2, s7
	v_lshlrev_b32_e32 v32, 3, v65
	s_barrier
	s_cbranch_scc1 .LBB182_152
; %bb.95:
	s_mul_i32 s2, s26, s19
	s_mul_hi_u32 s3, s26, s18
	s_add_i32 s2, s3, s2
	s_mul_i32 s3, s27, s18
	s_add_i32 s3, s2, s3
	s_mul_i32 s2, s26, s18
	s_lshl_b64 s[2:3], s[2:3], 3
	v_mov_b32_e32 v0, s3
	v_subrev_co_u32_e32 v121, vcc, s2, v14
	v_and_b32_e32 v1, 48, v65
	v_subb_co_u32_e32 v122, vcc, v15, v0, vcc
	v_and_b32_e32 v0, 15, v65
	v_lshlrev_b32_e32 v2, 3, v1
	s_movk_i32 s4, 0x218
	v_lshrrev_b32_e32 v4, 4, v22
	v_mad_u32_u24 v123, v0, s4, v2
	v_or_b32_e32 v2, 0x78, v32
	v_lshlrev_b32_e32 v5, 5, v120
	v_mad_u32_u24 v124, v0, s4, v2
	v_lshlrev_b32_e32 v2, 5, v4
	v_add_u32_e32 v3, 0x110, v5
	v_mad_u32_u24 v125, v0, s4, v2
	v_or_b32_e32 v126, v1, v0
	v_mad_u64_u32 v[0:1], s[4:5], s24, v3, 0
	v_mov_b32_e32 v2, v1
	v_mad_u64_u32 v[2:3], s[4:5], s25, v3, v[2:3]
	v_mov_b32_e32 v1, v2
	v_sub_co_u32_e32 v0, vcc, v0, v12
	v_subb_co_u32_e32 v1, vcc, v1, v13, vcc
	v_add_co_u32_e32 v34, vcc, v16, v0
	v_add_u32_e32 v3, 0x108, v5
	v_addc_co_u32_e32 v33, vcc, v17, v1, vcc
	v_mad_u64_u32 v[0:1], s[4:5], s24, v3, 0
	v_mov_b32_e32 v2, v1
	v_mad_u64_u32 v[2:3], s[4:5], s25, v3, v[2:3]
	v_mov_b32_e32 v1, v2
	v_sub_co_u32_e32 v0, vcc, v0, v12
	v_subb_co_u32_e32 v1, vcc, v1, v13, vcc
	v_add_co_u32_e32 v36, vcc, v16, v0
	v_add_u32_e32 v3, 0x100, v5
	v_addc_co_u32_e32 v35, vcc, v17, v1, vcc
	v_mad_u64_u32 v[0:1], s[4:5], s24, v3, 0
	v_mov_b32_e32 v2, v1
	v_mad_u64_u32 v[2:3], s[4:5], s25, v3, v[2:3]
	v_mov_b32_e32 v1, v2
	v_sub_co_u32_e32 v0, vcc, v0, v12
	v_subb_co_u32_e32 v1, vcc, v1, v13, vcc
	v_add_co_u32_e32 v38, vcc, v16, v0
	v_add_u32_e32 v3, 0x118, v5
	v_addc_co_u32_e32 v37, vcc, v17, v1, vcc
	v_mad_u64_u32 v[0:1], s[4:5], s24, v3, 0
	v_mov_b32_e32 v2, v1
	v_mad_u64_u32 v[2:3], s[4:5], s25, v3, v[2:3]
	v_mov_b32_e32 v1, v2
	v_sub_co_u32_e32 v0, vcc, v0, v12
	v_subb_co_u32_e32 v1, vcc, v1, v13, vcc
	v_add_co_u32_e32 v40, vcc, v16, v0
	v_add_u32_e32 v3, 0x190, v5
	v_addc_co_u32_e32 v39, vcc, v17, v1, vcc
	v_mad_u64_u32 v[0:1], s[4:5], s24, v3, 0
	v_mov_b32_e32 v2, v1
	v_mad_u64_u32 v[2:3], s[4:5], s25, v3, v[2:3]
	v_mov_b32_e32 v1, v2
	v_sub_co_u32_e32 v0, vcc, v0, v12
	v_subb_co_u32_e32 v1, vcc, v1, v13, vcc
	v_add_co_u32_e32 v42, vcc, v16, v0
	v_add_u32_e32 v3, 0x188, v5
	v_addc_co_u32_e32 v41, vcc, v17, v1, vcc
	v_mad_u64_u32 v[0:1], s[4:5], s24, v3, 0
	v_mov_b32_e32 v2, v1
	v_mad_u64_u32 v[2:3], s[4:5], s25, v3, v[2:3]
	v_mov_b32_e32 v1, v2
	v_sub_co_u32_e32 v0, vcc, v0, v12
	v_subb_co_u32_e32 v1, vcc, v1, v13, vcc
	v_add_co_u32_e32 v44, vcc, v16, v0
	v_add_u32_e32 v3, 0x180, v5
	v_addc_co_u32_e32 v43, vcc, v17, v1, vcc
	v_mad_u64_u32 v[0:1], s[4:5], s24, v3, 0
	v_mov_b32_e32 v2, v1
	v_mad_u64_u32 v[2:3], s[4:5], s25, v3, v[2:3]
	v_mov_b32_e32 v1, v2
	v_sub_co_u32_e32 v0, vcc, v0, v12
	v_subb_co_u32_e32 v1, vcc, v1, v13, vcc
	v_add_co_u32_e32 v46, vcc, v16, v0
	v_add_u32_e32 v3, 0x198, v5
	v_addc_co_u32_e32 v45, vcc, v17, v1, vcc
	v_mad_u64_u32 v[0:1], s[4:5], s24, v3, 0
	v_mov_b32_e32 v2, v1
	v_mad_u64_u32 v[2:3], s[4:5], s25, v3, v[2:3]
	v_mov_b32_e32 v1, v2
	v_sub_co_u32_e32 v0, vcc, v0, v12
	v_subb_co_u32_e32 v1, vcc, v1, v13, vcc
	v_add_co_u32_e32 v48, vcc, v16, v0
	v_add_u32_e32 v3, 0x210, v5
	v_addc_co_u32_e32 v47, vcc, v17, v1, vcc
	v_mad_u64_u32 v[0:1], s[4:5], s24, v3, 0
	v_mov_b32_e32 v2, v1
	v_mad_u64_u32 v[2:3], s[4:5], s25, v3, v[2:3]
	v_mov_b32_e32 v1, v2
	v_sub_co_u32_e32 v0, vcc, v0, v12
	v_subb_co_u32_e32 v1, vcc, v1, v13, vcc
	v_add_co_u32_e32 v50, vcc, v16, v0
	v_add_u32_e32 v3, 0x208, v5
	v_addc_co_u32_e32 v49, vcc, v17, v1, vcc
	v_mad_u64_u32 v[0:1], s[4:5], s24, v3, 0
	v_mov_b32_e32 v2, v1
	v_mad_u64_u32 v[2:3], s[4:5], s25, v3, v[2:3]
	v_mov_b32_e32 v1, v2
	v_sub_co_u32_e32 v0, vcc, v0, v12
	v_subb_co_u32_e32 v1, vcc, v1, v13, vcc
	v_add_co_u32_e32 v52, vcc, v16, v0
	v_add_u32_e32 v3, 0x200, v5
	v_addc_co_u32_e32 v51, vcc, v17, v1, vcc
	v_mad_u64_u32 v[0:1], s[4:5], s24, v3, 0
	v_mov_b32_e32 v2, v1
	v_mad_u64_u32 v[2:3], s[4:5], s25, v3, v[2:3]
	v_mov_b32_e32 v1, v2
	v_sub_co_u32_e32 v0, vcc, v0, v12
	v_subb_co_u32_e32 v1, vcc, v1, v13, vcc
	v_add_co_u32_e32 v54, vcc, v16, v0
	v_add_u32_e32 v3, 0x218, v5
	v_addc_co_u32_e32 v53, vcc, v17, v1, vcc
	v_mad_u64_u32 v[0:1], s[4:5], s24, v3, 0
	v_mov_b32_e32 v2, v1
	v_mad_u64_u32 v[2:3], s[4:5], s25, v3, v[2:3]
	v_mov_b32_e32 v1, v2
	v_sub_co_u32_e32 v0, vcc, v0, v12
	v_subb_co_u32_e32 v1, vcc, v1, v13, vcc
	v_add_co_u32_e32 v56, vcc, v16, v0
	v_add_u32_e32 v3, 0x290, v5
	v_addc_co_u32_e32 v55, vcc, v17, v1, vcc
	v_mad_u64_u32 v[0:1], s[4:5], s24, v3, 0
	v_mov_b32_e32 v2, v1
	v_mad_u64_u32 v[2:3], s[4:5], s25, v3, v[2:3]
	v_mov_b32_e32 v1, v2
	v_sub_co_u32_e32 v6, vcc, v0, v12
	v_add_u32_e32 v3, 0x288, v5
	v_subb_co_u32_e32 v7, vcc, v1, v13, vcc
	v_mad_u64_u32 v[0:1], s[4:5], s24, v3, 0
	v_mov_b32_e32 v2, v1
	v_mad_u64_u32 v[2:3], s[4:5], s25, v3, v[2:3]
	v_mov_b32_e32 v1, v2
	v_sub_co_u32_e32 v8, vcc, v0, v12
	v_add_u32_e32 v3, 0x280, v5
	v_subb_co_u32_e32 v9, vcc, v1, v13, vcc
	;; [unrolled: 7-line block ×3, first 2 shown]
	v_mad_u64_u32 v[0:1], s[4:5], s24, v3, 0
	v_mov_b32_e32 v2, v1
	v_add_co_u32_e32 v58, vcc, v16, v6
	v_mad_u64_u32 v[2:3], s[4:5], s25, v3, v[2:3]
	v_addc_co_u32_e32 v57, vcc, v17, v7, vcc
	v_mov_b32_e32 v1, v2
	v_sub_co_u32_e32 v0, vcc, v0, v12
	v_subb_co_u32_e32 v1, vcc, v1, v13, vcc
	v_add_co_u32_e32 v60, vcc, v16, v8
	v_addc_co_u32_e32 v59, vcc, v17, v9, vcc
	v_add_co_u32_e32 v62, vcc, v16, v10
	v_addc_co_u32_e32 v61, vcc, v17, v11, vcc
	v_add_co_u32_e32 v64, vcc, v16, v0
	s_movk_i32 s4, 0x860
	v_mul_i32_i24_e32 v0, 0xffffffe8, v4
	v_lshlrev_b32_e32 v129, 2, v120
	v_cmp_gt_u32_e64 s[2:3], 64, v22
	v_addc_co_u32_e32 v63, vcc, v17, v1, vcc
	s_add_i32 s27, s7, -2
	v_add_u32_e32 v127, 0x2180, v5
	s_add_i32 s26, s26, 64
	s_lshl_b64 s[10:11], s[24:25], 9
	v_add_u32_e32 v128, v125, v0
	v_add_u32_e32 v130, 0x2180, v32
	;; [unrolled: 1-line block ×3, first 2 shown]
	v_or_b32_e32 v132, 1, v129
	v_or_b32_e32 v133, 2, v129
	;; [unrolled: 1-line block ×3, first 2 shown]
	v_mad_u32_u24 v135, v120, s4, v32
	v_add_u32_e32 v136, 16, v129
	v_add_u32_e32 v137, 17, v129
	;; [unrolled: 1-line block ×12, first 2 shown]
	v_mov_b32_e32 v66, 0
	s_branch .LBB182_97
.LBB182_96:                             ;   in Loop: Header=BB182_97 Depth=1
	s_or_b64 exec, exec, s[4:5]
	v_mul_f32_e32 v0, v77, v69
	v_fma_f32 v0, v76, v68, -v0
	v_mul_f32_e32 v2, v79, v71
	v_add_f32_e32 v0, v30, v0
	v_fma_f32 v2, v78, v70, -v2
	v_add_f32_e32 v0, v0, v2
	v_mul_f32_e32 v2, v81, v73
	v_fma_f32 v2, v80, v72, -v2
	v_mul_f32_e32 v1, v77, v68
	v_add_f32_e32 v0, v0, v2
	v_mul_f32_e32 v2, v83, v75
	v_mul_f32_e32 v3, v79, v70
	v_fma_f32 v2, v82, v74, -v2
	v_fmac_f32_e32 v1, v76, v69
	v_mul_f32_e32 v4, v81, v72
	v_add_f32_e32 v0, v0, v2
	v_add_f32_e32 v1, v31, v1
	v_fmac_f32_e32 v3, v78, v71
	v_mul_f32_e32 v2, v93, v85
	v_mul_f32_e32 v5, v83, v74
	v_add_f32_e32 v1, v1, v3
	v_fmac_f32_e32 v4, v80, v73
	v_fma_f32 v2, v92, v84, -v2
	v_add_f32_e32 v1, v1, v4
	v_fmac_f32_e32 v5, v82, v75
	v_mul_f32_e32 v6, v93, v84
	v_add_f32_e32 v0, v0, v2
	v_mul_f32_e32 v2, v95, v87
	v_add_f32_e32 v1, v1, v5
	v_fma_f32 v2, v94, v86, -v2
	v_mul_f32_e32 v7, v95, v86
	v_fmac_f32_e32 v6, v92, v85
	v_add_f32_e32 v0, v0, v2
	v_mul_f32_e32 v2, v97, v89
	v_mul_f32_e32 v3, v97, v88
	v_add_f32_e32 v1, v1, v6
	v_fmac_f32_e32 v7, v94, v87
	v_fma_f32 v2, v96, v88, -v2
	v_add_f32_e32 v1, v1, v7
	v_fmac_f32_e32 v3, v96, v89
	v_mul_f32_e32 v4, v99, v91
	v_mul_f32_e32 v5, v99, v90
	v_pk_add_f32 v[0:1], v[0:1], v[2:3]
	v_mov_b32_e32 v2, v101
	v_fma_f32 v4, v98, v90, -v4
	v_fmac_f32_e32 v5, v98, v91
	v_pk_mul_f32 v[2:3], v[108:109], v[2:3] op_sel_hi:[1,0]
	v_pk_add_f32 v[0:1], v[0:1], v[4:5]
	v_pk_fma_f32 v[4:5], v[108:109], v[100:101], v[2:3] op_sel:[0,0,1] op_sel_hi:[1,1,0] neg_lo:[0,0,1] neg_hi:[0,0,1]
	v_pk_fma_f32 v[2:3], v[108:109], v[100:101], v[2:3] op_sel:[0,0,1] op_sel_hi:[1,0,0]
	v_mov_b32_e32 v2, v103
	v_mov_b32_e32 v5, v3
	v_pk_mul_f32 v[2:3], v[8:9], v[2:3] op_sel_hi:[1,0]
	v_pk_add_f32 v[0:1], v[0:1], v[4:5]
	v_pk_fma_f32 v[4:5], v[8:9], v[102:103], v[2:3] op_sel:[0,0,1] op_sel_hi:[1,1,0] neg_lo:[0,0,1] neg_hi:[0,0,1]
	v_pk_fma_f32 v[2:3], v[8:9], v[102:103], v[2:3] op_sel:[0,0,1] op_sel_hi:[1,0,0]
	v_mov_b32_e32 v2, v105
	v_mov_b32_e32 v5, v3
	;; [unrolled: 6-line block ×5, first 2 shown]
	v_pk_mul_f32 v[2:3], v[18:19], v[2:3] op_sel_hi:[1,0]
	v_pk_fma_f32 v[6:7], v[18:19], v[114:115], v[2:3] op_sel:[0,0,1] op_sel_hi:[1,1,0] neg_lo:[0,0,1] neg_hi:[0,0,1]
	v_pk_fma_f32 v[2:3], v[18:19], v[114:115], v[2:3] op_sel:[0,0,1] op_sel_hi:[1,0,0]
	v_mov_b32_e32 v2, v117
	v_mov_b32_e32 v7, v3
	v_pk_mul_f32 v[2:3], v[12:13], v[2:3] op_sel_hi:[1,0]
	v_pk_fma_f32 v[8:9], v[12:13], v[116:117], v[2:3] op_sel:[0,0,1] op_sel_hi:[1,1,0] neg_lo:[0,0,1] neg_hi:[0,0,1]
	v_pk_fma_f32 v[2:3], v[12:13], v[116:117], v[2:3] op_sel:[0,0,1] op_sel_hi:[1,0,0]
	v_mov_b32_e32 v2, v119
	v_mov_b32_e32 v9, v3
	v_pk_mul_f32 v[2:3], v[14:15], v[2:3] op_sel_hi:[1,0]
	v_pk_add_f32 v[0:1], v[0:1], v[4:5]
	v_pk_fma_f32 v[10:11], v[14:15], v[118:119], v[2:3] op_sel:[0,0,1] op_sel_hi:[1,1,0] neg_lo:[0,0,1] neg_hi:[0,0,1]
	v_pk_fma_f32 v[2:3], v[14:15], v[118:119], v[2:3] op_sel:[0,0,1] op_sel_hi:[1,0,0]
	v_pk_add_f32 v[0:1], v[0:1], v[6:7]
	v_mov_b32_e32 v11, v3
	v_pk_add_f32 v[0:1], v[0:1], v[8:9]
	v_pk_add_f32 v[30:31], v[0:1], v[10:11]
	v_mov_b32_e32 v0, s11
	v_add_co_u32_e32 v34, vcc, s10, v34
	v_addc_co_u32_e32 v33, vcc, v33, v0, vcc
	v_add_co_u32_e32 v36, vcc, s10, v36
	v_addc_co_u32_e32 v35, vcc, v35, v0, vcc
	;; [unrolled: 2-line block ×15, first 2 shown]
	s_add_i32 s4, s6, 1
	s_add_i32 s26, s26, 64
	;; [unrolled: 1-line block ×3, first 2 shown]
	v_add_co_u32_e32 v64, vcc, s10, v64
	v_addc_co_u32_e32 v63, vcc, v63, v0, vcc
	s_cmp_ge_u32 s5, s7
	s_mov_b32 s6, s4
	s_barrier
	s_cbranch_scc1 .LBB182_152
.LBB182_97:                             ; =>This Inner Loop Header: Depth=1
	s_cmp_eq_u32 s27, s6
	s_cselect_b32 s24, s29, 0
	s_and_saveexec_b64 s[4:5], s[0:1]
	s_cbranch_execz .LBB182_102
; %bb.98:                               ;   in Loop: Header=BB182_97 Depth=1
	s_cmp_lg_u32 s24, 0
	s_cselect_b64 s[8:9], -1, 0
	v_cmp_le_i32_e32 vcc, s24, v65
	s_and_b64 s[8:9], s[8:9], vcc
	s_and_saveexec_b64 s[12:13], s[8:9]
	s_xor_b64 s[8:9], exec, s[12:13]
	s_cbranch_execz .LBB182_100
; %bb.99:                               ;   in Loop: Header=BB182_97 Depth=1
	v_mov_b32_e32 v67, v66
	ds_write_b64 v130, v[66:67]
.LBB182_100:                            ;   in Loop: Header=BB182_97 Depth=1
	s_andn2_saveexec_b64 s[8:9], s[8:9]
	s_cbranch_execz .LBB182_102
; %bb.101:                              ;   in Loop: Header=BB182_97 Depth=1
	s_ashr_i32 s8, s26, 31
	s_mul_i32 s9, s26, s19
	s_mul_hi_u32 s12, s26, s18
	s_add_i32 s9, s12, s9
	s_mul_i32 s8, s8, s18
	s_add_i32 s9, s9, s8
	s_mul_i32 s8, s26, s18
	s_lshl_b64 s[8:9], s[8:9], 3
	v_mov_b32_e32 v1, s9
	v_add_co_u32_e32 v0, vcc, s8, v121
	v_addc_co_u32_e32 v1, vcc, v122, v1, vcc
	flat_load_dwordx2 v[0:1], v[0:1]
	s_waitcnt vmcnt(0) lgkmcnt(0)
	ds_write_b64 v130, v[0:1]
.LBB182_102:                            ;   in Loop: Header=BB182_97 Depth=1
	s_or_b64 exec, exec, s[4:5]
	s_cmp_eq_u32 s24, 0
	v_add_co_u32_e32 v0, vcc, v38, v32
	s_cselect_b64 s[12:13], -1, 0
	s_cmp_lg_u32 s24, 0
	v_addc_co_u32_e32 v1, vcc, 0, v37, vcc
	s_cselect_b64 s[8:9], -1, 0
	s_and_b64 vcc, exec, s[8:9]
	s_waitcnt lgkmcnt(0)
	s_barrier
	s_cbranch_vccz .LBB182_110
; %bb.103:                              ;   in Loop: Header=BB182_97 Depth=1
	v_pk_mov_b32 v[70:71], 0, 0
	v_cmp_gt_i32_e32 vcc, s24, v129
	v_pk_mov_b32 v[68:69], v[70:71], v[70:71] op_sel:[0,1]
	s_and_saveexec_b64 s[4:5], vcc
	s_cbranch_execz .LBB182_105
; %bb.104:                              ;   in Loop: Header=BB182_97 Depth=1
	flat_load_dwordx2 v[68:69], v[0:1]
.LBB182_105:                            ;   in Loop: Header=BB182_97 Depth=1
	s_or_b64 exec, exec, s[4:5]
	v_cmp_gt_i32_e32 vcc, s24, v132
	s_and_saveexec_b64 s[4:5], vcc
	s_cbranch_execz .LBB182_107
; %bb.106:                              ;   in Loop: Header=BB182_97 Depth=1
	v_add_co_u32_e32 v2, vcc, v36, v32
	v_addc_co_u32_e32 v3, vcc, 0, v35, vcc
	flat_load_dwordx2 v[70:71], v[2:3]
.LBB182_107:                            ;   in Loop: Header=BB182_97 Depth=1
	s_or_b64 exec, exec, s[4:5]
	v_cmp_gt_i32_e32 vcc, s24, v133
	v_pk_mov_b32 v[72:73], 0, 0
	s_and_saveexec_b64 s[4:5], vcc
	s_cbranch_execz .LBB182_109
; %bb.108:                              ;   in Loop: Header=BB182_97 Depth=1
	v_add_co_u32_e32 v2, vcc, v34, v32
	v_addc_co_u32_e32 v3, vcc, 0, v33, vcc
	flat_load_dwordx2 v[72:73], v[2:3]
.LBB182_109:                            ;   in Loop: Header=BB182_97 Depth=1
	s_or_b64 exec, exec, s[4:5]
	v_cmp_gt_i32_e64 s[4:5], s24, v134
	s_mov_b64 s[14:15], 0
	s_branch .LBB182_112
.LBB182_110:                            ;   in Loop: Header=BB182_97 Depth=1
	s_mov_b64 s[4:5], 0
                                        ; implicit-def: $sgpr14_sgpr15
                                        ; implicit-def: $vgpr72_vgpr73
                                        ; implicit-def: $vgpr70_vgpr71
                                        ; implicit-def: $vgpr68_vgpr69
	s_cbranch_execz .LBB182_112
; %bb.111:                              ;   in Loop: Header=BB182_97 Depth=1
	s_waitcnt vmcnt(0) lgkmcnt(0)
	flat_load_dwordx2 v[68:69], v[0:1]
	v_add_co_u32_e32 v0, vcc, v36, v32
	v_addc_co_u32_e32 v1, vcc, 0, v35, vcc
	flat_load_dwordx2 v[70:71], v[0:1]
	v_add_co_u32_e32 v0, vcc, v34, v32
	v_addc_co_u32_e32 v1, vcc, 0, v33, vcc
	flat_load_dwordx2 v[72:73], v[0:1]
	s_or_b64 s[4:5], s[4:5], exec
                                        ; implicit-def: $sgpr14_sgpr15
.LBB182_112:                            ;   in Loop: Header=BB182_97 Depth=1
	v_pk_mov_b32 v[74:75], s[14:15], s[14:15] op_sel:[0,1]
	s_and_saveexec_b64 s[14:15], s[4:5]
	s_cbranch_execz .LBB182_114
; %bb.113:                              ;   in Loop: Header=BB182_97 Depth=1
	v_add_co_u32_e32 v0, vcc, v40, v32
	v_addc_co_u32_e32 v1, vcc, 0, v39, vcc
	flat_load_dwordx2 v[74:75], v[0:1]
.LBB182_114:                            ;   in Loop: Header=BB182_97 Depth=1
	s_or_b64 exec, exec, s[14:15]
	ds_read_b64 v[0:1], v131
	ds_read_b64 v[76:77], v127
	v_cndmask_b32_e64 v8, 0, 1, s[8:9]
	v_cmp_ne_u32_e64 s[4:5], 1, v8
	s_andn2_b64 vcc, exec, s[8:9]
	s_waitcnt vmcnt(0) lgkmcnt(0)
	v_mul_f32_e32 v2, v1, v69
	v_mul_f32_e32 v3, v1, v68
	v_fma_f32 v2, v0, v68, -v2
	v_fmac_f32_e32 v3, v0, v69
	v_mul_f32_e32 v4, v1, v71
	ds_write_b64 v135, v[2:3]
	v_mul_f32_e32 v3, v1, v70
	v_fma_f32 v2, v0, v70, -v4
	v_fmac_f32_e32 v3, v0, v71
	ds_read_b64 v[78:79], v127 offset:8
	ds_write_b64 v135, v[2:3] offset:536
	v_mul_f32_e32 v2, v1, v73
	v_mul_f32_e32 v3, v1, v72
	v_fma_f32 v2, v0, v72, -v2
	v_fmac_f32_e32 v3, v0, v73
	ds_read_b64 v[80:81], v127 offset:16
	ds_write_b64 v135, v[2:3] offset:1072
	v_mul_f32_e32 v2, v1, v75
	v_mul_f32_e32 v3, v0, v75
	v_fma_f32 v2, v0, v74, -v2
	v_fmac_f32_e32 v3, v1, v74
	ds_read_b64 v[82:83], v127 offset:24
	ds_write_b64 v135, v[2:3] offset:1608
	s_waitcnt lgkmcnt(0)
	s_barrier
	ds_read2_b64 v[4:7], v125 offset1:1
	ds_read2_b64 v[0:3], v125 offset0:2 offset1:3
	v_add_co_u32_e64 v8, s[8:9], v46, v32
	v_addc_co_u32_e64 v9, s[8:9], 0, v45, s[8:9]
	s_waitcnt lgkmcnt(0)
	s_barrier
	s_cbranch_vccnz .LBB182_122
; %bb.115:                              ;   in Loop: Header=BB182_97 Depth=1
	v_pk_mov_b32 v[86:87], 0, 0
	v_cmp_gt_i32_e32 vcc, s24, v136
	v_pk_mov_b32 v[84:85], v[86:87], v[86:87] op_sel:[0,1]
	s_and_saveexec_b64 s[8:9], vcc
	s_cbranch_execz .LBB182_117
; %bb.116:                              ;   in Loop: Header=BB182_97 Depth=1
	flat_load_dwordx2 v[84:85], v[8:9]
.LBB182_117:                            ;   in Loop: Header=BB182_97 Depth=1
	s_or_b64 exec, exec, s[8:9]
	v_cmp_gt_i32_e32 vcc, s24, v137
	s_and_saveexec_b64 s[8:9], vcc
	s_cbranch_execz .LBB182_119
; %bb.118:                              ;   in Loop: Header=BB182_97 Depth=1
	v_add_co_u32_e32 v10, vcc, v44, v32
	v_addc_co_u32_e32 v11, vcc, 0, v43, vcc
	flat_load_dwordx2 v[86:87], v[10:11]
.LBB182_119:                            ;   in Loop: Header=BB182_97 Depth=1
	s_or_b64 exec, exec, s[8:9]
	v_cmp_gt_i32_e32 vcc, s24, v138
	v_pk_mov_b32 v[88:89], 0, 0
	s_and_saveexec_b64 s[8:9], vcc
	s_cbranch_execz .LBB182_121
; %bb.120:                              ;   in Loop: Header=BB182_97 Depth=1
	v_add_co_u32_e32 v10, vcc, v42, v32
	v_addc_co_u32_e32 v11, vcc, 0, v41, vcc
	flat_load_dwordx2 v[88:89], v[10:11]
.LBB182_121:                            ;   in Loop: Header=BB182_97 Depth=1
	s_or_b64 exec, exec, s[8:9]
	v_cmp_gt_i32_e64 s[8:9], s24, v139
	s_mov_b64 s[14:15], 0
	s_branch .LBB182_124
.LBB182_122:                            ;   in Loop: Header=BB182_97 Depth=1
	s_mov_b64 s[8:9], 0
                                        ; implicit-def: $sgpr14_sgpr15
                                        ; implicit-def: $vgpr88_vgpr89
                                        ; implicit-def: $vgpr86_vgpr87
                                        ; implicit-def: $vgpr84_vgpr85
	s_cbranch_execz .LBB182_124
; %bb.123:                              ;   in Loop: Header=BB182_97 Depth=1
	s_waitcnt vmcnt(0) lgkmcnt(0)
	flat_load_dwordx2 v[84:85], v[8:9]
	v_add_co_u32_e32 v8, vcc, v44, v32
	v_addc_co_u32_e32 v9, vcc, 0, v43, vcc
	flat_load_dwordx2 v[86:87], v[8:9]
	v_add_co_u32_e32 v8, vcc, v42, v32
	v_addc_co_u32_e32 v9, vcc, 0, v41, vcc
	flat_load_dwordx2 v[88:89], v[8:9]
	s_or_b64 s[8:9], s[8:9], exec
                                        ; implicit-def: $sgpr14_sgpr15
.LBB182_124:                            ;   in Loop: Header=BB182_97 Depth=1
	v_pk_mov_b32 v[90:91], s[14:15], s[14:15] op_sel:[0,1]
	s_and_saveexec_b64 s[14:15], s[8:9]
	s_cbranch_execz .LBB182_126
; %bb.125:                              ;   in Loop: Header=BB182_97 Depth=1
	v_add_co_u32_e32 v8, vcc, v48, v32
	v_addc_co_u32_e32 v9, vcc, 0, v47, vcc
	flat_load_dwordx2 v[90:91], v[8:9]
.LBB182_126:                            ;   in Loop: Header=BB182_97 Depth=1
	s_or_b64 exec, exec, s[14:15]
	ds_read_b64 v[8:9], v131
	ds_read_b64 v[92:93], v127 offset:128
	s_and_b64 vcc, exec, s[4:5]
	s_waitcnt vmcnt(0) lgkmcnt(0)
	v_mul_f32_e32 v10, v9, v85
	v_mul_f32_e32 v11, v9, v84
	v_fma_f32 v10, v8, v84, -v10
	v_fmac_f32_e32 v11, v8, v85
	v_mul_f32_e32 v12, v9, v87
	ds_write_b64 v135, v[10:11]
	v_mul_f32_e32 v11, v9, v86
	v_fma_f32 v10, v8, v86, -v12
	v_fmac_f32_e32 v11, v8, v87
	ds_read_b64 v[94:95], v127 offset:136
	ds_write_b64 v135, v[10:11] offset:536
	v_mul_f32_e32 v10, v9, v89
	v_mul_f32_e32 v11, v9, v88
	v_fma_f32 v10, v8, v88, -v10
	v_fmac_f32_e32 v11, v8, v89
	ds_read_b64 v[96:97], v127 offset:144
	ds_write_b64 v135, v[10:11] offset:1072
	v_mul_f32_e32 v10, v9, v91
	v_mul_f32_e32 v11, v8, v91
	v_fma_f32 v10, v8, v90, -v10
	v_fmac_f32_e32 v11, v9, v90
	ds_read_b64 v[98:99], v127 offset:152
	ds_write_b64 v135, v[10:11] offset:1608
	s_waitcnt lgkmcnt(0)
	s_barrier
	ds_read2_b64 v[16:19], v125 offset1:1
	ds_read2_b64 v[12:15], v125 offset0:2 offset1:3
	v_add_co_u32_e64 v8, s[8:9], v54, v32
	v_addc_co_u32_e64 v9, s[8:9], 0, v53, s[8:9]
	s_waitcnt lgkmcnt(0)
	s_barrier
	s_cbranch_vccnz .LBB182_134
; %bb.127:                              ;   in Loop: Header=BB182_97 Depth=1
	v_pk_mov_b32 v[102:103], 0, 0
	v_cmp_gt_i32_e32 vcc, s24, v140
	v_pk_mov_b32 v[100:101], v[102:103], v[102:103] op_sel:[0,1]
	s_and_saveexec_b64 s[8:9], vcc
	s_cbranch_execz .LBB182_129
; %bb.128:                              ;   in Loop: Header=BB182_97 Depth=1
	flat_load_dwordx2 v[100:101], v[8:9]
.LBB182_129:                            ;   in Loop: Header=BB182_97 Depth=1
	s_or_b64 exec, exec, s[8:9]
	v_cmp_gt_i32_e32 vcc, s24, v141
	s_and_saveexec_b64 s[8:9], vcc
	s_cbranch_execz .LBB182_131
; %bb.130:                              ;   in Loop: Header=BB182_97 Depth=1
	v_add_co_u32_e32 v10, vcc, v52, v32
	v_addc_co_u32_e32 v11, vcc, 0, v51, vcc
	flat_load_dwordx2 v[102:103], v[10:11]
.LBB182_131:                            ;   in Loop: Header=BB182_97 Depth=1
	s_or_b64 exec, exec, s[8:9]
	v_cmp_gt_i32_e32 vcc, s24, v142
	v_pk_mov_b32 v[104:105], 0, 0
	s_and_saveexec_b64 s[8:9], vcc
	s_cbranch_execz .LBB182_133
; %bb.132:                              ;   in Loop: Header=BB182_97 Depth=1
	v_add_co_u32_e32 v10, vcc, v50, v32
	v_addc_co_u32_e32 v11, vcc, 0, v49, vcc
	flat_load_dwordx2 v[104:105], v[10:11]
.LBB182_133:                            ;   in Loop: Header=BB182_97 Depth=1
	s_or_b64 exec, exec, s[8:9]
	v_cmp_gt_i32_e64 s[8:9], s24, v143
	s_mov_b64 s[14:15], 0
	s_branch .LBB182_136
.LBB182_134:                            ;   in Loop: Header=BB182_97 Depth=1
	s_mov_b64 s[8:9], 0
                                        ; implicit-def: $sgpr14_sgpr15
                                        ; implicit-def: $vgpr104_vgpr105
                                        ; implicit-def: $vgpr102_vgpr103
                                        ; implicit-def: $vgpr100_vgpr101
	s_cbranch_execz .LBB182_136
; %bb.135:                              ;   in Loop: Header=BB182_97 Depth=1
	s_waitcnt vmcnt(0) lgkmcnt(0)
	flat_load_dwordx2 v[100:101], v[8:9]
	v_add_co_u32_e32 v8, vcc, v52, v32
	v_addc_co_u32_e32 v9, vcc, 0, v51, vcc
	flat_load_dwordx2 v[102:103], v[8:9]
	v_add_co_u32_e32 v8, vcc, v50, v32
	v_addc_co_u32_e32 v9, vcc, 0, v49, vcc
	flat_load_dwordx2 v[104:105], v[8:9]
	s_or_b64 s[8:9], s[8:9], exec
                                        ; implicit-def: $sgpr14_sgpr15
.LBB182_136:                            ;   in Loop: Header=BB182_97 Depth=1
	v_pk_mov_b32 v[106:107], s[14:15], s[14:15] op_sel:[0,1]
	s_and_saveexec_b64 s[14:15], s[8:9]
	s_cbranch_execz .LBB182_138
; %bb.137:                              ;   in Loop: Header=BB182_97 Depth=1
	v_add_co_u32_e32 v8, vcc, v56, v32
	v_addc_co_u32_e32 v9, vcc, 0, v55, vcc
	flat_load_dwordx2 v[106:107], v[8:9]
.LBB182_138:                            ;   in Loop: Header=BB182_97 Depth=1
	s_or_b64 exec, exec, s[14:15]
	ds_read_b64 v[8:9], v131
	ds_read_b64 v[108:109], v127 offset:256
	s_and_b64 vcc, exec, s[4:5]
	v_add_co_u32_e64 v118, s[4:5], v62, v32
	s_waitcnt vmcnt(0) lgkmcnt(0)
	v_mul_f32_e32 v10, v9, v101
	v_mul_f32_e32 v11, v9, v100
	;; [unrolled: 1-line block ×4, first 2 shown]
	v_fma_f32 v10, v8, v100, -v10
	v_fmac_f32_e32 v11, v8, v101
	v_fma_f32 v20, v8, v102, -v20
	v_fmac_f32_e32 v21, v8, v103
	ds_write2_b64 v135, v[10:11], v[20:21] offset1:67
	v_mul_f32_e32 v10, v9, v105
	v_mul_f32_e32 v11, v9, v104
	;; [unrolled: 1-line block ×4, first 2 shown]
	v_fma_f32 v10, v8, v104, -v10
	v_fmac_f32_e32 v11, v8, v105
	v_fma_f32 v20, v8, v106, -v20
	v_fmac_f32_e32 v21, v9, v106
	ds_write2_b64 v135, v[10:11], v[20:21] offset0:134 offset1:201
	ds_read2_b64 v[8:11], v127 offset0:33 offset1:34
	ds_read_b64 v[110:111], v127 offset:280
	s_waitcnt lgkmcnt(0)
	s_barrier
	ds_read2_b64 v[24:27], v125 offset1:1
	ds_read2_b64 v[20:23], v125 offset0:2 offset1:3
	v_addc_co_u32_e64 v119, s[4:5], 0, v61, s[4:5]
	s_waitcnt lgkmcnt(0)
	s_barrier
	s_cbranch_vccnz .LBB182_146
; %bb.139:                              ;   in Loop: Header=BB182_97 Depth=1
	v_pk_mov_b32 v[114:115], 0, 0
	v_cmp_gt_i32_e32 vcc, s24, v144
	v_pk_mov_b32 v[112:113], v[114:115], v[114:115] op_sel:[0,1]
	s_and_saveexec_b64 s[4:5], vcc
	s_cbranch_execz .LBB182_141
; %bb.140:                              ;   in Loop: Header=BB182_97 Depth=1
	flat_load_dwordx2 v[112:113], v[118:119]
.LBB182_141:                            ;   in Loop: Header=BB182_97 Depth=1
	s_or_b64 exec, exec, s[4:5]
	v_cmp_gt_i32_e32 vcc, s24, v145
	s_and_saveexec_b64 s[4:5], vcc
	s_cbranch_execz .LBB182_143
; %bb.142:                              ;   in Loop: Header=BB182_97 Depth=1
	v_add_co_u32_e32 v114, vcc, v60, v32
	v_addc_co_u32_e32 v115, vcc, 0, v59, vcc
	flat_load_dwordx2 v[114:115], v[114:115]
.LBB182_143:                            ;   in Loop: Header=BB182_97 Depth=1
	s_or_b64 exec, exec, s[4:5]
	v_cmp_gt_i32_e32 vcc, s24, v146
	v_pk_mov_b32 v[116:117], 0, 0
	s_and_saveexec_b64 s[4:5], vcc
	s_cbranch_execz .LBB182_145
; %bb.144:                              ;   in Loop: Header=BB182_97 Depth=1
	v_add_co_u32_e32 v116, vcc, v58, v32
	v_addc_co_u32_e32 v117, vcc, 0, v57, vcc
	flat_load_dwordx2 v[116:117], v[116:117]
.LBB182_145:                            ;   in Loop: Header=BB182_97 Depth=1
	s_or_b64 exec, exec, s[4:5]
	v_cmp_gt_i32_e64 s[4:5], s24, v147
	s_mov_b64 s[8:9], 0
	s_branch .LBB182_148
.LBB182_146:                            ;   in Loop: Header=BB182_97 Depth=1
	s_mov_b64 s[4:5], 0
                                        ; implicit-def: $sgpr8_sgpr9
                                        ; implicit-def: $vgpr116_vgpr117
                                        ; implicit-def: $vgpr114_vgpr115
                                        ; implicit-def: $vgpr112_vgpr113
	s_cbranch_execz .LBB182_148
; %bb.147:                              ;   in Loop: Header=BB182_97 Depth=1
	s_waitcnt vmcnt(0) lgkmcnt(0)
	v_add_co_u32_e32 v114, vcc, v60, v32
	v_addc_co_u32_e32 v115, vcc, 0, v59, vcc
	v_add_co_u32_e32 v116, vcc, v58, v32
	v_addc_co_u32_e32 v117, vcc, 0, v57, vcc
	flat_load_dwordx2 v[112:113], v[118:119]
	s_or_b64 s[4:5], s[4:5], exec
	flat_load_dwordx2 v[114:115], v[114:115]
                                        ; implicit-def: $sgpr8_sgpr9
	s_nop 0
	flat_load_dwordx2 v[116:117], v[116:117]
.LBB182_148:                            ;   in Loop: Header=BB182_97 Depth=1
	v_pk_mov_b32 v[118:119], s[8:9], s[8:9] op_sel:[0,1]
	s_and_saveexec_b64 s[8:9], s[4:5]
	s_cbranch_execz .LBB182_150
; %bb.149:                              ;   in Loop: Header=BB182_97 Depth=1
	v_add_co_u32_e32 v118, vcc, v64, v32
	v_addc_co_u32_e32 v119, vcc, 0, v63, vcc
	flat_load_dwordx2 v[118:119], v[118:119]
.LBB182_150:                            ;   in Loop: Header=BB182_97 Depth=1
	s_or_b64 exec, exec, s[8:9]
	v_pk_add_f32 v[24:25], v[24:25], 0 op_sel_hi:[1,0]
	v_pk_add_f32 v[24:25], v[24:25], v[26:27]
	v_pk_add_f32 v[20:21], v[24:25], v[20:21]
	;; [unrolled: 1-line block ×3, first 2 shown]
	ds_read_b64 v[20:21], v131
	v_pk_add_f32 v[16:17], v[16:17], 0 op_sel_hi:[1,0]
	v_pk_add_f32 v[16:17], v[16:17], v[18:19]
	v_pk_add_f32 v[12:13], v[16:17], v[12:13]
	;; [unrolled: 1-line block ×3, first 2 shown]
	s_waitcnt vmcnt(0) lgkmcnt(0)
	v_mul_f32_e32 v12, v21, v113
	v_mul_f32_e32 v13, v21, v112
	v_mul_f32_e32 v14, v21, v115
	v_mul_f32_e32 v15, v21, v114
	v_fma_f32 v12, v20, v112, -v12
	v_fmac_f32_e32 v13, v20, v113
	v_fma_f32 v14, v20, v114, -v14
	v_fmac_f32_e32 v15, v20, v115
	ds_write2_b64 v135, v[12:13], v[14:15] offset1:67
	v_mul_f32_e32 v12, v21, v117
	v_mul_f32_e32 v13, v21, v116
	v_mul_f32_e32 v14, v21, v119
	v_mul_f32_e32 v15, v20, v119
	v_fma_f32 v12, v20, v116, -v12
	v_fmac_f32_e32 v13, v20, v117
	v_fma_f32 v14, v20, v118, -v14
	v_fmac_f32_e32 v15, v21, v118
	ds_write2_b64 v135, v[12:13], v[14:15] offset0:134 offset1:201
	ds_read_b128 v[16:19], v127 offset:384
	ds_read_b128 v[12:15], v127 offset:400
	s_waitcnt lgkmcnt(0)
	s_barrier
	ds_read2_b64 v[20:23], v125 offset1:1
	v_pk_add_f32 v[4:5], v[4:5], 0 op_sel_hi:[1,0]
	v_pk_add_f32 v[148:149], v[4:5], v[6:7]
	ds_read2_b64 v[4:7], v125 offset0:2 offset1:3
	v_pk_add_f32 v[0:1], v[148:149], v[0:1]
	v_pk_add_f32 v[0:1], v[0:1], v[2:3]
	s_waitcnt lgkmcnt(1)
	v_pk_add_f32 v[2:3], v[20:21], 0 op_sel_hi:[1,0]
	v_cmp_gt_i32_e32 vcc, s24, v65
	v_pk_add_f32 v[2:3], v[2:3], v[22:23]
	s_or_b64 s[4:5], s[12:13], vcc
	s_waitcnt lgkmcnt(0)
	v_pk_add_f32 v[2:3], v[2:3], v[4:5]
	s_and_b64 s[8:9], s[2:3], s[4:5]
	v_pk_add_f32 v[2:3], v[2:3], v[6:7]
	s_barrier
	ds_write2_b64 v128, v[0:1], v[26:27] offset1:16
	ds_write2_b64 v128, v[24:25], v[2:3] offset0:32 offset1:48
	s_waitcnt lgkmcnt(0)
	s_barrier
	s_and_saveexec_b64 s[4:5], s[8:9]
	s_cbranch_execz .LBB182_96
; %bb.151:                              ;   in Loop: Header=BB182_97 Depth=1
	ds_read_b64 v[20:21], v123
	ds_read2_b64 v[0:3], v123 offset0:1 offset1:2
	ds_read2_b64 v[4:7], v123 offset0:3 offset1:4
	v_mov_b32_e32 v25, s28
	s_waitcnt lgkmcnt(1)
	v_add_f32_e32 v0, v0, v20
	v_add_f32_e32 v1, v1, v21
	;; [unrolled: 1-line block ×4, first 2 shown]
	ds_read2_b64 v[0:3], v123 offset0:5 offset1:6
	s_waitcnt lgkmcnt(1)
	v_add_f32_e32 v4, v20, v4
	v_add_f32_e32 v5, v21, v5
	v_add_f32_e32 v20, v4, v6
	v_add_u32_e32 v4, s26, v126
	v_add_f32_e32 v21, v5, v7
	v_ashrrev_i32_e32 v5, 31, v4
	v_lshlrev_b64 v[22:23], 3, v[4:5]
	ds_read2_b64 v[4:7], v123 offset0:7 offset1:8
	v_add_co_u32_e32 v24, vcc, s21, v22
	v_addc_co_u32_e32 v25, vcc, v25, v23, vcc
	s_waitcnt lgkmcnt(1)
	v_pk_add_f32 v[0:1], v[20:21], v[0:1]
	ds_read2_b64 v[20:23], v123 offset0:9 offset1:10
	v_pk_add_f32 v[0:1], v[0:1], v[2:3]
	s_waitcnt lgkmcnt(1)
	v_pk_add_f32 v[0:1], v[0:1], v[4:5]
	v_pk_add_f32 v[4:5], v[0:1], v[6:7]
	ds_read2_b64 v[0:3], v123 offset0:11 offset1:12
	s_waitcnt lgkmcnt(1)
	v_pk_add_f32 v[20:21], v[4:5], v[20:21]
	ds_read2_b64 v[4:7], v123 offset0:13 offset1:14
	v_pk_add_f32 v[20:21], v[20:21], v[22:23]
	ds_read_b64 v[22:23], v124
	s_waitcnt lgkmcnt(2)
	v_pk_add_f32 v[0:1], v[20:21], v[0:1]
	v_pk_add_f32 v[0:1], v[0:1], v[2:3]
	s_waitcnt lgkmcnt(1)
	v_pk_add_f32 v[0:1], v[0:1], v[4:5]
	v_pk_add_f32 v[0:1], v[0:1], v[6:7]
	s_waitcnt lgkmcnt(0)
	v_pk_add_f32 v[0:1], v[0:1], v[22:23]
	global_store_dwordx2 v[24:25], v[0:1], off
	s_branch .LBB182_96
.LBB182_152:
	s_movk_i32 s2, 0x218
	v_cmp_gt_i32_e32 vcc, s20, v65
	v_mad_u32_u24 v0, v120, s2, v32
	s_or_b64 s[2:3], s[22:23], vcc
	s_and_b64 s[0:1], s[0:1], s[2:3]
	ds_write_b64 v0, v[30:31]
	s_waitcnt lgkmcnt(0)
	s_barrier
	s_and_saveexec_b64 s[2:3], s[0:1]
	s_cbranch_execz .LBB182_154
; %bb.153:
	ds_read2_b64 v[0:3], v32 offset1:67
	ds_read2_b64 v[4:7], v32 offset0:134 offset1:201
	v_lshlrev_b64 v[8:9], 3, v[28:29]
	v_mov_b32_e32 v10, s28
	v_add_co_u32_e32 v8, vcc, s21, v8
	s_waitcnt lgkmcnt(1)
	v_pk_add_f32 v[0:1], v[2:3], v[0:1]
	s_waitcnt lgkmcnt(0)
	v_pk_add_f32 v[0:1], v[0:1], v[4:5]
	v_addc_co_u32_e32 v9, vcc, v10, v9, vcc
	v_pk_add_f32 v[0:1], v[0:1], v[6:7]
	global_store_dwordx2 v[8:9], v[0:1], off
.LBB182_154:
	s_endpgm
	.section	.rodata,"a",@progbits
	.p2align	6, 0x0
	.amdhsa_kernel _ZL26rocblas_hemvn_kernel_upperILb0ELi64ELi4ELi33ELi32ELi16El19rocblas_complex_numIfEPKPKS1_PS1_EviT6_lT7_lT5_lS8_lS9_lS7_lT8_i
		.amdhsa_group_segment_fixed_size 9600
		.amdhsa_private_segment_fixed_size 0
		.amdhsa_kernarg_size 376
		.amdhsa_user_sgpr_count 6
		.amdhsa_user_sgpr_private_segment_buffer 1
		.amdhsa_user_sgpr_dispatch_ptr 0
		.amdhsa_user_sgpr_queue_ptr 0
		.amdhsa_user_sgpr_kernarg_segment_ptr 1
		.amdhsa_user_sgpr_dispatch_id 0
		.amdhsa_user_sgpr_flat_scratch_init 0
		.amdhsa_user_sgpr_kernarg_preload_length 0
		.amdhsa_user_sgpr_kernarg_preload_offset 0
		.amdhsa_user_sgpr_private_segment_size 0
		.amdhsa_uses_dynamic_stack 0
		.amdhsa_system_sgpr_private_segment_wavefront_offset 0
		.amdhsa_system_sgpr_workgroup_id_x 1
		.amdhsa_system_sgpr_workgroup_id_y 0
		.amdhsa_system_sgpr_workgroup_id_z 1
		.amdhsa_system_sgpr_workgroup_info 0
		.amdhsa_system_vgpr_workitem_id 1
		.amdhsa_next_free_vgpr 150
		.amdhsa_next_free_sgpr 42
		.amdhsa_accum_offset 152
		.amdhsa_reserve_vcc 1
		.amdhsa_reserve_flat_scratch 0
		.amdhsa_float_round_mode_32 0
		.amdhsa_float_round_mode_16_64 0
		.amdhsa_float_denorm_mode_32 3
		.amdhsa_float_denorm_mode_16_64 3
		.amdhsa_dx10_clamp 1
		.amdhsa_ieee_mode 1
		.amdhsa_fp16_overflow 0
		.amdhsa_tg_split 0
		.amdhsa_exception_fp_ieee_invalid_op 0
		.amdhsa_exception_fp_denorm_src 0
		.amdhsa_exception_fp_ieee_div_zero 0
		.amdhsa_exception_fp_ieee_overflow 0
		.amdhsa_exception_fp_ieee_underflow 0
		.amdhsa_exception_fp_ieee_inexact 0
		.amdhsa_exception_int_div_zero 0
	.end_amdhsa_kernel
	.section	.text._ZL26rocblas_hemvn_kernel_upperILb0ELi64ELi4ELi33ELi32ELi16El19rocblas_complex_numIfEPKPKS1_PS1_EviT6_lT7_lT5_lS8_lS9_lS7_lT8_i,"axG",@progbits,_ZL26rocblas_hemvn_kernel_upperILb0ELi64ELi4ELi33ELi32ELi16El19rocblas_complex_numIfEPKPKS1_PS1_EviT6_lT7_lT5_lS8_lS9_lS7_lT8_i,comdat
.Lfunc_end182:
	.size	_ZL26rocblas_hemvn_kernel_upperILb0ELi64ELi4ELi33ELi32ELi16El19rocblas_complex_numIfEPKPKS1_PS1_EviT6_lT7_lT5_lS8_lS9_lS7_lT8_i, .Lfunc_end182-_ZL26rocblas_hemvn_kernel_upperILb0ELi64ELi4ELi33ELi32ELi16El19rocblas_complex_numIfEPKPKS1_PS1_EviT6_lT7_lT5_lS8_lS9_lS7_lT8_i
                                        ; -- End function
	.section	.AMDGPU.csdata,"",@progbits
; Kernel info:
; codeLenInByte = 8736
; NumSgprs: 46
; NumVgprs: 150
; NumAgprs: 0
; TotalNumVgprs: 150
; ScratchSize: 0
; MemoryBound: 1
; FloatMode: 240
; IeeeMode: 1
; LDSByteSize: 9600 bytes/workgroup (compile time only)
; SGPRBlocks: 5
; VGPRBlocks: 18
; NumSGPRsForWavesPerEU: 46
; NumVGPRsForWavesPerEU: 150
; AccumOffset: 152
; Occupancy: 3
; WaveLimiterHint : 0
; COMPUTE_PGM_RSRC2:SCRATCH_EN: 0
; COMPUTE_PGM_RSRC2:USER_SGPR: 6
; COMPUTE_PGM_RSRC2:TRAP_HANDLER: 0
; COMPUTE_PGM_RSRC2:TGID_X_EN: 1
; COMPUTE_PGM_RSRC2:TGID_Y_EN: 0
; COMPUTE_PGM_RSRC2:TGID_Z_EN: 1
; COMPUTE_PGM_RSRC2:TIDIG_COMP_CNT: 1
; COMPUTE_PGM_RSRC3_GFX90A:ACCUM_OFFSET: 37
; COMPUTE_PGM_RSRC3_GFX90A:TG_SPLIT: 0
	.section	.text._ZL26rocblas_hemvn_kernel_upperILb0ELi64ELi4ELi33ELi32ELi16Ei19rocblas_complex_numIfEPKPKS1_PS1_EviT6_lT7_lT5_lS8_lS9_lS7_lT8_i,"axG",@progbits,_ZL26rocblas_hemvn_kernel_upperILb0ELi64ELi4ELi33ELi32ELi16Ei19rocblas_complex_numIfEPKPKS1_PS1_EviT6_lT7_lT5_lS8_lS9_lS7_lT8_i,comdat
	.globl	_ZL26rocblas_hemvn_kernel_upperILb0ELi64ELi4ELi33ELi32ELi16Ei19rocblas_complex_numIfEPKPKS1_PS1_EviT6_lT7_lT5_lS8_lS9_lS7_lT8_i ; -- Begin function _ZL26rocblas_hemvn_kernel_upperILb0ELi64ELi4ELi33ELi32ELi16Ei19rocblas_complex_numIfEPKPKS1_PS1_EviT6_lT7_lT5_lS8_lS9_lS7_lT8_i
	.p2align	8
	.type	_ZL26rocblas_hemvn_kernel_upperILb0ELi64ELi4ELi33ELi32ELi16Ei19rocblas_complex_numIfEPKPKS1_PS1_EviT6_lT7_lT5_lS8_lS9_lS7_lT8_i,@function
_ZL26rocblas_hemvn_kernel_upperILb0ELi64ELi4ELi33ELi32ELi16Ei19rocblas_complex_numIfEPKPKS1_PS1_EviT6_lT7_lT5_lS8_lS9_lS7_lT8_i: ; @_ZL26rocblas_hemvn_kernel_upperILb0ELi64ELi4ELi33ELi32ELi16Ei19rocblas_complex_numIfEPKPKS1_PS1_EviT6_lT7_lT5_lS8_lS9_lS7_lT8_i
; %bb.0:
	s_load_dwordx2 s[0:1], s[4:5], 0x84
	s_add_u32 s8, s4, 0x78
	s_addc_u32 s9, s5, 0
	s_waitcnt lgkmcnt(0)
	s_lshr_b32 s2, s0, 16
	s_and_b32 s0, s0, 0xffff
	s_and_b32 s1, s1, 0xffff
	s_mul_i32 s0, s2, s0
	s_mul_i32 s0, s0, s1
	s_cmpk_lg_i32 s0, 0x100
	s_cbranch_scc1 .LBB183_154
; %bb.1:
	s_load_dwordx2 s[0:1], s[4:5], 0x4
	s_mov_b32 s26, s7
	s_waitcnt lgkmcnt(0)
	s_or_b32 s0, s0, s1
	s_bitset0_b32 s0, 31
	s_cmp_lg_u32 s0, 0
	s_cselect_b64 s[10:11], -1, 0
	s_and_b64 vcc, exec, s[10:11]
	s_cbranch_vccnz .LBB183_4
; %bb.2:
	s_load_dwordx2 s[0:1], s[4:5], 0x58
	s_mov_b64 s[12:13], 0
	s_waitcnt lgkmcnt(0)
	v_cmp_eq_f32_e64 s[2:3], s0, 1.0
	v_cmp_eq_f32_e64 s[0:1], s1, 0
	s_and_b64 s[0:1], s[2:3], s[0:1]
	s_andn2_b64 vcc, exec, s[0:1]
	s_mov_b64 s[0:1], 0
                                        ; implicit-def: $sgpr2_sgpr3
	s_cbranch_vccz .LBB183_5
; %bb.3:
	s_mov_b64 s[0:1], -1
	s_mov_b64 s[2:3], 0
	s_branch .LBB183_5
.LBB183_4:
	s_mov_b64 s[12:13], -1
	s_mov_b64 s[0:1], 0
                                        ; implicit-def: $sgpr2_sgpr3
.LBB183_5:
	s_and_b64 vcc, exec, s[12:13]
	s_cbranch_vccz .LBB183_7
; %bb.6:
	s_load_dwordx4 s[0:3], s[4:5], 0x18
	s_mov_b32 s27, 0
	s_lshl_b64 s[12:13], s[26:27], 3
	s_waitcnt lgkmcnt(0)
	s_add_u32 s0, s0, s12
	s_addc_u32 s1, s1, s13
	s_load_dwordx2 s[0:1], s[0:1], 0x0
	s_lshl_b64 s[2:3], s[2:3], 3
	s_waitcnt lgkmcnt(0)
	s_add_u32 s2, s0, s2
	s_addc_u32 s3, s1, s3
	s_mov_b64 s[0:1], -1
.LBB183_7:
	s_andn2_b64 vcc, exec, s[0:1]
	s_cbranch_vccnz .LBB183_154
; %bb.8:
	v_cndmask_b32_e64 v1, 0, 1, s[10:11]
	v_cmp_ne_u32_e64 s[0:1], 1, v1
	s_andn2_b64 vcc, exec, s[10:11]
	s_mov_b64 s[10:11], 0
	s_cbranch_vccnz .LBB183_10
; %bb.9:
	s_load_dwordx4 s[12:15], s[4:5], 0x38
	s_mov_b32 s27, 0
	s_lshl_b64 s[10:11], s[26:27], 3
	s_waitcnt lgkmcnt(0)
	s_add_u32 s10, s12, s10
	s_addc_u32 s11, s13, s11
	s_load_dwordx2 s[10:11], s[10:11], 0x0
	s_lshl_b64 s[12:13], s[14:15], 3
	s_waitcnt lgkmcnt(0)
	s_add_u32 s10, s10, s12
	s_addc_u32 s11, s11, s13
.LBB183_10:
	s_and_b64 vcc, exec, s[0:1]
	s_cbranch_vccnz .LBB183_154
; %bb.11:
	s_load_dword s7, s[8:9], 0x0
	s_load_dword s33, s[4:5], 0x0
	;; [unrolled: 1-line block ×3, first 2 shown]
	v_and_b32_e32 v30, 0x3ff, v0
	s_lshl_b32 s22, s6, 6
	v_add_u32_e32 v28, s22, v30
	s_waitcnt lgkmcnt(0)
	s_ashr_i32 s41, s33, 31
	s_lshr_b32 s1, s41, 26
	v_bfe_u32 v71, v0, 10, 10
	s_add_i32 s1, s33, s1
	v_mul_lo_u32 v0, v28, s40
	s_andn2_b32 s1, s1, 63
	v_ashrrev_i32_e32 v1, 31, v0
	s_add_i32 s0, s7, -1
	s_sub_i32 s27, s33, s1
	v_lshlrev_b64 v[0:1], 3, v[0:1]
	s_cmp_eq_u32 s6, s0
	v_mov_b32_e32 v2, s11
	v_add_co_u32_e32 v14, vcc, s10, v0
	s_cselect_b32 s18, s27, 0
	v_addc_co_u32_e32 v15, vcc, v2, v1, vcc
	v_cmp_eq_u32_e64 s[0:1], 0, v71
	s_and_saveexec_b64 s[8:9], s[0:1]
	s_cbranch_execz .LBB183_16
; %bb.12:
	s_cmp_lg_u32 s18, 0
	s_cselect_b64 s[10:11], -1, 0
	v_cmp_le_i32_e32 vcc, s18, v30
	v_mov_b32_e32 v0, 0x2380
	s_and_b64 s[10:11], s[10:11], vcc
	v_lshl_add_u32 v0, v30, 3, v0
	s_and_saveexec_b64 s[12:13], s[10:11]
	s_xor_b64 s[10:11], exec, s[12:13]
	s_cbranch_execz .LBB183_14
; %bb.13:
	v_mov_b32_e32 v2, 0
	v_mov_b32_e32 v3, v2
	ds_write_b64 v0, v[2:3]
                                        ; implicit-def: $vgpr0
.LBB183_14:
	s_andn2_saveexec_b64 s[10:11], s[10:11]
	s_cbranch_execz .LBB183_16
; %bb.15:
	flat_load_dwordx2 v[2:3], v[14:15]
	s_waitcnt vmcnt(0) lgkmcnt(0)
	ds_write_b64 v0, v[2:3]
.LBB183_16:
	s_or_b64 exec, exec, s[8:9]
	s_load_dword s24, s[4:5], 0x28
	s_ashr_i32 s23, s22, 31
	v_lshl_add_u32 v22, v71, 6, v30
	s_lshl_b64 s[8:9], s[22:23], 3
	v_and_b32_e32 v0, 31, v30
	v_lshrrev_b32_e32 v1, 5, v22
	s_add_u32 s8, s2, s8
	s_addc_u32 s9, s3, s9
	s_waitcnt lgkmcnt(0)
	v_mad_u64_u32 v[2:3], s[2:3], v1, s24, v[0:1]
	s_mul_i32 s2, s22, s24
	s_ashr_i32 s3, s2, 31
	s_lshl_b64 s[2:3], s[2:3], 3
	s_add_u32 s2, s2, s8
	v_ashrrev_i32_e32 v3, 31, v2
	s_addc_u32 s3, s3, s9
	v_lshlrev_b64 v[12:13], 3, v[2:3]
	s_cmp_eq_u32 s18, 0
	v_mov_b32_e32 v3, s3
	v_add_co_u32_e32 v2, vcc, s2, v12
	s_cselect_b64 s[20:21], -1, 0
	s_cmp_lg_u32 s18, 0
	v_addc_co_u32_e32 v3, vcc, v3, v13, vcc
	s_cselect_b64 s[34:35], -1, 0
	s_and_b64 vcc, exec, s[34:35]
	v_cmp_gt_i32_e64 s[2:3], s18, v0
	v_lshlrev_b32_e32 v10, 3, v0
	s_cbranch_vccz .LBB183_32
; %bb.17:
	v_sub_co_u32_e32 v4, vcc, v2, v10
	s_ashr_i32 s19, s18, 31
	v_subbrev_co_u32_e32 v5, vcc, 0, v3, vcc
	s_lshl_b64 s[8:9], s[18:19], 3
	v_mov_b32_e32 v6, s9
	v_add_co_u32_e32 v4, vcc, s8, v4
	v_addc_co_u32_e32 v5, vcc, v5, v6, vcc
	v_add_co_u32_e32 v4, vcc, -8, v4
	v_addc_co_u32_e32 v5, vcc, -1, v5, vcc
	v_mov_b32_e32 v6, 0
	v_cndmask_b32_e64 v5, v5, v3, s[2:3]
	v_cndmask_b32_e64 v4, v4, v2, s[2:3]
	v_cmp_gt_i32_e32 vcc, s18, v1
	v_mov_b32_e32 v7, v6
	s_and_saveexec_b64 s[10:11], vcc
	s_cbranch_execz .LBB183_19
; %bb.18:
	flat_load_dwordx2 v[6:7], v[4:5]
.LBB183_19:
	s_or_b64 exec, exec, s[10:11]
	v_mul_u32_u24_e32 v8, 33, v1
	v_add_lshl_u32 v8, v8, v0, 3
	s_waitcnt vmcnt(0) lgkmcnt(0)
	ds_write_b64 v8, v[6:7]
	v_add_u32_e32 v6, 8, v1
	v_cmp_le_i32_e32 vcc, s18, v6
	s_and_saveexec_b64 s[10:11], vcc
	s_xor_b64 s[10:11], exec, s[10:11]
	s_cbranch_execz .LBB183_21
; %bb.20:
	v_mul_u32_u24_e32 v6, 33, v6
	v_add_lshl_u32 v9, v6, v0, 3
	v_mov_b32_e32 v6, 0
	v_mov_b32_e32 v7, v6
	ds_write_b64 v9, v[6:7]
.LBB183_21:
	s_andn2_saveexec_b64 s[10:11], s[10:11]
	s_cbranch_execz .LBB183_23
; %bb.22:
	s_lshl_b32 s12, s24, 3
	s_ashr_i32 s13, s12, 31
	s_lshl_b64 s[12:13], s[12:13], 3
	v_mov_b32_e32 v7, s13
	v_add_co_u32_e32 v6, vcc, s12, v4
	v_addc_co_u32_e32 v7, vcc, v5, v7, vcc
	flat_load_dwordx2 v[6:7], v[6:7]
	s_waitcnt vmcnt(0) lgkmcnt(0)
	ds_write_b64 v8, v[6:7] offset:2112
.LBB183_23:
	s_or_b64 exec, exec, s[10:11]
	v_add_u32_e32 v6, 16, v1
	v_cmp_le_i32_e32 vcc, s18, v6
	s_and_saveexec_b64 s[10:11], vcc
	s_xor_b64 s[10:11], exec, s[10:11]
	s_cbranch_execz .LBB183_25
; %bb.24:
	v_mov_b32_e32 v6, 0
	v_mov_b32_e32 v7, v6
	ds_write_b64 v8, v[6:7] offset:4224
.LBB183_25:
	s_andn2_saveexec_b64 s[10:11], s[10:11]
	s_cbranch_execz .LBB183_27
; %bb.26:
	s_lshl_b32 s12, s24, 4
	s_ashr_i32 s13, s12, 31
	s_lshl_b64 s[12:13], s[12:13], 3
	v_mov_b32_e32 v7, s13
	v_add_co_u32_e32 v6, vcc, s12, v4
	v_addc_co_u32_e32 v7, vcc, v5, v7, vcc
	flat_load_dwordx2 v[6:7], v[6:7]
	s_waitcnt vmcnt(0) lgkmcnt(0)
	ds_write_b64 v8, v[6:7] offset:4224
.LBB183_27:
	s_or_b64 exec, exec, s[10:11]
	v_add_u32_e32 v6, 24, v1
	v_cmp_le_i32_e32 vcc, s18, v6
	s_and_saveexec_b64 s[10:11], vcc
	s_xor_b64 s[10:11], exec, s[10:11]
	s_cbranch_execz .LBB183_29
; %bb.28:
	v_mov_b32_e32 v6, 0
	v_mov_b32_e32 v7, v6
	ds_write_b64 v8, v[6:7] offset:6336
                                        ; implicit-def: $vgpr8
.LBB183_29:
	s_andn2_saveexec_b64 s[10:11], s[10:11]
	s_cbranch_execz .LBB183_31
; %bb.30:
	s_mul_i32 s12, s24, 24
	s_ashr_i32 s13, s12, 31
	s_lshl_b64 s[12:13], s[12:13], 3
	v_mov_b32_e32 v7, s13
	v_add_co_u32_e32 v6, vcc, s12, v4
	v_addc_co_u32_e32 v7, vcc, v5, v7, vcc
	flat_load_dwordx2 v[6:7], v[6:7]
	s_waitcnt vmcnt(0) lgkmcnt(0)
	ds_write_b64 v8, v[6:7] offset:6336
.LBB183_31:
	s_or_b64 exec, exec, s[10:11]
	v_add_co_u32_e32 v4, vcc, v4, v10
	v_addc_co_u32_e32 v5, vcc, 0, v5, vcc
	v_mov_b32_e32 v6, s9
	v_subrev_co_u32_e32 v4, vcc, s8, v4
	v_subb_co_u32_e32 v5, vcc, v5, v6, vcc
	v_add_co_u32_e32 v4, vcc, 8, v4
	v_addc_co_u32_e32 v5, vcc, 0, v5, vcc
	v_cndmask_b32_e64 v5, v5, v3, s[2:3]
	v_cndmask_b32_e64 v4, v4, v2, s[2:3]
	v_mul_u32_u24_e32 v18, 33, v1
	s_branch .LBB183_34
.LBB183_32:
                                        ; implicit-def: $vgpr4_vgpr5
	v_mul_u32_u24_e32 v18, 33, v1
	s_cbranch_execz .LBB183_34
; %bb.33:
	flat_load_dwordx2 v[4:5], v[2:3]
	s_lshl_b32 s2, s24, 3
	s_ashr_i32 s3, s2, 31
	s_lshl_b64 s[2:3], s[2:3], 3
	v_add_lshl_u32 v8, v18, v0, 3
	v_mov_b32_e32 v7, s3
	v_add_co_u32_e32 v6, vcc, s2, v2
	v_addc_co_u32_e32 v7, vcc, v3, v7, vcc
	s_ashr_i32 s25, s24, 31
	s_lshl_b64 s[2:3], s[24:25], 6
	v_mov_b32_e32 v9, s3
	s_waitcnt vmcnt(0) lgkmcnt(0)
	ds_write_b64 v8, v[4:5]
	flat_load_dwordx2 v[4:5], v[6:7]
	v_add_co_u32_e32 v6, vcc, s2, v6
	v_addc_co_u32_e32 v7, vcc, v7, v9, vcc
	s_waitcnt vmcnt(0) lgkmcnt(0)
	ds_write_b64 v8, v[4:5] offset:2112
	flat_load_dwordx2 v[4:5], v[6:7]
	v_add_co_u32_e32 v6, vcc, s2, v6
	v_addc_co_u32_e32 v7, vcc, v7, v9, vcc
	s_waitcnt vmcnt(0) lgkmcnt(0)
	ds_write_b64 v8, v[4:5] offset:4224
	flat_load_dwordx2 v[4:5], v[6:7]
	s_waitcnt vmcnt(0) lgkmcnt(0)
	ds_write_b64 v8, v[4:5] offset:6336
	v_pk_mov_b32 v[4:5], v[2:3], v[2:3] op_sel:[0,1]
.LBB183_34:
	v_lshlrev_b32_e32 v2, 2, v1
	v_mul_u32_u24_e32 v11, 33, v0
	v_cmp_gt_u32_e64 s[16:17], v2, v0
	v_add_lshl_u32 v16, v2, v11, 3
	s_waitcnt lgkmcnt(0)
	s_barrier
	s_and_saveexec_b64 s[2:3], s[16:17]
	s_cbranch_execz .LBB183_36
; %bb.35:
	v_mul_u32_u24_e32 v3, 0x84, v1
	v_add_lshl_u32 v3, v3, v0, 3
	ds_read_b64 v[6:7], v3
	s_waitcnt lgkmcnt(0)
	ds_write_b64 v16, v[6:7]
.LBB183_36:
	s_or_b64 exec, exec, s[2:3]
	v_cmp_ge_u32_e64 s[8:9], v2, v0
	s_and_saveexec_b64 s[2:3], s[8:9]
	s_cbranch_execz .LBB183_38
; %bb.37:
	v_or_b32_e32 v3, 1, v2
	v_mul_u32_u24_e32 v3, 33, v3
	v_add_lshl_u32 v3, v3, v0, 3
	ds_read_b64 v[6:7], v3
	s_waitcnt lgkmcnt(0)
	ds_write_b64 v16, v[6:7] offset:8
.LBB183_38:
	s_or_b64 exec, exec, s[2:3]
	v_or_b32_e32 v3, 2, v2
	v_cmp_gt_u32_e64 s[10:11], v3, v0
	s_and_saveexec_b64 s[2:3], s[10:11]
	s_cbranch_execz .LBB183_40
; %bb.39:
	v_mul_u32_u24_e32 v3, 33, v3
	v_add_lshl_u32 v3, v3, v0, 3
	ds_read_b64 v[6:7], v3
	s_waitcnt lgkmcnt(0)
	ds_write_b64 v16, v[6:7] offset:16
.LBB183_40:
	s_or_b64 exec, exec, s[2:3]
	v_or_b32_e32 v3, 3, v2
	v_cmp_gt_u32_e64 s[12:13], v3, v0
	v_mad_u32_u24 v3, v3, 33, v0
	v_lshlrev_b32_e32 v19, 3, v3
	s_and_saveexec_b64 s[2:3], s[12:13]
	s_cbranch_execz .LBB183_42
; %bb.41:
	ds_read_b64 v[6:7], v19
	s_waitcnt lgkmcnt(0)
	ds_write_b64 v16, v[6:7] offset:24
.LBB183_42:
	s_or_b64 exec, exec, s[2:3]
	v_mul_u32_u24_e32 v3, 0x84, v1
	v_add_lshl_u32 v20, v3, v0, 3
	s_waitcnt lgkmcnt(0)
	s_barrier
	v_lshlrev_b32_e32 v17, 3, v2
	v_add_u32_e32 v21, 0xfffffdf0, v19
	ds_read_b64 v[2:3], v20
	ds_read_b128 v[6:9], v17 offset:9088
	ds_read2_b64 v[24:27], v21 offset1:33
	ds_read_b64 v[36:37], v19
	ds_read_b128 v[32:35], v17 offset:9104
	s_mov_b32 s14, 0
	s_mov_b32 s15, s14
	s_waitcnt lgkmcnt(3)
	v_pk_mul_f32 v[38:39], v[6:7], v[2:3] op_sel:[0,1]
	v_pk_fma_f32 v[40:41], v[6:7], v[2:3], v[38:39] op_sel:[0,0,1] op_sel_hi:[1,1,0] neg_lo:[0,0,1] neg_hi:[0,0,1]
	v_pk_fma_f32 v[2:3], v[6:7], v[2:3], v[38:39] op_sel:[0,0,1] op_sel_hi:[1,0,0]
	s_waitcnt lgkmcnt(2)
	v_pk_mul_f32 v[6:7], v[8:9], v[24:25] op_sel:[0,1]
	v_pk_fma_f32 v[38:39], v[8:9], v[24:25], v[6:7] op_sel:[0,0,1] op_sel_hi:[1,1,0] neg_lo:[0,0,1] neg_hi:[0,0,1]
	v_pk_fma_f32 v[6:7], v[8:9], v[24:25], v[6:7] op_sel:[0,0,1] op_sel_hi:[1,0,0]
	v_mov_b32_e32 v41, v3
	v_mov_b32_e32 v39, v7
	s_waitcnt lgkmcnt(0)
	v_pk_mul_f32 v[6:7], v[32:33], v[26:27] op_sel:[0,1]
	v_pk_add_f32 v[2:3], v[40:41], 0 op_sel_hi:[1,0]
	v_pk_fma_f32 v[8:9], v[32:33], v[26:27], v[6:7] op_sel:[0,0,1] op_sel_hi:[1,1,0] neg_lo:[0,0,1] neg_hi:[0,0,1]
	v_pk_fma_f32 v[6:7], v[32:33], v[26:27], v[6:7] op_sel:[0,0,1] op_sel_hi:[1,0,0]
	v_pk_add_f32 v[2:3], v[2:3], v[38:39]
	v_mov_b32_e32 v9, v7
	v_pk_mul_f32 v[6:7], v[34:35], v[36:37] op_sel:[0,1]
	v_pk_add_f32 v[2:3], v[2:3], v[8:9]
	v_pk_fma_f32 v[8:9], v[34:35], v[36:37], v[6:7] op_sel:[0,0,1] op_sel_hi:[1,1,0] neg_lo:[0,0,1] neg_hi:[0,0,1]
	v_pk_fma_f32 v[6:7], v[34:35], v[36:37], v[6:7] op_sel:[0,0,1] op_sel_hi:[1,0,0]
	v_mov_b32_e32 v9, v7
	v_add_lshl_u32 v23, v1, v11, 3
	v_pk_add_f32 v[2:3], v[2:3], v[8:9]
	v_cmp_gt_u32_e64 s[2:3], 32, v22
	v_pk_mov_b32 v[32:33], s[14:15], s[14:15] op_sel:[0,1]
	v_lshlrev_b32_e32 v24, 3, v11
	s_barrier
	ds_write_b64 v23, v[2:3]
	s_waitcnt lgkmcnt(0)
	s_barrier
	s_and_saveexec_b64 s[14:15], s[2:3]
	s_cbranch_execz .LBB183_44
; %bb.43:
	ds_read2_b64 v[6:9], v24 offset1:7
	ds_read2_b64 v[32:35], v24 offset0:1 offset1:2
	ds_read2_b64 v[36:39], v24 offset0:3 offset1:4
	s_waitcnt lgkmcnt(1)
	v_add_f32_e32 v2, v32, v6
	v_add_f32_e32 v3, v33, v7
	;; [unrolled: 1-line block ×4, first 2 shown]
	ds_read2_b64 v[32:35], v24 offset0:5 offset1:6
	s_waitcnt lgkmcnt(1)
	v_add_f32_e32 v2, v2, v36
	v_add_f32_e32 v3, v3, v37
	;; [unrolled: 1-line block ×4, first 2 shown]
	s_waitcnt lgkmcnt(0)
	v_add_f32_e32 v2, v2, v32
	v_add_f32_e32 v3, v3, v33
	;; [unrolled: 1-line block ×4, first 2 shown]
	v_pk_add_f32 v[32:33], v[2:3], v[8:9]
.LBB183_44:
	s_or_b64 exec, exec, s[14:15]
	s_lshl_b32 s28, s24, 5
	s_ashr_i32 s29, s28, 31
	s_lshl_b64 s[30:31], s[28:29], 3
	v_mov_b32_e32 v2, s31
	v_add_co_u32_e32 v4, vcc, s30, v4
	v_addc_co_u32_e32 v5, vcc, v5, v2, vcc
	v_add_co_u32_e32 v2, vcc, 0x100, v4
	v_addc_co_u32_e32 v3, vcc, 0, v5, vcc
	s_and_b64 vcc, exec, s[34:35]
	s_barrier
	s_cbranch_vccz .LBB183_60
; %bb.45:
	v_or_b32_e32 v6, 32, v0
	v_lshlrev_b32_e32 v7, 3, v6
	v_sub_co_u32_e32 v7, vcc, v2, v7
	s_ashr_i32 s19, s18, 31
	v_subbrev_co_u32_e32 v8, vcc, 0, v3, vcc
	s_lshl_b64 s[36:37], s[18:19], 3
	v_mov_b32_e32 v9, s37
	v_add_co_u32_e32 v7, vcc, s36, v7
	v_addc_co_u32_e32 v8, vcc, v8, v9, vcc
	v_add_co_u32_e32 v9, vcc, -8, v7
	v_addc_co_u32_e32 v7, vcc, -1, v8, vcc
	v_cmp_gt_i32_e64 s[14:15], s18, v6
	s_sub_i32 s19, s18, 32
	v_mov_b32_e32 v8, 0
	v_cndmask_b32_e64 v7, v7, v3, s[14:15]
	v_cndmask_b32_e64 v6, v9, v2, s[14:15]
	v_cmp_gt_i32_e32 vcc, s19, v1
	v_mov_b32_e32 v9, v8
	s_and_saveexec_b64 s[38:39], vcc
	s_cbranch_execz .LBB183_47
; %bb.46:
	flat_load_dwordx2 v[8:9], v[6:7]
.LBB183_47:
	s_or_b64 exec, exec, s[38:39]
	v_add_lshl_u32 v25, v18, v0, 3
	s_waitcnt vmcnt(0) lgkmcnt(0)
	ds_write_b64 v25, v[8:9]
	v_add_u32_e32 v8, 8, v1
	v_cmp_le_i32_e32 vcc, s19, v8
	s_and_saveexec_b64 s[38:39], vcc
	s_xor_b64 s[38:39], exec, s[38:39]
	s_cbranch_execz .LBB183_49
; %bb.48:
	v_mul_u32_u24_e32 v8, 33, v8
	v_add_lshl_u32 v26, v8, v0, 3
	v_mov_b32_e32 v8, 0
	v_mov_b32_e32 v9, v8
	ds_write_b64 v26, v[8:9]
.LBB183_49:
	s_andn2_saveexec_b64 s[38:39], s[38:39]
	s_cbranch_execz .LBB183_51
; %bb.50:
	s_lshl_b32 s42, s24, 3
	s_ashr_i32 s43, s42, 31
	s_lshl_b64 s[42:43], s[42:43], 3
	v_mov_b32_e32 v9, s43
	v_add_co_u32_e32 v8, vcc, s42, v6
	v_addc_co_u32_e32 v9, vcc, v7, v9, vcc
	flat_load_dwordx2 v[8:9], v[8:9]
	s_waitcnt vmcnt(0) lgkmcnt(0)
	ds_write_b64 v25, v[8:9] offset:2112
.LBB183_51:
	s_or_b64 exec, exec, s[38:39]
	v_add_u32_e32 v8, 16, v1
	v_cmp_le_i32_e32 vcc, s19, v8
	s_and_saveexec_b64 s[38:39], vcc
	s_xor_b64 s[38:39], exec, s[38:39]
	s_cbranch_execz .LBB183_53
; %bb.52:
	v_mul_u32_u24_e32 v8, 33, v8
	v_add_lshl_u32 v26, v8, v0, 3
	v_mov_b32_e32 v8, 0
	v_mov_b32_e32 v9, v8
	ds_write_b64 v26, v[8:9]
.LBB183_53:
	s_andn2_saveexec_b64 s[38:39], s[38:39]
	s_cbranch_execz .LBB183_55
; %bb.54:
	s_lshl_b32 s42, s24, 4
	s_ashr_i32 s43, s42, 31
	s_lshl_b64 s[42:43], s[42:43], 3
	v_mov_b32_e32 v9, s43
	v_add_co_u32_e32 v8, vcc, s42, v6
	v_addc_co_u32_e32 v9, vcc, v7, v9, vcc
	flat_load_dwordx2 v[8:9], v[8:9]
	s_waitcnt vmcnt(0) lgkmcnt(0)
	ds_write_b64 v25, v[8:9] offset:4224
.LBB183_55:
	s_or_b64 exec, exec, s[38:39]
	v_add_u32_e32 v8, 24, v1
	v_cmp_le_i32_e32 vcc, s19, v8
	s_and_saveexec_b64 s[38:39], vcc
	s_xor_b64 s[38:39], exec, s[38:39]
	s_cbranch_execz .LBB183_57
; %bb.56:
	v_mov_b32_e32 v8, 0
	v_mov_b32_e32 v9, v8
	ds_write_b64 v25, v[8:9] offset:6336
                                        ; implicit-def: $vgpr25
.LBB183_57:
	s_andn2_saveexec_b64 s[38:39], s[38:39]
	s_cbranch_execz .LBB183_59
; %bb.58:
	s_mul_i32 s42, s24, 24
	s_ashr_i32 s43, s42, 31
	s_lshl_b64 s[42:43], s[42:43], 3
	v_mov_b32_e32 v9, s43
	v_add_co_u32_e32 v8, vcc, s42, v6
	v_addc_co_u32_e32 v9, vcc, v7, v9, vcc
	flat_load_dwordx2 v[8:9], v[8:9]
	s_waitcnt vmcnt(0) lgkmcnt(0)
	ds_write_b64 v25, v[8:9] offset:6336
.LBB183_59:
	s_or_b64 exec, exec, s[38:39]
	v_add_co_u32_e32 v6, vcc, v6, v10
	v_addc_co_u32_e32 v7, vcc, 0, v7, vcc
	v_mov_b32_e32 v8, s37
	v_subrev_co_u32_e32 v6, vcc, s36, v6
	v_subb_co_u32_e32 v7, vcc, v7, v8, vcc
	v_add_co_u32_e32 v6, vcc, 0x108, v6
	v_addc_co_u32_e32 v7, vcc, 0, v7, vcc
	v_cndmask_b32_e64 v7, v7, v3, s[14:15]
	v_cndmask_b32_e64 v6, v6, v2, s[14:15]
	s_branch .LBB183_62
.LBB183_60:
                                        ; implicit-def: $vgpr6_vgpr7
	s_cbranch_execz .LBB183_62
; %bb.61:
	flat_load_dwordx2 v[6:7], v[4:5] offset:256
	s_lshl_b32 s14, s24, 3
	s_ashr_i32 s15, s14, 31
	s_lshl_b64 s[14:15], s[14:15], 3
	v_add_lshl_u32 v8, v18, v0, 3
	v_mov_b32_e32 v9, s15
	v_add_co_u32_e32 v4, vcc, s14, v4
	v_addc_co_u32_e32 v5, vcc, v5, v9, vcc
	s_ashr_i32 s25, s24, 31
	s_lshl_b64 s[14:15], s[24:25], 6
	v_mov_b32_e32 v9, s15
	s_waitcnt vmcnt(0) lgkmcnt(0)
	ds_write_b64 v8, v[6:7]
	flat_load_dwordx2 v[6:7], v[4:5] offset:256
	v_add_co_u32_e32 v4, vcc, s14, v4
	v_addc_co_u32_e32 v5, vcc, v5, v9, vcc
	s_waitcnt vmcnt(0) lgkmcnt(0)
	ds_write_b64 v8, v[6:7] offset:2112
	flat_load_dwordx2 v[6:7], v[4:5] offset:256
	v_add_co_u32_e32 v4, vcc, s14, v4
	v_addc_co_u32_e32 v5, vcc, v5, v9, vcc
	s_waitcnt vmcnt(0) lgkmcnt(0)
	ds_write_b64 v8, v[6:7] offset:4224
	flat_load_dwordx2 v[4:5], v[4:5] offset:256
	v_pk_mov_b32 v[6:7], v[2:3], v[2:3] op_sel:[0,1]
	s_waitcnt vmcnt(0) lgkmcnt(0)
	ds_write_b64 v8, v[4:5] offset:6336
.LBB183_62:
	s_waitcnt lgkmcnt(0)
	s_barrier
	s_and_saveexec_b64 s[14:15], s[16:17]
	s_cbranch_execnz .LBB183_85
; %bb.63:
	s_or_b64 exec, exec, s[14:15]
	s_and_saveexec_b64 s[14:15], s[8:9]
	s_cbranch_execnz .LBB183_86
.LBB183_64:
	s_or_b64 exec, exec, s[14:15]
	s_and_saveexec_b64 s[8:9], s[10:11]
	s_cbranch_execnz .LBB183_87
.LBB183_65:
	s_or_b64 exec, exec, s[8:9]
	v_add_u32_e32 v25, 0x2380, v17
	s_and_saveexec_b64 s[8:9], s[12:13]
	s_cbranch_execz .LBB183_67
.LBB183_66:
	ds_read_b64 v[2:3], v19
	s_waitcnt lgkmcnt(0)
	ds_write_b64 v16, v[2:3] offset:24
.LBB183_67:
	s_or_b64 exec, exec, s[8:9]
	s_waitcnt lgkmcnt(0)
	s_barrier
	ds_read_b64 v[8:9], v20
	ds_read_b128 v[2:5], v25 offset:256
	ds_read2_b64 v[34:37], v21 offset1:33
	ds_read_b64 v[16:17], v19
	ds_read_b128 v[38:41], v25 offset:272
	v_cmp_eq_u32_e64 s[8:9], 1, v1
	s_waitcnt lgkmcnt(3)
	v_pk_mul_f32 v[26:27], v[2:3], v[8:9] op_sel:[0,1]
	v_pk_fma_f32 v[42:43], v[2:3], v[8:9], v[26:27] op_sel:[0,0,1] op_sel_hi:[1,1,0] neg_lo:[0,0,1] neg_hi:[0,0,1]
	v_pk_fma_f32 v[2:3], v[2:3], v[8:9], v[26:27] op_sel:[0,0,1] op_sel_hi:[1,0,0]
	s_waitcnt lgkmcnt(2)
	v_pk_mul_f32 v[8:9], v[4:5], v[34:35] op_sel:[0,1]
	v_pk_fma_f32 v[26:27], v[4:5], v[34:35], v[8:9] op_sel:[0,0,1] op_sel_hi:[1,1,0] neg_lo:[0,0,1] neg_hi:[0,0,1]
	v_pk_fma_f32 v[4:5], v[4:5], v[34:35], v[8:9] op_sel:[0,0,1] op_sel_hi:[1,0,0]
	v_mov_b32_e32 v43, v3
	v_mov_b32_e32 v27, v5
	s_waitcnt lgkmcnt(0)
	v_pk_mul_f32 v[4:5], v[38:39], v[36:37] op_sel:[0,1]
	v_pk_add_f32 v[2:3], v[42:43], 0 op_sel_hi:[1,0]
	v_pk_fma_f32 v[8:9], v[38:39], v[36:37], v[4:5] op_sel:[0,0,1] op_sel_hi:[1,1,0] neg_lo:[0,0,1] neg_hi:[0,0,1]
	v_pk_fma_f32 v[4:5], v[38:39], v[36:37], v[4:5] op_sel:[0,0,1] op_sel_hi:[1,0,0]
	v_pk_add_f32 v[2:3], v[2:3], v[26:27]
	v_mov_b32_e32 v9, v5
	v_pk_mul_f32 v[4:5], v[40:41], v[16:17] op_sel:[0,1]
	v_pk_add_f32 v[2:3], v[2:3], v[8:9]
	v_pk_fma_f32 v[8:9], v[40:41], v[16:17], v[4:5] op_sel:[0,0,1] op_sel_hi:[1,1,0] neg_lo:[0,0,1] neg_hi:[0,0,1]
	v_pk_fma_f32 v[4:5], v[40:41], v[16:17], v[4:5] op_sel:[0,0,1] op_sel_hi:[1,0,0]
	v_mov_b32_e32 v9, v5
	v_pk_add_f32 v[2:3], v[2:3], v[8:9]
	s_barrier
	ds_write_b64 v23, v[2:3]
	s_waitcnt lgkmcnt(0)
	s_barrier
	s_and_saveexec_b64 s[10:11], s[8:9]
	s_cbranch_execz .LBB183_69
; %bb.68:
	ds_read2_b64 v[2:5], v24 offset1:7
	ds_read2_b64 v[32:35], v24 offset0:1 offset1:2
	ds_read2_b64 v[36:39], v24 offset0:3 offset1:4
	s_waitcnt lgkmcnt(1)
	v_add_f32_e32 v2, v32, v2
	v_add_f32_e32 v3, v33, v3
	;; [unrolled: 1-line block ×4, first 2 shown]
	ds_read2_b64 v[32:35], v24 offset0:5 offset1:6
	s_waitcnt lgkmcnt(1)
	v_add_f32_e32 v2, v2, v36
	v_add_f32_e32 v3, v3, v37
	;; [unrolled: 1-line block ×4, first 2 shown]
	s_waitcnt lgkmcnt(0)
	v_add_f32_e32 v2, v2, v32
	v_add_f32_e32 v3, v3, v33
	v_pk_add_f32 v[2:3], v[2:3], v[34:35]
	v_pk_add_f32 v[32:33], v[2:3], v[4:5]
.LBB183_69:
	s_or_b64 exec, exec, s[10:11]
	v_add_co_u32_e32 v2, vcc, 0xffffff00, v6
	v_addc_co_u32_e32 v3, vcc, -1, v7, vcc
	s_and_b64 vcc, exec, s[34:35]
	s_barrier
	s_cbranch_vccz .LBB183_88
; %bb.70:
	v_sub_co_u32_e32 v4, vcc, v2, v10
	s_ashr_i32 s19, s18, 31
	v_subbrev_co_u32_e32 v5, vcc, 0, v3, vcc
	s_lshl_b64 s[12:13], s[18:19], 3
	v_mov_b32_e32 v6, s13
	v_add_co_u32_e32 v4, vcc, s12, v4
	v_addc_co_u32_e32 v5, vcc, v5, v6, vcc
	v_add_co_u32_e32 v4, vcc, -8, v4
	v_addc_co_u32_e32 v5, vcc, -1, v5, vcc
	v_cmp_gt_i32_e32 vcc, s18, v0
	s_sub_i32 s16, s18, 32
	v_mov_b32_e32 v6, 0
	v_cndmask_b32_e32 v5, v5, v3, vcc
	v_cndmask_b32_e32 v4, v4, v2, vcc
	v_cmp_gt_i32_e64 s[10:11], s16, v1
	v_mov_b32_e32 v7, v6
	s_and_saveexec_b64 s[14:15], s[10:11]
	s_cbranch_execz .LBB183_72
; %bb.71:
	flat_load_dwordx2 v[6:7], v[4:5]
.LBB183_72:
	s_or_b64 exec, exec, s[14:15]
	v_add_lshl_u32 v8, v18, v0, 3
	s_waitcnt vmcnt(0) lgkmcnt(0)
	ds_write_b64 v8, v[6:7]
	v_add_u32_e32 v6, 8, v1
	v_cmp_le_i32_e64 s[10:11], s16, v6
	s_and_saveexec_b64 s[14:15], s[10:11]
	s_xor_b64 s[10:11], exec, s[14:15]
	s_cbranch_execz .LBB183_74
; %bb.73:
	v_mul_u32_u24_e32 v7, 33, v6
	v_mov_b32_e32 v16, 0
	v_add_lshl_u32 v7, v7, v0, 3
	v_mov_b32_e32 v17, v16
	ds_write_b64 v7, v[16:17]
.LBB183_74:
	s_andn2_saveexec_b64 s[14:15], s[10:11]
	s_cbranch_execz .LBB183_76
; %bb.75:
	s_lshl_b32 s10, s24, 3
	s_ashr_i32 s11, s10, 31
	s_lshl_b64 s[10:11], s[10:11], 3
	v_mov_b32_e32 v7, s11
	v_add_co_u32_e64 v16, s[10:11], s10, v4
	v_addc_co_u32_e64 v17, s[10:11], v5, v7, s[10:11]
	flat_load_dwordx2 v[16:17], v[16:17]
	s_waitcnt vmcnt(0) lgkmcnt(0)
	ds_write_b64 v8, v[16:17] offset:2112
.LBB183_76:
	s_or_b64 exec, exec, s[14:15]
	v_add_u32_e32 v7, 16, v1
	v_cmp_le_i32_e64 s[10:11], s16, v7
	s_and_saveexec_b64 s[14:15], s[10:11]
	s_xor_b64 s[10:11], exec, s[14:15]
	s_cbranch_execz .LBB183_78
; %bb.77:
	v_mov_b32_e32 v16, 0
	v_mov_b32_e32 v17, v16
	ds_write_b64 v8, v[16:17] offset:4224
.LBB183_78:
	s_andn2_saveexec_b64 s[14:15], s[10:11]
	s_cbranch_execz .LBB183_80
; %bb.79:
	s_lshl_b32 s10, s24, 4
	s_ashr_i32 s11, s10, 31
	s_lshl_b64 s[10:11], s[10:11], 3
	v_mov_b32_e32 v9, s11
	v_add_co_u32_e64 v16, s[10:11], s10, v4
	v_addc_co_u32_e64 v17, s[10:11], v5, v9, s[10:11]
	flat_load_dwordx2 v[16:17], v[16:17]
	s_waitcnt vmcnt(0) lgkmcnt(0)
	ds_write_b64 v8, v[16:17] offset:4224
.LBB183_80:
	s_or_b64 exec, exec, s[14:15]
	v_add_u32_e32 v9, 24, v1
	v_cmp_le_i32_e64 s[10:11], s16, v9
	s_and_saveexec_b64 s[14:15], s[10:11]
	s_xor_b64 s[10:11], exec, s[14:15]
	s_cbranch_execz .LBB183_82
; %bb.81:
	v_mov_b32_e32 v16, 0
	v_mov_b32_e32 v17, v16
	ds_write_b64 v8, v[16:17] offset:6336
                                        ; implicit-def: $vgpr8
.LBB183_82:
	s_andn2_saveexec_b64 s[14:15], s[10:11]
	s_cbranch_execz .LBB183_84
; %bb.83:
	s_mul_i32 s10, s24, 24
	s_ashr_i32 s11, s10, 31
	s_lshl_b64 s[10:11], s[10:11], 3
	v_mov_b32_e32 v17, s11
	v_add_co_u32_e64 v16, s[10:11], s10, v4
	v_addc_co_u32_e64 v17, s[10:11], v5, v17, s[10:11]
	flat_load_dwordx2 v[16:17], v[16:17]
	s_waitcnt vmcnt(0) lgkmcnt(0)
	ds_write_b64 v8, v[16:17] offset:6336
.LBB183_84:
	s_or_b64 exec, exec, s[14:15]
	v_add_co_u32_e64 v4, s[10:11], v4, v10
	v_addc_co_u32_e64 v5, s[10:11], 0, v5, s[10:11]
	v_mov_b32_e32 v8, s13
	v_subrev_co_u32_e64 v4, s[10:11], s12, v4
	v_subb_co_u32_e64 v5, s[10:11], v5, v8, s[10:11]
	v_add_co_u32_e64 v4, s[10:11], 8, v4
	v_addc_co_u32_e64 v5, s[10:11], 0, v5, s[10:11]
	v_cndmask_b32_e32 v17, v5, v3, vcc
	v_cndmask_b32_e32 v16, v4, v2, vcc
	s_branch .LBB183_90
.LBB183_85:
	ds_read_b64 v[2:3], v20
	s_waitcnt lgkmcnt(0)
	ds_write_b64 v16, v[2:3]
	s_or_b64 exec, exec, s[14:15]
	s_and_saveexec_b64 s[14:15], s[8:9]
	s_cbranch_execz .LBB183_64
.LBB183_86:
	ds_read_b64 v[2:3], v21
	s_waitcnt lgkmcnt(0)
	ds_write_b64 v16, v[2:3] offset:8
	s_or_b64 exec, exec, s[14:15]
	s_and_saveexec_b64 s[8:9], s[10:11]
	s_cbranch_execz .LBB183_65
.LBB183_87:
	ds_read_b64 v[2:3], v21 offset:264
	s_waitcnt lgkmcnt(0)
	ds_write_b64 v16, v[2:3] offset:16
	s_or_b64 exec, exec, s[8:9]
	v_add_u32_e32 v25, 0x2380, v17
	s_and_saveexec_b64 s[8:9], s[12:13]
	s_cbranch_execnz .LBB183_66
	s_branch .LBB183_67
.LBB183_88:
                                        ; implicit-def: $vgpr16_vgpr17
                                        ; implicit-def: $vgpr6
                                        ; implicit-def: $vgpr7
                                        ; implicit-def: $vgpr9
	s_cbranch_execz .LBB183_90
; %bb.89:
	flat_load_dwordx2 v[4:5], v[2:3]
	s_lshl_b32 s10, s24, 3
	s_ashr_i32 s11, s10, 31
	s_lshl_b64 s[10:11], s[10:11], 3
	v_add_lshl_u32 v0, v18, v0, 3
	v_mov_b32_e32 v7, s11
	v_add_co_u32_e32 v6, vcc, s10, v2
	v_addc_co_u32_e32 v7, vcc, v3, v7, vcc
	s_ashr_i32 s25, s24, 31
	s_lshl_b64 s[10:11], s[24:25], 6
	v_mov_b32_e32 v8, s11
	v_add_u32_e32 v9, 24, v1
	v_pk_mov_b32 v[16:17], v[2:3], v[2:3] op_sel:[0,1]
	s_waitcnt vmcnt(0) lgkmcnt(0)
	ds_write_b64 v0, v[4:5]
	flat_load_dwordx2 v[4:5], v[6:7]
	v_add_co_u32_e32 v6, vcc, s10, v6
	v_addc_co_u32_e32 v7, vcc, v7, v8, vcc
	s_waitcnt vmcnt(0) lgkmcnt(0)
	ds_write_b64 v0, v[4:5] offset:2112
	flat_load_dwordx2 v[4:5], v[6:7]
	v_add_co_u32_e32 v6, vcc, s10, v6
	v_addc_co_u32_e32 v7, vcc, v7, v8, vcc
	s_waitcnt vmcnt(0) lgkmcnt(0)
	ds_write_b64 v0, v[4:5] offset:4224
	flat_load_dwordx2 v[4:5], v[6:7]
	v_add_u32_e32 v6, 8, v1
	v_add_u32_e32 v7, 16, v1
	s_waitcnt vmcnt(0) lgkmcnt(0)
	ds_write_b64 v0, v[4:5] offset:6336
.LBB183_90:
	v_lshlrev_b32_e32 v18, 3, v1
	v_add_lshl_u32 v34, v7, v11, 3
	v_lshlrev_b32_e32 v46, 3, v7
	v_add_lshl_u32 v44, v9, v11, 3
	v_lshlrev_b32_e32 v42, 3, v9
	s_waitcnt lgkmcnt(0)
	s_barrier
	v_add_lshl_u32 v29, v6, v11, 3
	v_lshlrev_b32_e32 v31, 3, v6
	ds_read2_b64 v[4:7], v21 offset1:33
	ds_read_b64 v[20:21], v20
	ds_read_b128 v[8:11], v25 offset:256
	ds_read_b64 v[26:27], v23
	ds_read_b128 v[0:3], v25 offset:272
	ds_read_b64 v[34:35], v34
	ds_read_b64 v[36:37], v31 offset:9088
	ds_read_b64 v[38:39], v29
	ds_read_b64 v[40:41], v18 offset:9088
	;; [unrolled: 2-line block ×4, first 2 shown]
	s_waitcnt lgkmcnt(4)
	v_pk_mul_f32 v[48:49], v[40:41], v[26:27] op_sel:[0,1]
	v_pk_fma_f32 v[50:51], v[40:41], v[26:27], v[48:49] op_sel:[0,0,1] op_sel_hi:[1,1,0] neg_lo:[0,0,1] neg_hi:[0,0,1]
	v_pk_fma_f32 v[26:27], v[40:41], v[26:27], v[48:49] op_sel:[0,0,1] op_sel_hi:[1,0,0]
	v_pk_mul_f32 v[40:41], v[36:37], v[38:39] op_sel:[0,1]
	v_pk_fma_f32 v[48:49], v[36:37], v[38:39], v[40:41] op_sel:[0,0,1] op_sel_hi:[1,1,0] neg_lo:[0,0,1] neg_hi:[0,0,1]
	v_pk_fma_f32 v[36:37], v[36:37], v[38:39], v[40:41] op_sel:[0,0,1] op_sel_hi:[1,0,0]
	v_mov_b32_e32 v49, v37
	s_waitcnt lgkmcnt(0)
	v_pk_mul_f32 v[36:37], v[46:47], v[34:35] op_sel:[0,1]
	v_mov_b32_e32 v51, v27
	v_pk_fma_f32 v[38:39], v[46:47], v[34:35], v[36:37] op_sel:[0,0,1] op_sel_hi:[1,1,0] neg_lo:[0,0,1] neg_hi:[0,0,1]
	v_pk_fma_f32 v[34:35], v[46:47], v[34:35], v[36:37] op_sel:[0,0,1] op_sel_hi:[1,0,0]
	v_pk_add_f32 v[26:27], v[50:51], 0 op_sel_hi:[1,0]
	v_mov_b32_e32 v39, v35
	v_pk_mul_f32 v[34:35], v[42:43], v[44:45] op_sel:[0,1]
	v_pk_add_f32 v[26:27], v[26:27], v[48:49]
	v_pk_fma_f32 v[36:37], v[42:43], v[44:45], v[34:35] op_sel:[0,0,1] op_sel_hi:[1,1,0] neg_lo:[0,0,1] neg_hi:[0,0,1]
	v_pk_fma_f32 v[34:35], v[42:43], v[44:45], v[34:35] op_sel:[0,0,1] op_sel_hi:[1,0,0]
	v_pk_add_f32 v[26:27], v[26:27], v[38:39]
	v_mov_b32_e32 v37, v35
	v_pk_add_f32 v[26:27], v[26:27], v[36:37]
	s_barrier
	ds_write_b64 v23, v[26:27]
	s_waitcnt lgkmcnt(0)
	s_barrier
	s_and_saveexec_b64 s[10:11], s[8:9]
	s_cbranch_execz .LBB183_92
; %bb.91:
	ds_read2_b64 v[34:37], v24 offset1:1
	ds_read2_b64 v[38:41], v24 offset0:2 offset1:3
	ds_read2_b64 v[42:45], v24 offset0:6 offset1:7
	s_waitcnt lgkmcnt(2)
	v_pk_add_f32 v[26:27], v[32:33], v[34:35]
	ds_read2_b64 v[32:35], v24 offset0:4 offset1:5
	v_pk_add_f32 v[26:27], v[26:27], v[36:37]
	s_waitcnt lgkmcnt(2)
	v_pk_add_f32 v[26:27], v[26:27], v[38:39]
	v_pk_add_f32 v[26:27], v[26:27], v[40:41]
	s_waitcnt lgkmcnt(0)
	v_pk_add_f32 v[26:27], v[26:27], v[32:33]
	v_pk_add_f32 v[26:27], v[26:27], v[34:35]
	;; [unrolled: 1-line block ×4, first 2 shown]
.LBB183_92:
	s_or_b64 exec, exec, s[10:11]
	v_pk_mul_f32 v[26:27], v[8:9], v[20:21] op_sel:[0,1]
	v_pk_fma_f32 v[34:35], v[8:9], v[20:21], v[26:27] op_sel:[0,0,1] op_sel_hi:[1,1,0] neg_lo:[0,0,1] neg_hi:[0,0,1]
	v_pk_fma_f32 v[8:9], v[8:9], v[20:21], v[26:27] op_sel:[0,0,1] op_sel_hi:[1,0,0]
	v_pk_mul_f32 v[20:21], v[10:11], v[4:5] op_sel:[0,1]
	v_mov_b32_e32 v35, v9
	v_pk_fma_f32 v[26:27], v[10:11], v[4:5], v[20:21] op_sel:[0,0,1] op_sel_hi:[1,1,0] neg_lo:[0,0,1] neg_hi:[0,0,1]
	v_pk_fma_f32 v[4:5], v[10:11], v[4:5], v[20:21] op_sel:[0,0,1] op_sel_hi:[1,0,0]
	v_pk_add_f32 v[8:9], v[34:35], 0 op_sel_hi:[1,0]
	v_mov_b32_e32 v27, v5
	v_pk_add_f32 v[4:5], v[8:9], v[26:27]
	v_pk_mul_f32 v[8:9], v[0:1], v[6:7] op_sel:[0,1]
	v_pk_fma_f32 v[10:11], v[0:1], v[6:7], v[8:9] op_sel:[0,0,1] op_sel_hi:[1,1,0] neg_lo:[0,0,1] neg_hi:[0,0,1]
	v_pk_fma_f32 v[0:1], v[0:1], v[6:7], v[8:9] op_sel:[0,0,1] op_sel_hi:[1,0,0]
	v_mov_b32_e32 v11, v1
	v_pk_add_f32 v[0:1], v[4:5], v[10:11]
	v_pk_mul_f32 v[4:5], v[2:3], v[18:19] op_sel:[0,1]
	v_pk_fma_f32 v[6:7], v[2:3], v[18:19], v[4:5] op_sel:[0,0,1] op_sel_hi:[1,1,0] neg_lo:[0,0,1] neg_hi:[0,0,1]
	v_pk_fma_f32 v[2:3], v[2:3], v[18:19], v[4:5] op_sel:[0,0,1] op_sel_hi:[1,0,0]
	v_mov_b32_e32 v7, v3
	v_pk_add_f32 v[0:1], v[0:1], v[6:7]
	s_barrier
	ds_write_b64 v23, v[0:1]
	s_waitcnt lgkmcnt(0)
	s_barrier
	s_and_saveexec_b64 s[8:9], s[2:3]
	s_cbranch_execz .LBB183_94
; %bb.93:
	ds_read2_b64 v[0:3], v24 offset1:1
	ds_read2_b64 v[4:7], v24 offset0:2 offset1:3
	ds_read2_b64 v[8:11], v24 offset0:4 offset1:5
	s_waitcnt lgkmcnt(2)
	v_pk_add_f32 v[0:1], v[32:33], v[0:1]
	v_pk_add_f32 v[18:19], v[0:1], v[2:3]
	ds_read2_b64 v[0:3], v24 offset0:6 offset1:7
	s_waitcnt lgkmcnt(2)
	v_pk_add_f32 v[4:5], v[18:19], v[4:5]
	v_pk_add_f32 v[4:5], v[4:5], v[6:7]
	s_waitcnt lgkmcnt(1)
	v_pk_add_f32 v[4:5], v[4:5], v[8:9]
	v_pk_add_f32 v[4:5], v[4:5], v[10:11]
	;; [unrolled: 3-line block ×3, first 2 shown]
.LBB183_94:
	s_or_b64 exec, exec, s[8:9]
	s_load_dwordx2 s[2:3], s[4:5], 0x68
	s_mul_hi_u32 s4, s33, s26
	s_mul_i32 s41, s41, s26
	s_add_i32 s4, s4, s41
	s_mul_i32 s8, s33, s26
	s_mul_i32 s4, s4, s7
	s_mul_hi_u32 s5, s8, s7
	s_add_i32 s5, s5, s4
	s_mul_i32 s4, s8, s7
	s_lshl_b64 s[4:5], s[4:5], 3
	s_waitcnt lgkmcnt(0)
	s_add_u32 s4, s2, s4
	s_addc_u32 s5, s3, s5
	s_mul_hi_i32 s3, s33, s6
	s_mul_i32 s2, s33, s6
	s_lshl_b64 s[2:3], s[2:3], 3
	s_add_u32 s19, s4, s2
	s_addc_u32 s26, s5, s3
	s_add_i32 s8, s6, 1
	s_cmp_ge_u32 s8, s7
	v_lshlrev_b32_e32 v73, 3, v30
	s_barrier
	s_cbranch_scc1 .LBB183_152
; %bb.95:
	s_mul_i32 s2, s22, s40
	s_ashr_i32 s3, s2, 31
	s_lshl_b64 s[2:3], s[2:3], 3
	v_lshlrev_b32_e32 v130, 2, v71
	v_mov_b32_e32 v0, s3
	v_subrev_co_u32_e32 v131, vcc, s2, v14
	v_subb_co_u32_e32 v132, vcc, v15, v0, vcc
	v_mad_u64_u32 v[0:1], s[2:3], v130, s24, v[30:31]
	s_lshl_b32 s34, s40, 6
	s_lshl_b32 s2, s24, 4
	s_ashr_i32 s25, s24, 31
	s_lshl_b32 s14, s24, 1
	s_mul_i32 s16, s24, 3
	s_mul_i32 s40, s40, s8
	s_add_i32 s33, s7, -2
	s_ashr_i32 s3, s2, 31
	s_ashr_i32 s15, s14, 31
	;; [unrolled: 1-line block ×3, first 2 shown]
	s_lshl_b64 s[4:5], s[24:25], 3
	s_lshl_b32 s10, s40, 6
	s_lshl_b64 s[8:9], s[24:25], 4
	v_ashrrev_i32_e32 v1, 31, v0
	v_sub_co_u32_e32 v133, vcc, 0, v12
	s_add_u32 s11, s8, s30
	v_subb_co_u32_e32 v134, vcc, 0, v13, vcc
	s_addc_u32 s23, s9, s31
	v_lshlrev_b64 v[2:3], 3, v[0:1]
	v_mov_b32_e32 v4, s23
	v_add_co_u32_e32 v5, vcc, s11, v2
	v_addc_co_u32_e32 v4, vcc, v4, v3, vcc
	s_lshl_b64 s[12:13], s[2:3], 5
	v_add_co_u32_e32 v34, vcc, v16, v5
	s_add_u32 s25, s4, s30
	v_addc_co_u32_e32 v29, vcc, v17, v4, vcc
	s_addc_u32 s35, s5, s31
	v_mov_b32_e32 v4, s35
	v_add_co_u32_e32 v5, vcc, s25, v2
	v_addc_co_u32_e32 v4, vcc, v4, v3, vcc
	v_add_co_u32_e32 v36, vcc, v16, v5
	v_addc_co_u32_e32 v31, vcc, v17, v4, vcc
	v_mov_b32_e32 v4, s31
	v_add_co_u32_e32 v5, vcc, s30, v2
	v_addc_co_u32_e32 v4, vcc, v4, v3, vcc
	s_lshl_b64 s[14:15], s[14:15], 3
	v_add_co_u32_e32 v38, vcc, v16, v5
	s_add_u32 s36, s30, s14
	v_addc_co_u32_e32 v35, vcc, v17, v4, vcc
	s_addc_u32 s37, s31, s15
	v_mov_b32_e32 v4, s37
	v_add_co_u32_e32 v5, vcc, s36, v2
	v_addc_co_u32_e32 v4, vcc, v4, v3, vcc
	s_lshl_b64 s[16:17], s[16:17], 3
	v_add_co_u32_e32 v40, vcc, v16, v5
	s_add_u32 s36, s30, s16
	v_addc_co_u32_e32 v37, vcc, v17, v4, vcc
	s_addc_u32 s37, s31, s17
	;; [unrolled: 8-line block ×3, first 2 shown]
	v_mov_b32_e32 v4, s39
	v_add_co_u32_e32 v5, vcc, s38, v2
	v_addc_co_u32_e32 v4, vcc, v4, v3, vcc
	v_add_co_u32_e32 v44, vcc, v16, v5
	s_add_u32 s25, s25, s36
	v_addc_co_u32_e32 v41, vcc, v17, v4, vcc
	s_addc_u32 s35, s35, s37
	v_mov_b32_e32 v4, s35
	v_add_co_u32_e32 v5, vcc, s25, v2
	v_addc_co_u32_e32 v4, vcc, v4, v3, vcc
	v_add_co_u32_e32 v46, vcc, v16, v5
	s_add_u32 s25, s30, s36
	v_addc_co_u32_e32 v43, vcc, v17, v4, vcc
	s_addc_u32 s35, s31, s37
	;; [unrolled: 7-line block ×4, first 2 shown]
	v_mov_b32_e32 v4, s35
	v_add_co_u32_e32 v5, vcc, s25, v2
	v_addc_co_u32_e32 v4, vcc, v4, v3, vcc
	s_lshl_b64 s[36:37], s[2:3], 4
	v_add_co_u32_e32 v52, vcc, v16, v5
	s_add_u32 s3, s11, s36
	v_addc_co_u32_e32 v49, vcc, v17, v4, vcc
	s_addc_u32 s11, s23, s37
	v_mov_b32_e32 v4, s11
	v_add_co_u32_e32 v5, vcc, s3, v2
	s_add_u32 s3, s36, s30
	v_addc_co_u32_e32 v4, vcc, v4, v3, vcc
	s_addc_u32 s11, s37, s31
	v_add_co_u32_e32 v54, vcc, v16, v5
	s_add_u32 s23, s3, s4
	v_addc_co_u32_e32 v51, vcc, v17, v4, vcc
	s_addc_u32 s25, s11, s5
	v_mov_b32_e32 v4, s25
	v_add_co_u32_e32 v5, vcc, s23, v2
	v_addc_co_u32_e32 v4, vcc, v4, v3, vcc
	v_mov_b32_e32 v6, s11
	v_add_co_u32_e32 v7, vcc, s3, v2
	s_add_u32 s23, s3, s14
	v_addc_co_u32_e32 v6, vcc, v6, v3, vcc
	s_addc_u32 s25, s11, s15
	v_mov_b32_e32 v8, s25
	v_add_co_u32_e32 v9, vcc, s23, v2
	s_add_u32 s3, s3, s16
	v_addc_co_u32_e32 v8, vcc, v8, v3, vcc
	s_addc_u32 s11, s11, s17
	v_mov_b32_e32 v10, s11
	v_add_co_u32_e32 v2, vcc, s3, v2
	v_addc_co_u32_e32 v3, vcc, v10, v3, vcc
	s_mul_i32 s3, s24, 0x180
	v_mov_b32_e32 v10, s29
	v_add_co_u32_e32 v0, vcc, s28, v0
	s_mul_hi_i32 s11, s2, 24
	s_add_u32 s3, s3, s8
	v_addc_co_u32_e32 v1, vcc, v10, v1, vcc
	s_addc_u32 s8, s11, s9
	v_lshlrev_b64 v[0:1], 3, v[0:1]
	v_mov_b32_e32 v10, s8
	v_add_co_u32_e32 v11, vcc, s3, v0
	v_addc_co_u32_e32 v10, vcc, v10, v1, vcc
	v_mad_i64_i32 v[0:1], s[2:3], s2, 24, v[0:1]
	v_mov_b32_e32 v12, s5
	v_add_co_u32_e32 v13, vcc, s4, v0
	v_addc_co_u32_e32 v12, vcc, v1, v12, vcc
	v_mov_b32_e32 v14, s15
	v_add_co_u32_e32 v15, vcc, s14, v0
	v_addc_co_u32_e32 v14, vcc, v1, v14, vcc
	;; [unrolled: 3-line block ×3, first 2 shown]
	v_add_co_u32_e32 v56, vcc, v16, v0
	v_addc_co_u32_e32 v53, vcc, v17, v1, vcc
	v_add_co_u32_e32 v58, vcc, v16, v5
	v_addc_co_u32_e32 v55, vcc, v17, v4, vcc
	v_add_co_u32_e32 v60, vcc, v16, v7
	v_addc_co_u32_e32 v57, vcc, v17, v6, vcc
	v_add_co_u32_e32 v62, vcc, v16, v9
	v_addc_co_u32_e32 v59, vcc, v17, v8, vcc
	v_add_co_u32_e32 v64, vcc, v16, v2
	v_addc_co_u32_e32 v61, vcc, v17, v3, vcc
	v_add_co_u32_e32 v66, vcc, v16, v11
	v_addc_co_u32_e32 v63, vcc, v17, v10, vcc
	v_add_co_u32_e32 v68, vcc, v16, v13
	v_and_b32_e32 v2, 48, v30
	v_addc_co_u32_e32 v65, vcc, v17, v12, vcc
	s_movk_i32 s4, 0x218
	v_and_b32_e32 v1, 15, v30
	v_lshlrev_b32_e32 v3, 3, v2
	v_add_co_u32_e32 v70, vcc, v16, v15
	v_lshrrev_b32_e32 v0, 4, v22
	v_mad_u32_u24 v135, v1, s4, v3
	v_or_b32_e32 v3, 0x78, v73
	v_addc_co_u32_e32 v67, vcc, v17, v14, vcc
	v_mad_u32_u24 v136, v1, s4, v3
	v_lshlrev_b32_e32 v3, 5, v0
	v_add_co_u32_e32 v72, vcc, v16, v19
	v_mad_u32_u24 v137, v1, s4, v3
	v_mov_b32_e32 v3, 0x2180
	s_movk_i32 s4, 0x860
	v_mul_i32_i24_e32 v0, 0xffffffe8, v0
	v_add_u32_e32 v2, s22, v2
	v_addc_co_u32_e32 v69, vcc, v17, v18, vcc
	v_cmp_gt_u32_e64 s[2:3], 64, v22
	v_lshl_add_u32 v138, v71, 5, v3
	v_add3_u32 v74, v2, v1, 64
	v_add_u32_e32 v139, v137, v0
	v_add_u32_e32 v140, 0x2180, v73
	;; [unrolled: 1-line block ×3, first 2 shown]
	v_or_b32_e32 v142, 1, v130
	v_or_b32_e32 v143, 2, v130
	;; [unrolled: 1-line block ×3, first 2 shown]
	v_mad_u32_u24 v145, v71, s4, v73
	v_add_u32_e32 v146, 16, v130
	v_add_u32_e32 v147, 17, v130
	;; [unrolled: 1-line block ×12, first 2 shown]
	v_mov_b32_e32 v76, 0
	s_branch .LBB183_97
.LBB183_96:                             ;   in Loop: Header=BB183_97 Depth=1
	s_or_b64 exec, exec, s[4:5]
	v_mul_f32_e32 v0, v87, v79
	v_fma_f32 v0, v86, v78, -v0
	v_mul_f32_e32 v2, v89, v81
	v_add_f32_e32 v0, v32, v0
	v_fma_f32 v2, v88, v80, -v2
	v_add_f32_e32 v0, v0, v2
	v_mul_f32_e32 v2, v91, v83
	v_fma_f32 v2, v90, v82, -v2
	v_mul_f32_e32 v1, v87, v78
	v_add_f32_e32 v0, v0, v2
	v_mul_f32_e32 v2, v93, v85
	v_mul_f32_e32 v3, v89, v80
	v_fma_f32 v2, v92, v84, -v2
	v_fmac_f32_e32 v1, v86, v79
	v_mul_f32_e32 v4, v91, v82
	v_add_f32_e32 v0, v0, v2
	v_add_f32_e32 v1, v33, v1
	v_fmac_f32_e32 v3, v88, v81
	v_mul_f32_e32 v2, v103, v95
	v_mul_f32_e32 v5, v93, v84
	v_add_f32_e32 v1, v1, v3
	v_fmac_f32_e32 v4, v90, v83
	v_fma_f32 v2, v102, v94, -v2
	v_add_f32_e32 v1, v1, v4
	v_fmac_f32_e32 v5, v92, v85
	v_mul_f32_e32 v6, v103, v94
	v_add_f32_e32 v0, v0, v2
	v_mul_f32_e32 v2, v105, v97
	v_add_f32_e32 v1, v1, v5
	v_fma_f32 v2, v104, v96, -v2
	v_mul_f32_e32 v7, v105, v96
	v_fmac_f32_e32 v6, v102, v95
	v_add_f32_e32 v0, v0, v2
	v_mul_f32_e32 v2, v107, v99
	v_mul_f32_e32 v3, v107, v98
	v_add_f32_e32 v1, v1, v6
	v_fmac_f32_e32 v7, v104, v97
	v_fma_f32 v2, v106, v98, -v2
	v_add_f32_e32 v1, v1, v7
	v_fmac_f32_e32 v3, v106, v99
	v_mul_f32_e32 v4, v109, v101
	v_mul_f32_e32 v5, v109, v100
	v_pk_add_f32 v[0:1], v[0:1], v[2:3]
	v_mov_b32_e32 v2, v111
	v_fma_f32 v4, v108, v100, -v4
	v_fmac_f32_e32 v5, v108, v101
	v_pk_mul_f32 v[2:3], v[118:119], v[2:3] op_sel_hi:[1,0]
	v_pk_add_f32 v[0:1], v[0:1], v[4:5]
	v_pk_fma_f32 v[4:5], v[118:119], v[110:111], v[2:3] op_sel:[0,0,1] op_sel_hi:[1,1,0] neg_lo:[0,0,1] neg_hi:[0,0,1]
	v_pk_fma_f32 v[2:3], v[118:119], v[110:111], v[2:3] op_sel:[0,0,1] op_sel_hi:[1,0,0]
	v_mov_b32_e32 v2, v113
	v_mov_b32_e32 v5, v3
	v_pk_mul_f32 v[2:3], v[8:9], v[2:3] op_sel_hi:[1,0]
	v_pk_add_f32 v[0:1], v[0:1], v[4:5]
	v_pk_fma_f32 v[4:5], v[8:9], v[112:113], v[2:3] op_sel:[0,0,1] op_sel_hi:[1,1,0] neg_lo:[0,0,1] neg_hi:[0,0,1]
	v_pk_fma_f32 v[2:3], v[8:9], v[112:113], v[2:3] op_sel:[0,0,1] op_sel_hi:[1,0,0]
	v_mov_b32_e32 v2, v115
	v_mov_b32_e32 v5, v3
	;; [unrolled: 6-line block ×5, first 2 shown]
	v_pk_mul_f32 v[2:3], v[18:19], v[2:3] op_sel_hi:[1,0]
	v_pk_fma_f32 v[6:7], v[18:19], v[124:125], v[2:3] op_sel:[0,0,1] op_sel_hi:[1,1,0] neg_lo:[0,0,1] neg_hi:[0,0,1]
	v_pk_fma_f32 v[2:3], v[18:19], v[124:125], v[2:3] op_sel:[0,0,1] op_sel_hi:[1,0,0]
	v_mov_b32_e32 v2, v127
	v_mov_b32_e32 v7, v3
	v_pk_mul_f32 v[2:3], v[12:13], v[2:3] op_sel_hi:[1,0]
	v_pk_fma_f32 v[8:9], v[12:13], v[126:127], v[2:3] op_sel:[0,0,1] op_sel_hi:[1,1,0] neg_lo:[0,0,1] neg_hi:[0,0,1]
	v_pk_fma_f32 v[2:3], v[12:13], v[126:127], v[2:3] op_sel:[0,0,1] op_sel_hi:[1,0,0]
	v_mov_b32_e32 v2, v129
	v_mov_b32_e32 v9, v3
	v_pk_mul_f32 v[2:3], v[14:15], v[2:3] op_sel_hi:[1,0]
	v_pk_add_f32 v[0:1], v[0:1], v[4:5]
	v_pk_fma_f32 v[10:11], v[14:15], v[128:129], v[2:3] op_sel:[0,0,1] op_sel_hi:[1,1,0] neg_lo:[0,0,1] neg_hi:[0,0,1]
	v_pk_fma_f32 v[2:3], v[14:15], v[128:129], v[2:3] op_sel:[0,0,1] op_sel_hi:[1,0,0]
	v_pk_add_f32 v[0:1], v[0:1], v[6:7]
	v_mov_b32_e32 v11, v3
	v_pk_add_f32 v[0:1], v[0:1], v[8:9]
	v_pk_add_f32 v[32:33], v[0:1], v[10:11]
	v_mov_b32_e32 v0, s13
	v_add_co_u32_e32 v34, vcc, s12, v34
	v_addc_co_u32_e32 v29, vcc, v29, v0, vcc
	v_add_co_u32_e32 v36, vcc, s12, v36
	v_addc_co_u32_e32 v31, vcc, v31, v0, vcc
	;; [unrolled: 2-line block ×19, first 2 shown]
	s_add_i32 s4, s6, 1
	s_add_i32 s10, s10, s34
	;; [unrolled: 1-line block ×3, first 2 shown]
	v_add_co_u32_e32 v72, vcc, s12, v72
	v_add_u32_e32 v74, 64, v74
	v_addc_co_u32_e32 v69, vcc, v69, v0, vcc
	s_cmp_ge_u32 s5, s7
	s_mov_b32 s6, s4
	s_barrier
	s_cbranch_scc1 .LBB183_152
.LBB183_97:                             ; =>This Inner Loop Header: Depth=1
	s_cmp_eq_u32 s33, s6
	s_cselect_b32 s24, s27, 0
	s_and_saveexec_b64 s[4:5], s[0:1]
	s_cbranch_execz .LBB183_102
; %bb.98:                               ;   in Loop: Header=BB183_97 Depth=1
	s_cmp_lg_u32 s24, 0
	s_cselect_b64 s[8:9], -1, 0
	v_cmp_le_i32_e32 vcc, s24, v30
	s_and_b64 s[8:9], s[8:9], vcc
	s_and_saveexec_b64 s[14:15], s[8:9]
	s_xor_b64 s[8:9], exec, s[14:15]
	s_cbranch_execz .LBB183_100
; %bb.99:                               ;   in Loop: Header=BB183_97 Depth=1
	v_mov_b32_e32 v77, v76
	ds_write_b64 v140, v[76:77]
.LBB183_100:                            ;   in Loop: Header=BB183_97 Depth=1
	s_andn2_saveexec_b64 s[8:9], s[8:9]
	s_cbranch_execz .LBB183_102
; %bb.101:                              ;   in Loop: Header=BB183_97 Depth=1
	s_ashr_i32 s11, s10, 31
	s_lshl_b64 s[8:9], s[10:11], 3
	v_mov_b32_e32 v1, s9
	v_add_co_u32_e32 v0, vcc, s8, v131
	v_addc_co_u32_e32 v1, vcc, v132, v1, vcc
	flat_load_dwordx2 v[0:1], v[0:1]
	s_waitcnt vmcnt(0) lgkmcnt(0)
	ds_write_b64 v140, v[0:1]
.LBB183_102:                            ;   in Loop: Header=BB183_97 Depth=1
	s_or_b64 exec, exec, s[4:5]
	s_cmp_eq_u32 s24, 0
	v_add_co_u32_e32 v0, vcc, v38, v133
	s_cselect_b64 s[14:15], -1, 0
	s_cmp_lg_u32 s24, 0
	v_addc_co_u32_e32 v1, vcc, v35, v134, vcc
	s_cselect_b64 s[8:9], -1, 0
	s_and_b64 vcc, exec, s[8:9]
	s_waitcnt lgkmcnt(0)
	s_barrier
	s_cbranch_vccz .LBB183_110
; %bb.103:                              ;   in Loop: Header=BB183_97 Depth=1
	v_pk_mov_b32 v[80:81], 0, 0
	v_cmp_gt_i32_e32 vcc, s24, v130
	v_pk_mov_b32 v[78:79], v[80:81], v[80:81] op_sel:[0,1]
	s_and_saveexec_b64 s[4:5], vcc
	s_cbranch_execz .LBB183_105
; %bb.104:                              ;   in Loop: Header=BB183_97 Depth=1
	flat_load_dwordx2 v[78:79], v[0:1]
.LBB183_105:                            ;   in Loop: Header=BB183_97 Depth=1
	s_or_b64 exec, exec, s[4:5]
	v_cmp_gt_i32_e32 vcc, s24, v142
	s_and_saveexec_b64 s[4:5], vcc
	s_cbranch_execz .LBB183_107
; %bb.106:                              ;   in Loop: Header=BB183_97 Depth=1
	v_add_co_u32_e32 v2, vcc, v36, v133
	v_addc_co_u32_e32 v3, vcc, v31, v134, vcc
	flat_load_dwordx2 v[80:81], v[2:3]
.LBB183_107:                            ;   in Loop: Header=BB183_97 Depth=1
	s_or_b64 exec, exec, s[4:5]
	v_cmp_gt_i32_e32 vcc, s24, v143
	v_pk_mov_b32 v[82:83], 0, 0
	s_and_saveexec_b64 s[4:5], vcc
	s_cbranch_execz .LBB183_109
; %bb.108:                              ;   in Loop: Header=BB183_97 Depth=1
	v_add_co_u32_e32 v2, vcc, v40, v133
	v_addc_co_u32_e32 v3, vcc, v37, v134, vcc
	flat_load_dwordx2 v[82:83], v[2:3]
.LBB183_109:                            ;   in Loop: Header=BB183_97 Depth=1
	s_or_b64 exec, exec, s[4:5]
	v_cmp_gt_i32_e64 s[4:5], s24, v144
	s_mov_b64 s[16:17], 0
	s_branch .LBB183_112
.LBB183_110:                            ;   in Loop: Header=BB183_97 Depth=1
	s_mov_b64 s[4:5], 0
                                        ; implicit-def: $sgpr16_sgpr17
                                        ; implicit-def: $vgpr82_vgpr83
                                        ; implicit-def: $vgpr80_vgpr81
                                        ; implicit-def: $vgpr78_vgpr79
	s_cbranch_execz .LBB183_112
; %bb.111:                              ;   in Loop: Header=BB183_97 Depth=1
	s_waitcnt vmcnt(0) lgkmcnt(0)
	flat_load_dwordx2 v[78:79], v[0:1]
	v_add_co_u32_e32 v0, vcc, v36, v133
	v_addc_co_u32_e32 v1, vcc, v31, v134, vcc
	flat_load_dwordx2 v[80:81], v[0:1]
	v_add_co_u32_e32 v0, vcc, v34, v133
	v_addc_co_u32_e32 v1, vcc, v29, v134, vcc
	flat_load_dwordx2 v[82:83], v[0:1]
	s_or_b64 s[4:5], s[4:5], exec
                                        ; implicit-def: $sgpr16_sgpr17
.LBB183_112:                            ;   in Loop: Header=BB183_97 Depth=1
	v_pk_mov_b32 v[84:85], s[16:17], s[16:17] op_sel:[0,1]
	s_and_saveexec_b64 s[16:17], s[4:5]
	s_cbranch_execz .LBB183_114
; %bb.113:                              ;   in Loop: Header=BB183_97 Depth=1
	v_add_co_u32_e32 v0, vcc, v42, v133
	v_addc_co_u32_e32 v1, vcc, v39, v134, vcc
	flat_load_dwordx2 v[84:85], v[0:1]
.LBB183_114:                            ;   in Loop: Header=BB183_97 Depth=1
	s_or_b64 exec, exec, s[16:17]
	ds_read_b64 v[0:1], v141
	ds_read_b64 v[86:87], v138
	v_cndmask_b32_e64 v8, 0, 1, s[8:9]
	v_cmp_ne_u32_e64 s[4:5], 1, v8
	s_andn2_b64 vcc, exec, s[8:9]
	s_waitcnt vmcnt(0) lgkmcnt(0)
	v_mul_f32_e32 v2, v1, v79
	v_mul_f32_e32 v3, v1, v78
	v_fma_f32 v2, v0, v78, -v2
	v_fmac_f32_e32 v3, v0, v79
	v_mul_f32_e32 v4, v1, v81
	ds_write_b64 v145, v[2:3]
	v_mul_f32_e32 v3, v1, v80
	v_fma_f32 v2, v0, v80, -v4
	v_fmac_f32_e32 v3, v0, v81
	ds_read_b64 v[88:89], v138 offset:8
	ds_write_b64 v145, v[2:3] offset:536
	v_mul_f32_e32 v2, v1, v83
	v_mul_f32_e32 v3, v1, v82
	v_fma_f32 v2, v0, v82, -v2
	v_fmac_f32_e32 v3, v0, v83
	ds_read_b64 v[90:91], v138 offset:16
	ds_write_b64 v145, v[2:3] offset:1072
	v_mul_f32_e32 v2, v1, v85
	v_mul_f32_e32 v3, v0, v85
	v_fma_f32 v2, v0, v84, -v2
	v_fmac_f32_e32 v3, v1, v84
	ds_read_b64 v[92:93], v138 offset:24
	ds_write_b64 v145, v[2:3] offset:1608
	s_waitcnt lgkmcnt(0)
	s_barrier
	ds_read2_b64 v[4:7], v137 offset1:1
	ds_read2_b64 v[0:3], v137 offset0:2 offset1:3
	v_add_co_u32_e64 v8, s[8:9], v48, v133
	v_addc_co_u32_e64 v9, s[8:9], v45, v134, s[8:9]
	s_waitcnt lgkmcnt(0)
	s_barrier
	s_cbranch_vccnz .LBB183_122
; %bb.115:                              ;   in Loop: Header=BB183_97 Depth=1
	v_pk_mov_b32 v[96:97], 0, 0
	v_cmp_gt_i32_e32 vcc, s24, v146
	v_pk_mov_b32 v[94:95], v[96:97], v[96:97] op_sel:[0,1]
	s_and_saveexec_b64 s[8:9], vcc
	s_cbranch_execz .LBB183_117
; %bb.116:                              ;   in Loop: Header=BB183_97 Depth=1
	flat_load_dwordx2 v[94:95], v[8:9]
.LBB183_117:                            ;   in Loop: Header=BB183_97 Depth=1
	s_or_b64 exec, exec, s[8:9]
	v_cmp_gt_i32_e32 vcc, s24, v147
	s_and_saveexec_b64 s[8:9], vcc
	s_cbranch_execz .LBB183_119
; %bb.118:                              ;   in Loop: Header=BB183_97 Depth=1
	v_add_co_u32_e32 v10, vcc, v46, v133
	v_addc_co_u32_e32 v11, vcc, v43, v134, vcc
	flat_load_dwordx2 v[96:97], v[10:11]
.LBB183_119:                            ;   in Loop: Header=BB183_97 Depth=1
	s_or_b64 exec, exec, s[8:9]
	v_cmp_gt_i32_e32 vcc, s24, v148
	v_pk_mov_b32 v[98:99], 0, 0
	s_and_saveexec_b64 s[8:9], vcc
	s_cbranch_execz .LBB183_121
; %bb.120:                              ;   in Loop: Header=BB183_97 Depth=1
	v_add_co_u32_e32 v10, vcc, v50, v133
	v_addc_co_u32_e32 v11, vcc, v47, v134, vcc
	flat_load_dwordx2 v[98:99], v[10:11]
.LBB183_121:                            ;   in Loop: Header=BB183_97 Depth=1
	s_or_b64 exec, exec, s[8:9]
	v_cmp_gt_i32_e64 s[8:9], s24, v149
	s_mov_b64 s[16:17], 0
	s_branch .LBB183_124
.LBB183_122:                            ;   in Loop: Header=BB183_97 Depth=1
	s_mov_b64 s[8:9], 0
                                        ; implicit-def: $sgpr16_sgpr17
                                        ; implicit-def: $vgpr98_vgpr99
                                        ; implicit-def: $vgpr96_vgpr97
                                        ; implicit-def: $vgpr94_vgpr95
	s_cbranch_execz .LBB183_124
; %bb.123:                              ;   in Loop: Header=BB183_97 Depth=1
	s_waitcnt vmcnt(0) lgkmcnt(0)
	flat_load_dwordx2 v[94:95], v[8:9]
	v_add_co_u32_e32 v8, vcc, v46, v133
	v_addc_co_u32_e32 v9, vcc, v43, v134, vcc
	flat_load_dwordx2 v[96:97], v[8:9]
	v_add_co_u32_e32 v8, vcc, v44, v133
	v_addc_co_u32_e32 v9, vcc, v41, v134, vcc
	flat_load_dwordx2 v[98:99], v[8:9]
	s_or_b64 s[8:9], s[8:9], exec
                                        ; implicit-def: $sgpr16_sgpr17
.LBB183_124:                            ;   in Loop: Header=BB183_97 Depth=1
	v_pk_mov_b32 v[100:101], s[16:17], s[16:17] op_sel:[0,1]
	s_and_saveexec_b64 s[16:17], s[8:9]
	s_cbranch_execz .LBB183_126
; %bb.125:                              ;   in Loop: Header=BB183_97 Depth=1
	v_add_co_u32_e32 v8, vcc, v52, v133
	v_addc_co_u32_e32 v9, vcc, v49, v134, vcc
	flat_load_dwordx2 v[100:101], v[8:9]
.LBB183_126:                            ;   in Loop: Header=BB183_97 Depth=1
	s_or_b64 exec, exec, s[16:17]
	ds_read_b64 v[8:9], v141
	ds_read_b64 v[102:103], v138 offset:128
	s_and_b64 vcc, exec, s[4:5]
	s_waitcnt vmcnt(0) lgkmcnt(0)
	v_mul_f32_e32 v10, v9, v95
	v_mul_f32_e32 v11, v9, v94
	v_fma_f32 v10, v8, v94, -v10
	v_fmac_f32_e32 v11, v8, v95
	v_mul_f32_e32 v12, v9, v97
	ds_write_b64 v145, v[10:11]
	v_mul_f32_e32 v11, v9, v96
	v_fma_f32 v10, v8, v96, -v12
	v_fmac_f32_e32 v11, v8, v97
	ds_read_b64 v[104:105], v138 offset:136
	ds_write_b64 v145, v[10:11] offset:536
	v_mul_f32_e32 v10, v9, v99
	v_mul_f32_e32 v11, v9, v98
	v_fma_f32 v10, v8, v98, -v10
	v_fmac_f32_e32 v11, v8, v99
	ds_read_b64 v[106:107], v138 offset:144
	ds_write_b64 v145, v[10:11] offset:1072
	v_mul_f32_e32 v10, v9, v101
	v_mul_f32_e32 v11, v8, v101
	v_fma_f32 v10, v8, v100, -v10
	v_fmac_f32_e32 v11, v9, v100
	ds_read_b64 v[108:109], v138 offset:152
	ds_write_b64 v145, v[10:11] offset:1608
	s_waitcnt lgkmcnt(0)
	s_barrier
	ds_read2_b64 v[16:19], v137 offset1:1
	ds_read2_b64 v[12:15], v137 offset0:2 offset1:3
	v_add_co_u32_e64 v8, s[8:9], v60, v133
	v_addc_co_u32_e64 v9, s[8:9], v57, v134, s[8:9]
	s_waitcnt lgkmcnt(0)
	s_barrier
	s_cbranch_vccnz .LBB183_134
; %bb.127:                              ;   in Loop: Header=BB183_97 Depth=1
	v_pk_mov_b32 v[112:113], 0, 0
	v_cmp_gt_i32_e32 vcc, s24, v150
	v_pk_mov_b32 v[110:111], v[112:113], v[112:113] op_sel:[0,1]
	s_and_saveexec_b64 s[8:9], vcc
	s_cbranch_execz .LBB183_129
; %bb.128:                              ;   in Loop: Header=BB183_97 Depth=1
	flat_load_dwordx2 v[110:111], v[8:9]
.LBB183_129:                            ;   in Loop: Header=BB183_97 Depth=1
	s_or_b64 exec, exec, s[8:9]
	v_cmp_gt_i32_e32 vcc, s24, v151
	s_and_saveexec_b64 s[8:9], vcc
	s_cbranch_execz .LBB183_131
; %bb.130:                              ;   in Loop: Header=BB183_97 Depth=1
	v_add_co_u32_e32 v10, vcc, v58, v133
	v_addc_co_u32_e32 v11, vcc, v55, v134, vcc
	flat_load_dwordx2 v[112:113], v[10:11]
.LBB183_131:                            ;   in Loop: Header=BB183_97 Depth=1
	s_or_b64 exec, exec, s[8:9]
	v_cmp_gt_i32_e32 vcc, s24, v152
	v_pk_mov_b32 v[114:115], 0, 0
	s_and_saveexec_b64 s[8:9], vcc
	s_cbranch_execz .LBB183_133
; %bb.132:                              ;   in Loop: Header=BB183_97 Depth=1
	v_add_co_u32_e32 v10, vcc, v62, v133
	v_addc_co_u32_e32 v11, vcc, v59, v134, vcc
	flat_load_dwordx2 v[114:115], v[10:11]
.LBB183_133:                            ;   in Loop: Header=BB183_97 Depth=1
	s_or_b64 exec, exec, s[8:9]
	v_cmp_gt_i32_e64 s[8:9], s24, v153
	s_mov_b64 s[16:17], 0
	s_branch .LBB183_136
.LBB183_134:                            ;   in Loop: Header=BB183_97 Depth=1
	s_mov_b64 s[8:9], 0
                                        ; implicit-def: $sgpr16_sgpr17
                                        ; implicit-def: $vgpr114_vgpr115
                                        ; implicit-def: $vgpr112_vgpr113
                                        ; implicit-def: $vgpr110_vgpr111
	s_cbranch_execz .LBB183_136
; %bb.135:                              ;   in Loop: Header=BB183_97 Depth=1
	s_waitcnt vmcnt(0) lgkmcnt(0)
	flat_load_dwordx2 v[110:111], v[8:9]
	v_add_co_u32_e32 v8, vcc, v58, v133
	v_addc_co_u32_e32 v9, vcc, v55, v134, vcc
	flat_load_dwordx2 v[112:113], v[8:9]
	v_add_co_u32_e32 v8, vcc, v54, v133
	v_addc_co_u32_e32 v9, vcc, v51, v134, vcc
	flat_load_dwordx2 v[114:115], v[8:9]
	s_or_b64 s[8:9], s[8:9], exec
                                        ; implicit-def: $sgpr16_sgpr17
.LBB183_136:                            ;   in Loop: Header=BB183_97 Depth=1
	v_pk_mov_b32 v[116:117], s[16:17], s[16:17] op_sel:[0,1]
	s_and_saveexec_b64 s[16:17], s[8:9]
	s_cbranch_execz .LBB183_138
; %bb.137:                              ;   in Loop: Header=BB183_97 Depth=1
	v_add_co_u32_e32 v8, vcc, v64, v133
	v_addc_co_u32_e32 v9, vcc, v61, v134, vcc
	flat_load_dwordx2 v[116:117], v[8:9]
.LBB183_138:                            ;   in Loop: Header=BB183_97 Depth=1
	s_or_b64 exec, exec, s[16:17]
	ds_read_b64 v[8:9], v141
	ds_read_b64 v[118:119], v138 offset:256
	s_and_b64 vcc, exec, s[4:5]
	v_add_co_u32_e64 v128, s[4:5], v56, v133
	s_waitcnt vmcnt(0) lgkmcnt(0)
	v_mul_f32_e32 v10, v9, v111
	v_mul_f32_e32 v11, v9, v110
	;; [unrolled: 1-line block ×4, first 2 shown]
	v_fma_f32 v10, v8, v110, -v10
	v_fmac_f32_e32 v11, v8, v111
	v_fma_f32 v20, v8, v112, -v20
	v_fmac_f32_e32 v21, v8, v113
	ds_write2_b64 v145, v[10:11], v[20:21] offset1:67
	v_mul_f32_e32 v10, v9, v115
	v_mul_f32_e32 v11, v9, v114
	;; [unrolled: 1-line block ×4, first 2 shown]
	v_fma_f32 v10, v8, v114, -v10
	v_fmac_f32_e32 v11, v8, v115
	v_fma_f32 v20, v8, v116, -v20
	v_fmac_f32_e32 v21, v9, v116
	ds_write2_b64 v145, v[10:11], v[20:21] offset0:134 offset1:201
	ds_read2_b64 v[8:11], v138 offset0:33 offset1:34
	ds_read_b64 v[120:121], v138 offset:280
	s_waitcnt lgkmcnt(0)
	s_barrier
	ds_read2_b64 v[24:27], v137 offset1:1
	ds_read2_b64 v[20:23], v137 offset0:2 offset1:3
	v_addc_co_u32_e64 v129, s[4:5], v53, v134, s[4:5]
	s_waitcnt lgkmcnt(0)
	s_barrier
	s_cbranch_vccnz .LBB183_146
; %bb.139:                              ;   in Loop: Header=BB183_97 Depth=1
	v_pk_mov_b32 v[124:125], 0, 0
	v_cmp_gt_i32_e32 vcc, s24, v154
	v_pk_mov_b32 v[122:123], v[124:125], v[124:125] op_sel:[0,1]
	s_and_saveexec_b64 s[4:5], vcc
	s_cbranch_execz .LBB183_141
; %bb.140:                              ;   in Loop: Header=BB183_97 Depth=1
	flat_load_dwordx2 v[122:123], v[128:129]
.LBB183_141:                            ;   in Loop: Header=BB183_97 Depth=1
	s_or_b64 exec, exec, s[4:5]
	v_cmp_gt_i32_e32 vcc, s24, v155
	s_and_saveexec_b64 s[4:5], vcc
	s_cbranch_execz .LBB183_143
; %bb.142:                              ;   in Loop: Header=BB183_97 Depth=1
	v_add_co_u32_e32 v124, vcc, v68, v133
	v_addc_co_u32_e32 v125, vcc, v65, v134, vcc
	flat_load_dwordx2 v[124:125], v[124:125]
.LBB183_143:                            ;   in Loop: Header=BB183_97 Depth=1
	s_or_b64 exec, exec, s[4:5]
	v_cmp_gt_i32_e32 vcc, s24, v156
	v_pk_mov_b32 v[126:127], 0, 0
	s_and_saveexec_b64 s[4:5], vcc
	s_cbranch_execz .LBB183_145
; %bb.144:                              ;   in Loop: Header=BB183_97 Depth=1
	v_add_co_u32_e32 v126, vcc, v70, v133
	v_addc_co_u32_e32 v127, vcc, v67, v134, vcc
	flat_load_dwordx2 v[126:127], v[126:127]
.LBB183_145:                            ;   in Loop: Header=BB183_97 Depth=1
	s_or_b64 exec, exec, s[4:5]
	v_cmp_gt_i32_e64 s[4:5], s24, v157
	s_mov_b64 s[8:9], 0
	s_branch .LBB183_148
.LBB183_146:                            ;   in Loop: Header=BB183_97 Depth=1
	s_mov_b64 s[4:5], 0
                                        ; implicit-def: $sgpr8_sgpr9
                                        ; implicit-def: $vgpr126_vgpr127
                                        ; implicit-def: $vgpr124_vgpr125
                                        ; implicit-def: $vgpr122_vgpr123
	s_cbranch_execz .LBB183_148
; %bb.147:                              ;   in Loop: Header=BB183_97 Depth=1
	s_waitcnt vmcnt(0) lgkmcnt(0)
	v_add_co_u32_e32 v124, vcc, v68, v133
	v_addc_co_u32_e32 v125, vcc, v65, v134, vcc
	v_add_co_u32_e32 v126, vcc, v66, v133
	v_addc_co_u32_e32 v127, vcc, v63, v134, vcc
	flat_load_dwordx2 v[122:123], v[128:129]
	s_or_b64 s[4:5], s[4:5], exec
	flat_load_dwordx2 v[124:125], v[124:125]
                                        ; implicit-def: $sgpr8_sgpr9
	s_nop 0
	flat_load_dwordx2 v[126:127], v[126:127]
.LBB183_148:                            ;   in Loop: Header=BB183_97 Depth=1
	v_pk_mov_b32 v[128:129], s[8:9], s[8:9] op_sel:[0,1]
	s_and_saveexec_b64 s[8:9], s[4:5]
	s_cbranch_execz .LBB183_150
; %bb.149:                              ;   in Loop: Header=BB183_97 Depth=1
	v_add_co_u32_e32 v128, vcc, v72, v133
	v_addc_co_u32_e32 v129, vcc, v69, v134, vcc
	flat_load_dwordx2 v[128:129], v[128:129]
.LBB183_150:                            ;   in Loop: Header=BB183_97 Depth=1
	s_or_b64 exec, exec, s[8:9]
	v_pk_add_f32 v[24:25], v[24:25], 0 op_sel_hi:[1,0]
	v_pk_add_f32 v[24:25], v[24:25], v[26:27]
	v_pk_add_f32 v[20:21], v[24:25], v[20:21]
	;; [unrolled: 1-line block ×3, first 2 shown]
	ds_read_b64 v[20:21], v141
	v_pk_add_f32 v[16:17], v[16:17], 0 op_sel_hi:[1,0]
	v_pk_add_f32 v[16:17], v[16:17], v[18:19]
	v_pk_add_f32 v[12:13], v[16:17], v[12:13]
	;; [unrolled: 1-line block ×3, first 2 shown]
	s_waitcnt vmcnt(0) lgkmcnt(0)
	v_mul_f32_e32 v12, v21, v123
	v_mul_f32_e32 v13, v21, v122
	;; [unrolled: 1-line block ×4, first 2 shown]
	v_fma_f32 v12, v20, v122, -v12
	v_fmac_f32_e32 v13, v20, v123
	v_fma_f32 v14, v20, v124, -v14
	v_fmac_f32_e32 v15, v20, v125
	ds_write2_b64 v145, v[12:13], v[14:15] offset1:67
	v_mul_f32_e32 v12, v21, v127
	v_mul_f32_e32 v13, v21, v126
	;; [unrolled: 1-line block ×4, first 2 shown]
	v_fma_f32 v12, v20, v126, -v12
	v_fmac_f32_e32 v13, v20, v127
	v_fma_f32 v14, v20, v128, -v14
	v_fmac_f32_e32 v15, v21, v128
	ds_write2_b64 v145, v[12:13], v[14:15] offset0:134 offset1:201
	ds_read_b128 v[16:19], v138 offset:384
	ds_read_b128 v[12:15], v138 offset:400
	s_waitcnt lgkmcnt(0)
	s_barrier
	ds_read2_b64 v[20:23], v137 offset1:1
	v_pk_add_f32 v[4:5], v[4:5], 0 op_sel_hi:[1,0]
	v_pk_add_f32 v[158:159], v[4:5], v[6:7]
	ds_read2_b64 v[4:7], v137 offset0:2 offset1:3
	v_pk_add_f32 v[0:1], v[158:159], v[0:1]
	v_pk_add_f32 v[0:1], v[0:1], v[2:3]
	s_waitcnt lgkmcnt(1)
	v_pk_add_f32 v[2:3], v[20:21], 0 op_sel_hi:[1,0]
	v_cmp_gt_i32_e32 vcc, s24, v30
	v_pk_add_f32 v[2:3], v[2:3], v[22:23]
	s_or_b64 s[4:5], s[14:15], vcc
	s_waitcnt lgkmcnt(0)
	v_pk_add_f32 v[2:3], v[2:3], v[4:5]
	s_and_b64 s[8:9], s[2:3], s[4:5]
	v_pk_add_f32 v[2:3], v[2:3], v[6:7]
	s_barrier
	ds_write2_b64 v139, v[0:1], v[26:27] offset1:16
	ds_write2_b64 v139, v[24:25], v[2:3] offset0:32 offset1:48
	s_waitcnt lgkmcnt(0)
	s_barrier
	s_and_saveexec_b64 s[4:5], s[8:9]
	s_cbranch_execz .LBB183_96
; %bb.151:                              ;   in Loop: Header=BB183_97 Depth=1
	ds_read_b64 v[20:21], v135
	ds_read2_b64 v[0:3], v135 offset0:1 offset1:2
	ds_read2_b64 v[4:7], v135 offset0:3 offset1:4
	v_ashrrev_i32_e32 v75, 31, v74
	v_lshlrev_b64 v[22:23], 3, v[74:75]
	v_mov_b32_e32 v25, s26
	s_waitcnt lgkmcnt(1)
	v_add_f32_e32 v0, v0, v20
	v_add_f32_e32 v1, v1, v21
	;; [unrolled: 1-line block ×4, first 2 shown]
	ds_read2_b64 v[0:3], v135 offset0:5 offset1:6
	s_waitcnt lgkmcnt(1)
	v_add_f32_e32 v4, v20, v4
	v_add_f32_e32 v5, v21, v5
	;; [unrolled: 1-line block ×4, first 2 shown]
	ds_read2_b64 v[4:7], v135 offset0:7 offset1:8
	v_add_co_u32_e32 v24, vcc, s19, v22
	v_addc_co_u32_e32 v25, vcc, v25, v23, vcc
	s_waitcnt lgkmcnt(1)
	v_pk_add_f32 v[0:1], v[20:21], v[0:1]
	ds_read2_b64 v[20:23], v135 offset0:9 offset1:10
	v_pk_add_f32 v[0:1], v[0:1], v[2:3]
	s_waitcnt lgkmcnt(1)
	v_pk_add_f32 v[0:1], v[0:1], v[4:5]
	v_pk_add_f32 v[4:5], v[0:1], v[6:7]
	ds_read2_b64 v[0:3], v135 offset0:11 offset1:12
	s_waitcnt lgkmcnt(1)
	v_pk_add_f32 v[20:21], v[4:5], v[20:21]
	ds_read2_b64 v[4:7], v135 offset0:13 offset1:14
	v_pk_add_f32 v[20:21], v[20:21], v[22:23]
	ds_read_b64 v[22:23], v136
	s_waitcnt lgkmcnt(2)
	v_pk_add_f32 v[0:1], v[20:21], v[0:1]
	v_pk_add_f32 v[0:1], v[0:1], v[2:3]
	s_waitcnt lgkmcnt(1)
	v_pk_add_f32 v[0:1], v[0:1], v[4:5]
	v_pk_add_f32 v[0:1], v[0:1], v[6:7]
	s_waitcnt lgkmcnt(0)
	v_pk_add_f32 v[0:1], v[0:1], v[22:23]
	global_store_dwordx2 v[24:25], v[0:1], off
	s_branch .LBB183_96
.LBB183_152:
	s_movk_i32 s2, 0x218
	v_cmp_gt_i32_e32 vcc, s18, v30
	v_mad_u32_u24 v0, v71, s2, v73
	s_or_b64 s[2:3], s[20:21], vcc
	s_and_b64 s[0:1], s[0:1], s[2:3]
	ds_write_b64 v0, v[32:33]
	s_waitcnt lgkmcnt(0)
	s_barrier
	s_and_saveexec_b64 s[2:3], s[0:1]
	s_cbranch_execz .LBB183_154
; %bb.153:
	ds_read2_b64 v[0:3], v73 offset1:67
	ds_read2_b64 v[4:7], v73 offset0:134 offset1:201
	v_ashrrev_i32_e32 v29, 31, v28
	v_lshlrev_b64 v[8:9], 3, v[28:29]
	v_mov_b32_e32 v10, s26
	s_waitcnt lgkmcnt(1)
	v_pk_add_f32 v[0:1], v[2:3], v[0:1]
	v_add_co_u32_e32 v8, vcc, s19, v8
	s_waitcnt lgkmcnt(0)
	v_pk_add_f32 v[0:1], v[0:1], v[4:5]
	v_addc_co_u32_e32 v9, vcc, v10, v9, vcc
	v_pk_add_f32 v[0:1], v[0:1], v[6:7]
	global_store_dwordx2 v[8:9], v[0:1], off
.LBB183_154:
	s_endpgm
	.section	.rodata,"a",@progbits
	.p2align	6, 0x0
	.amdhsa_kernel _ZL26rocblas_hemvn_kernel_upperILb0ELi64ELi4ELi33ELi32ELi16Ei19rocblas_complex_numIfEPKPKS1_PS1_EviT6_lT7_lT5_lS8_lS9_lS7_lT8_i
		.amdhsa_group_segment_fixed_size 9600
		.amdhsa_private_segment_fixed_size 0
		.amdhsa_kernarg_size 376
		.amdhsa_user_sgpr_count 6
		.amdhsa_user_sgpr_private_segment_buffer 1
		.amdhsa_user_sgpr_dispatch_ptr 0
		.amdhsa_user_sgpr_queue_ptr 0
		.amdhsa_user_sgpr_kernarg_segment_ptr 1
		.amdhsa_user_sgpr_dispatch_id 0
		.amdhsa_user_sgpr_flat_scratch_init 0
		.amdhsa_user_sgpr_kernarg_preload_length 0
		.amdhsa_user_sgpr_kernarg_preload_offset 0
		.amdhsa_user_sgpr_private_segment_size 0
		.amdhsa_uses_dynamic_stack 0
		.amdhsa_system_sgpr_private_segment_wavefront_offset 0
		.amdhsa_system_sgpr_workgroup_id_x 1
		.amdhsa_system_sgpr_workgroup_id_y 0
		.amdhsa_system_sgpr_workgroup_id_z 1
		.amdhsa_system_sgpr_workgroup_info 0
		.amdhsa_system_vgpr_workitem_id 1
		.amdhsa_next_free_vgpr 160
		.amdhsa_next_free_sgpr 44
		.amdhsa_accum_offset 160
		.amdhsa_reserve_vcc 1
		.amdhsa_reserve_flat_scratch 0
		.amdhsa_float_round_mode_32 0
		.amdhsa_float_round_mode_16_64 0
		.amdhsa_float_denorm_mode_32 3
		.amdhsa_float_denorm_mode_16_64 3
		.amdhsa_dx10_clamp 1
		.amdhsa_ieee_mode 1
		.amdhsa_fp16_overflow 0
		.amdhsa_tg_split 0
		.amdhsa_exception_fp_ieee_invalid_op 0
		.amdhsa_exception_fp_denorm_src 0
		.amdhsa_exception_fp_ieee_div_zero 0
		.amdhsa_exception_fp_ieee_overflow 0
		.amdhsa_exception_fp_ieee_underflow 0
		.amdhsa_exception_fp_ieee_inexact 0
		.amdhsa_exception_int_div_zero 0
	.end_amdhsa_kernel
	.section	.text._ZL26rocblas_hemvn_kernel_upperILb0ELi64ELi4ELi33ELi32ELi16Ei19rocblas_complex_numIfEPKPKS1_PS1_EviT6_lT7_lT5_lS8_lS9_lS7_lT8_i,"axG",@progbits,_ZL26rocblas_hemvn_kernel_upperILb0ELi64ELi4ELi33ELi32ELi16Ei19rocblas_complex_numIfEPKPKS1_PS1_EviT6_lT7_lT5_lS8_lS9_lS7_lT8_i,comdat
.Lfunc_end183:
	.size	_ZL26rocblas_hemvn_kernel_upperILb0ELi64ELi4ELi33ELi32ELi16Ei19rocblas_complex_numIfEPKPKS1_PS1_EviT6_lT7_lT5_lS8_lS9_lS7_lT8_i, .Lfunc_end183-_ZL26rocblas_hemvn_kernel_upperILb0ELi64ELi4ELi33ELi32ELi16Ei19rocblas_complex_numIfEPKPKS1_PS1_EviT6_lT7_lT5_lS8_lS9_lS7_lT8_i
                                        ; -- End function
	.section	.AMDGPU.csdata,"",@progbits
; Kernel info:
; codeLenInByte = 8664
; NumSgprs: 48
; NumVgprs: 160
; NumAgprs: 0
; TotalNumVgprs: 160
; ScratchSize: 0
; MemoryBound: 1
; FloatMode: 240
; IeeeMode: 1
; LDSByteSize: 9600 bytes/workgroup (compile time only)
; SGPRBlocks: 5
; VGPRBlocks: 19
; NumSGPRsForWavesPerEU: 48
; NumVGPRsForWavesPerEU: 160
; AccumOffset: 160
; Occupancy: 3
; WaveLimiterHint : 1
; COMPUTE_PGM_RSRC2:SCRATCH_EN: 0
; COMPUTE_PGM_RSRC2:USER_SGPR: 6
; COMPUTE_PGM_RSRC2:TRAP_HANDLER: 0
; COMPUTE_PGM_RSRC2:TGID_X_EN: 1
; COMPUTE_PGM_RSRC2:TGID_Y_EN: 0
; COMPUTE_PGM_RSRC2:TGID_Z_EN: 1
; COMPUTE_PGM_RSRC2:TIDIG_COMP_CNT: 1
; COMPUTE_PGM_RSRC3_GFX90A:ACCUM_OFFSET: 39
; COMPUTE_PGM_RSRC3_GFX90A:TG_SPLIT: 0
	.section	.text._ZL26rocblas_hemvn_kernel_lowerILb0ELi64ELi4ELi33ELi32ELi16ElPK19rocblas_complex_numIfEPKS3_PS1_EviT6_lT7_lT5_lS8_lS9_lS7_lT8_i,"axG",@progbits,_ZL26rocblas_hemvn_kernel_lowerILb0ELi64ELi4ELi33ELi32ELi16ElPK19rocblas_complex_numIfEPKS3_PS1_EviT6_lT7_lT5_lS8_lS9_lS7_lT8_i,comdat
	.globl	_ZL26rocblas_hemvn_kernel_lowerILb0ELi64ELi4ELi33ELi32ELi16ElPK19rocblas_complex_numIfEPKS3_PS1_EviT6_lT7_lT5_lS8_lS9_lS7_lT8_i ; -- Begin function _ZL26rocblas_hemvn_kernel_lowerILb0ELi64ELi4ELi33ELi32ELi16ElPK19rocblas_complex_numIfEPKS3_PS1_EviT6_lT7_lT5_lS8_lS9_lS7_lT8_i
	.p2align	8
	.type	_ZL26rocblas_hemvn_kernel_lowerILb0ELi64ELi4ELi33ELi32ELi16ElPK19rocblas_complex_numIfEPKS3_PS1_EviT6_lT7_lT5_lS8_lS9_lS7_lT8_i,@function
_ZL26rocblas_hemvn_kernel_lowerILb0ELi64ELi4ELi33ELi32ELi16ElPK19rocblas_complex_numIfEPKS3_PS1_EviT6_lT7_lT5_lS8_lS9_lS7_lT8_i: ; @_ZL26rocblas_hemvn_kernel_lowerILb0ELi64ELi4ELi33ELi32ELi16ElPK19rocblas_complex_numIfEPKS3_PS1_EviT6_lT7_lT5_lS8_lS9_lS7_lT8_i
; %bb.0:
	s_load_dwordx2 s[0:1], s[4:5], 0x84
	s_add_u32 s18, s4, 0x78
	s_addc_u32 s19, s5, 0
	s_waitcnt lgkmcnt(0)
	s_lshr_b32 s2, s0, 16
	s_and_b32 s0, s0, 0xffff
	s_and_b32 s1, s1, 0xffff
	s_mul_i32 s0, s2, s0
	s_mul_i32 s0, s0, s1
	s_cmpk_lg_i32 s0, 0x100
	s_cbranch_scc1 .LBB184_103
; %bb.1:
	s_load_dwordx8 s[8:15], s[4:5], 0x8
	s_mov_b32 s26, s7
	s_mov_b32 s27, 0
	s_waitcnt lgkmcnt(0)
	s_mul_i32 s0, s7, s11
	s_mul_hi_u32 s1, s7, s10
	s_add_i32 s1, s1, s0
	s_mul_i32 s0, s7, s10
	s_lshl_b64 s[0:1], s[0:1], 3
	s_add_u32 s8, s8, s0
	s_addc_u32 s9, s9, s1
	s_load_dwordx2 s[10:11], s[8:9], 0x0
	s_load_dwordx2 s[28:29], s[4:5], 0x68
	;; [unrolled: 1-line block ×3, first 2 shown]
	s_load_dwordx4 s[0:3], s[4:5], 0x58
	s_waitcnt lgkmcnt(0)
	s_or_b32 s7, s10, s11
	s_bitset0_b32 s7, 31
	s_cmp_lg_u32 s7, 0
	s_cselect_b64 s[22:23], -1, 0
	s_and_b64 vcc, exec, s[22:23]
	s_cbranch_vccnz .LBB184_4
; %bb.2:
	s_mul_i32 s3, s26, s3
	s_mul_hi_u32 s7, s26, s2
	s_add_i32 s3, s7, s3
	s_mul_i32 s2, s26, s2
	s_lshl_b64 s[2:3], s[2:3], 3
	s_add_u32 s0, s0, s2
	s_addc_u32 s1, s1, s3
	s_load_dwordx2 s[0:1], s[0:1], 0x0
                                        ; implicit-def: $sgpr16_sgpr17
	s_waitcnt lgkmcnt(0)
	v_cmp_eq_f32_e64 s[2:3], s0, 1.0
	v_cmp_eq_f32_e64 s[0:1], s1, 0
	s_and_b64 s[0:1], s[2:3], s[0:1]
	s_mov_b64 s[2:3], 0
	s_andn2_b64 vcc, exec, s[0:1]
	s_mov_b64 s[0:1], 0
	s_cbranch_vccz .LBB184_5
; %bb.3:
	s_mov_b64 s[0:1], -1
	s_mov_b64 s[16:17], 0
	s_branch .LBB184_5
.LBB184_4:
	s_mov_b64 s[2:3], -1
	s_mov_b64 s[0:1], 0
                                        ; implicit-def: $sgpr16_sgpr17
.LBB184_5:
	s_and_b64 vcc, exec, s[2:3]
	s_cbranch_vccz .LBB184_7
; %bb.6:
	s_lshl_b64 s[0:1], s[26:27], 3
	s_add_u32 s0, s12, s0
	s_addc_u32 s1, s13, s1
	s_load_dwordx2 s[0:1], s[0:1], 0x0
	s_lshl_b64 s[2:3], s[14:15], 3
	s_waitcnt lgkmcnt(0)
	s_add_u32 s16, s0, s2
	s_addc_u32 s17, s1, s3
	s_mov_b64 s[0:1], -1
.LBB184_7:
	s_andn2_b64 vcc, exec, s[0:1]
	s_cbranch_vccnz .LBB184_103
; %bb.8:
	s_load_dwordx4 s[8:11], s[4:5], 0x38
	s_load_dwordx2 s[20:21], s[4:5], 0x48
	v_cndmask_b32_e64 v1, 0, 1, s[22:23]
	v_cmp_ne_u32_e64 s[0:1], 1, v1
	s_andn2_b64 vcc, exec, s[22:23]
	s_mov_b64 s[2:3], 0
	s_cbranch_vccnz .LBB184_10
; %bb.9:
	s_lshl_b64 s[2:3], s[26:27], 3
	s_waitcnt lgkmcnt(0)
	s_add_u32 s2, s8, s2
	s_addc_u32 s3, s9, s3
	s_load_dwordx2 s[2:3], s[2:3], 0x0
	s_lshl_b64 s[8:9], s[10:11], 3
	s_waitcnt lgkmcnt(0)
	s_add_u32 s2, s2, s8
	s_addc_u32 s3, s3, s9
.LBB184_10:
	s_and_b64 vcc, exec, s[0:1]
	s_cbranch_vccnz .LBB184_103
; %bb.11:
	s_load_dword s27, s[18:19], 0x0
	s_load_dword s7, s[4:5], 0x0
	v_and_b32_e32 v26, 0x3ff, v0
	s_lshl_b32 s34, s6, 6
	v_add_u32_e32 v16, s34, v26
	s_waitcnt lgkmcnt(0)
	s_add_i32 s0, s27, -1
	s_ashr_i32 s33, s7, 31
	s_lshr_b32 s1, s33, 26
	s_add_i32 s1, s7, s1
	s_andn2_b32 s1, s1, 63
	s_sub_i32 s1, s7, s1
	s_cmp_eq_u32 s6, s0
	v_ashrrev_i32_e32 v17, 31, v16
	v_bfe_u32 v72, v0, 10, 10
	s_cselect_b32 s30, s1, 0
	v_mul_lo_u32 v2, v17, s20
	v_mul_lo_u32 v3, v16, s21
	v_mad_u64_u32 v[0:1], s[0:1], v16, s20, 0
	v_add3_u32 v1, v1, v3, v2
	v_lshlrev_b64 v[0:1], 3, v[0:1]
	v_mov_b32_e32 v2, s3
	v_add_co_u32_e32 v20, vcc, s2, v0
	v_addc_co_u32_e32 v21, vcc, v2, v1, vcc
	v_cmp_ne_u32_e64 s[0:1], 0, v72
	v_cmp_eq_u32_e64 s[2:3], 0, v72
	s_and_saveexec_b64 s[4:5], s[2:3]
	s_cbranch_execz .LBB184_16
; %bb.12:
	s_cmp_lg_u32 s30, 0
	s_cselect_b64 s[8:9], -1, 0
	v_cmp_le_i32_e32 vcc, s30, v26
	v_mov_b32_e32 v0, 0x2380
	s_and_b64 s[8:9], s[8:9], vcc
	v_lshl_add_u32 v0, v26, 3, v0
	s_and_saveexec_b64 s[10:11], s[8:9]
	s_xor_b64 s[8:9], exec, s[10:11]
	s_cbranch_execz .LBB184_14
; %bb.13:
	v_mov_b32_e32 v2, 0
	v_mov_b32_e32 v3, v2
	ds_write_b64 v0, v[2:3]
                                        ; implicit-def: $vgpr0
.LBB184_14:
	s_andn2_saveexec_b64 s[8:9], s[8:9]
	s_cbranch_execz .LBB184_16
; %bb.15:
	flat_load_dwordx2 v[2:3], v[20:21]
	s_waitcnt vmcnt(0) lgkmcnt(0)
	ds_write_b64 v0, v[2:3]
.LBB184_16:
	s_or_b64 exec, exec, s[4:5]
	s_ashr_i32 s35, s34, 31
	v_lshl_add_u32 v27, v72, 6, v26
	s_lshl_b64 s[4:5], s[34:35], 3
	v_and_b32_e32 v0, 31, v26
	v_lshrrev_b32_e32 v8, 5, v27
	s_add_u32 s8, s16, s4
	v_mov_b32_e32 v1, 0
	s_addc_u32 s9, s17, s5
	v_mad_u64_u32 v[2:3], s[4:5], v8, s24, v[0:1]
	v_mov_b32_e32 v4, v3
	v_mad_u64_u32 v[4:5], s[4:5], v8, s25, v[4:5]
	s_mul_i32 s4, s34, s25
	s_mul_hi_u32 s5, s34, s24
	s_add_i32 s4, s5, s4
	s_mul_i32 s5, s35, s24
	s_add_i32 s5, s4, s5
	s_mul_i32 s4, s34, s24
	s_lshl_b64 s[36:37], s[4:5], 3
	v_mov_b32_e32 v3, v4
	s_add_u32 s4, s36, s8
	v_lshlrev_b64 v[22:23], 3, v[2:3]
	s_addc_u32 s5, s37, s9
	v_mov_b32_e32 v1, s5
	v_add_co_u32_e32 v2, vcc, s4, v22
	s_cmp_lg_u32 s30, 0
	v_addc_co_u32_e32 v3, vcc, v1, v23, vcc
	s_cselect_b64 s[38:39], -1, 0
	s_cmp_eq_u32 s30, 0
	s_cselect_b64 s[40:41], -1, 0
	s_and_b64 vcc, exec, s[38:39]
	s_cbranch_vccnz .LBB184_18
; %bb.17:
	flat_load_dwordx2 v[4:5], v[2:3]
	v_mul_u32_u24_e32 v1, 33, v8
	s_lshl_b64 s[4:5], s[24:25], 6
	v_add_lshl_u32 v1, v1, v0, 3
	v_mov_b32_e32 v9, s5
	v_add_co_u32_e32 v6, vcc, s4, v2
	v_addc_co_u32_e32 v7, vcc, v3, v9, vcc
	s_mul_i32 s8, s25, 0xc0
	s_waitcnt vmcnt(0) lgkmcnt(0)
	ds_write_b64 v1, v[4:5]
	flat_load_dwordx2 v[4:5], v[6:7]
	v_add_co_u32_e32 v6, vcc, s4, v6
	v_addc_co_u32_e32 v7, vcc, v7, v9, vcc
	s_waitcnt vmcnt(0) lgkmcnt(0)
	ds_write_b64 v1, v[4:5] offset:2112
	flat_load_dwordx2 v[4:5], v[6:7]
	v_mov_b32_e32 v6, 0xc0
	v_mad_u64_u32 v[6:7], s[4:5], s24, v6, v[2:3]
	v_add_u32_e32 v7, s8, v7
	s_waitcnt vmcnt(0) lgkmcnt(0)
	ds_write_b64 v1, v[4:5] offset:4224
	flat_load_dwordx2 v[4:5], v[6:7]
	s_waitcnt vmcnt(0) lgkmcnt(0)
	ds_write_b64 v1, v[4:5] offset:6336
	s_cbranch_execz .LBB184_19
	s_branch .LBB184_34
.LBB184_18:
.LBB184_19:
	v_lshlrev_b32_e32 v1, 3, v0
	v_sub_co_u32_e32 v4, vcc, v2, v1
	s_ashr_i32 s31, s30, 31
	v_subbrev_co_u32_e32 v5, vcc, 0, v3, vcc
	s_lshl_b64 s[8:9], s[30:31], 3
	v_mov_b32_e32 v6, s9
	v_add_co_u32_e32 v4, vcc, s8, v4
	v_addc_co_u32_e32 v5, vcc, v5, v6, vcc
	v_add_co_u32_e32 v4, vcc, -8, v4
	v_addc_co_u32_e32 v5, vcc, -1, v5, vcc
	v_cmp_gt_i32_e32 vcc, s30, v0
	v_mov_b32_e32 v6, 0
	v_cndmask_b32_e32 v5, v5, v3, vcc
	v_cndmask_b32_e32 v4, v4, v2, vcc
	v_cmp_gt_i32_e64 s[4:5], s30, v8
	v_mov_b32_e32 v7, v6
	s_and_saveexec_b64 s[10:11], s[4:5]
	s_cbranch_execz .LBB184_21
; %bb.20:
	flat_load_dwordx2 v[6:7], v[4:5]
.LBB184_21:
	s_or_b64 exec, exec, s[10:11]
	v_mul_u32_u24_e32 v9, 33, v8
	v_add_lshl_u32 v9, v9, v0, 3
	s_waitcnt vmcnt(0) lgkmcnt(0)
	ds_write_b64 v9, v[6:7]
	v_add_u32_e32 v6, 8, v8
	v_cmp_le_i32_e64 s[4:5], s30, v6
	s_and_saveexec_b64 s[10:11], s[4:5]
	s_xor_b64 s[4:5], exec, s[10:11]
	s_cbranch_execz .LBB184_23
; %bb.22:
	v_mul_u32_u24_e32 v6, 33, v6
	v_add_lshl_u32 v10, v6, v0, 3
	v_mov_b32_e32 v6, 0
	v_mov_b32_e32 v7, v6
	ds_write_b64 v10, v[6:7]
.LBB184_23:
	s_andn2_saveexec_b64 s[10:11], s[4:5]
	s_cbranch_execz .LBB184_25
; %bb.24:
	s_lshl_b64 s[4:5], s[24:25], 6
	v_mov_b32_e32 v7, s5
	v_add_co_u32_e64 v6, s[4:5], s4, v4
	v_addc_co_u32_e64 v7, s[4:5], v5, v7, s[4:5]
	flat_load_dwordx2 v[6:7], v[6:7]
	s_waitcnt vmcnt(0) lgkmcnt(0)
	ds_write_b64 v9, v[6:7] offset:2112
.LBB184_25:
	s_or_b64 exec, exec, s[10:11]
	v_add_u32_e32 v6, 16, v8
	v_cmp_le_i32_e64 s[4:5], s30, v6
	s_and_saveexec_b64 s[10:11], s[4:5]
	s_xor_b64 s[4:5], exec, s[10:11]
	s_cbranch_execz .LBB184_27
; %bb.26:
	v_mov_b32_e32 v6, 0
	v_mov_b32_e32 v7, v6
	ds_write_b64 v9, v[6:7] offset:4224
.LBB184_27:
	s_andn2_saveexec_b64 s[10:11], s[4:5]
	s_cbranch_execz .LBB184_29
; %bb.28:
	s_lshl_b64 s[4:5], s[24:25], 7
	v_mov_b32_e32 v7, s5
	v_add_co_u32_e64 v6, s[4:5], s4, v4
	v_addc_co_u32_e64 v7, s[4:5], v5, v7, s[4:5]
	flat_load_dwordx2 v[6:7], v[6:7]
	s_waitcnt vmcnt(0) lgkmcnt(0)
	ds_write_b64 v9, v[6:7] offset:4224
.LBB184_29:
	s_or_b64 exec, exec, s[10:11]
	v_add_u32_e32 v6, 24, v8
	v_cmp_le_i32_e64 s[4:5], s30, v6
	s_and_saveexec_b64 s[10:11], s[4:5]
	s_xor_b64 s[4:5], exec, s[10:11]
	s_cbranch_execz .LBB184_31
; %bb.30:
	v_mov_b32_e32 v6, 0
	v_mov_b32_e32 v7, v6
	ds_write_b64 v9, v[6:7] offset:6336
                                        ; implicit-def: $vgpr9
.LBB184_31:
	s_andn2_saveexec_b64 s[4:5], s[4:5]
	s_cbranch_execz .LBB184_33
; %bb.32:
	v_mov_b32_e32 v6, 0xc0
	v_mad_u64_u32 v[6:7], s[10:11], s24, v6, v[4:5]
	s_mul_i32 s10, s25, 0xc0
	v_add_u32_e32 v7, s10, v7
	flat_load_dwordx2 v[6:7], v[6:7]
	s_waitcnt vmcnt(0) lgkmcnt(0)
	ds_write_b64 v9, v[6:7] offset:6336
.LBB184_33:
	s_or_b64 exec, exec, s[4:5]
	v_add_co_u32_e64 v1, s[4:5], v4, v1
	v_addc_co_u32_e64 v4, s[4:5], 0, v5, s[4:5]
	v_mov_b32_e32 v5, s9
	v_subrev_co_u32_e64 v1, s[4:5], s8, v1
	v_subb_co_u32_e64 v4, s[4:5], v4, v5, s[4:5]
	v_add_co_u32_e64 v1, s[4:5], 8, v1
	v_addc_co_u32_e64 v4, s[4:5], 0, v4, s[4:5]
	v_cndmask_b32_e32 v3, v4, v3, vcc
	v_cndmask_b32_e32 v2, v1, v2, vcc
.LBB184_34:
	v_lshlrev_b32_e32 v1, 2, v8
	v_mul_u32_u24_e32 v28, 33, v0
	v_cmp_lt_u32_e64 s[18:19], v1, v0
	v_add_lshl_u32 v12, v1, v28, 3
	s_waitcnt lgkmcnt(0)
	s_barrier
	s_and_saveexec_b64 s[4:5], s[18:19]
	s_cbranch_execz .LBB184_36
; %bb.35:
	v_mul_u32_u24_e32 v4, 0x84, v8
	v_add_lshl_u32 v4, v4, v0, 3
	ds_read_b64 v[4:5], v4
	s_waitcnt lgkmcnt(0)
	ds_write_b64 v12, v[4:5]
.LBB184_36:
	s_or_b64 exec, exec, s[4:5]
	v_or_b32_e32 v4, 1, v1
	v_cmp_lt_u32_e64 s[8:9], v4, v0
	s_and_saveexec_b64 s[4:5], s[8:9]
	s_cbranch_execz .LBB184_38
; %bb.37:
	v_mul_u32_u24_e32 v4, 33, v4
	v_add_lshl_u32 v4, v4, v0, 3
	ds_read_b64 v[4:5], v4
	s_waitcnt lgkmcnt(0)
	ds_write_b64 v12, v[4:5] offset:8
.LBB184_38:
	s_or_b64 exec, exec, s[4:5]
	v_or_b32_e32 v4, 2, v1
	v_cmp_lt_u32_e64 s[10:11], v4, v0
	s_and_saveexec_b64 s[4:5], s[10:11]
	s_cbranch_execz .LBB184_40
; %bb.39:
	v_mul_u32_u24_e32 v4, 33, v4
	v_add_lshl_u32 v4, v4, v0, 3
	ds_read_b64 v[4:5], v4
	s_waitcnt lgkmcnt(0)
	ds_write_b64 v12, v[4:5] offset:16
.LBB184_40:
	s_or_b64 exec, exec, s[4:5]
	v_or_b32_e32 v4, 3, v1
	v_cmp_lt_u32_e64 s[12:13], v4, v0
	v_mad_u32_u24 v4, v4, 33, v0
	v_lshlrev_b32_e32 v9, 3, v4
	s_and_saveexec_b64 s[4:5], s[12:13]
	s_cbranch_execz .LBB184_42
; %bb.41:
	ds_read_b64 v[4:5], v9
	s_waitcnt lgkmcnt(0)
	ds_write_b64 v12, v[4:5] offset:24
.LBB184_42:
	s_or_b64 exec, exec, s[4:5]
	v_mul_u32_u24_e32 v4, 0x84, v8
	v_add_lshl_u32 v11, v4, v0, 3
	s_waitcnt lgkmcnt(0)
	s_barrier
	v_lshlrev_b32_e32 v13, 3, v1
	v_add_u32_e32 v10, 0xfffffdf0, v9
	ds_read_b64 v[14:15], v11
	ds_read_b128 v[4:7], v13 offset:9088
	ds_read2_b64 v[30:33], v10 offset1:33
	ds_read_b64 v[18:19], v9
	ds_read_b128 v[34:37], v13 offset:9104
	s_mov_b32 s14, 0
	s_mov_b32 s15, s14
	s_waitcnt lgkmcnt(3)
	v_pk_mul_f32 v[24:25], v[4:5], v[14:15] op_sel:[0,1]
	v_pk_fma_f32 v[38:39], v[4:5], v[14:15], v[24:25] op_sel:[0,0,1] op_sel_hi:[1,1,0] neg_lo:[0,0,1] neg_hi:[0,0,1]
	v_pk_fma_f32 v[4:5], v[4:5], v[14:15], v[24:25] op_sel:[0,0,1] op_sel_hi:[1,0,0]
	s_waitcnt lgkmcnt(2)
	v_pk_mul_f32 v[14:15], v[6:7], v[30:31] op_sel:[0,1]
	v_pk_fma_f32 v[24:25], v[6:7], v[30:31], v[14:15] op_sel:[0,0,1] op_sel_hi:[1,1,0] neg_lo:[0,0,1] neg_hi:[0,0,1]
	v_pk_fma_f32 v[6:7], v[6:7], v[30:31], v[14:15] op_sel:[0,0,1] op_sel_hi:[1,0,0]
	v_mov_b32_e32 v39, v5
	v_mov_b32_e32 v25, v7
	s_waitcnt lgkmcnt(0)
	v_pk_mul_f32 v[6:7], v[34:35], v[32:33] op_sel:[0,1]
	v_pk_add_f32 v[4:5], v[38:39], 0 op_sel_hi:[1,0]
	v_pk_fma_f32 v[14:15], v[34:35], v[32:33], v[6:7] op_sel:[0,0,1] op_sel_hi:[1,1,0] neg_lo:[0,0,1] neg_hi:[0,0,1]
	v_pk_fma_f32 v[6:7], v[34:35], v[32:33], v[6:7] op_sel:[0,0,1] op_sel_hi:[1,0,0]
	v_pk_add_f32 v[4:5], v[4:5], v[24:25]
	v_mov_b32_e32 v15, v7
	v_pk_mul_f32 v[6:7], v[36:37], v[18:19] op_sel:[0,1]
	v_pk_add_f32 v[4:5], v[4:5], v[14:15]
	v_pk_fma_f32 v[14:15], v[36:37], v[18:19], v[6:7] op_sel:[0,0,1] op_sel_hi:[1,1,0] neg_lo:[0,0,1] neg_hi:[0,0,1]
	v_pk_fma_f32 v[6:7], v[36:37], v[18:19], v[6:7] op_sel:[0,0,1] op_sel_hi:[1,0,0]
	v_mov_b32_e32 v15, v7
	v_add_lshl_u32 v29, v8, v28, 3
	v_pk_add_f32 v[4:5], v[4:5], v[14:15]
	v_cmp_gt_u32_e64 s[4:5], 32, v27
	v_pk_mov_b32 v[18:19], s[14:15], s[14:15] op_sel:[0,1]
	s_barrier
	ds_write_b64 v29, v[4:5]
	s_waitcnt lgkmcnt(0)
	s_barrier
	s_and_saveexec_b64 s[14:15], s[4:5]
	s_cbranch_execz .LBB184_44
; %bb.43:
	v_lshlrev_b32_e32 v1, 3, v28
	ds_read2_b64 v[4:7], v1 offset1:7
	ds_read2_b64 v[30:33], v1 offset0:1 offset1:2
	ds_read2_b64 v[34:37], v1 offset0:3 offset1:4
	s_waitcnt lgkmcnt(1)
	v_add_f32_e32 v4, v30, v4
	v_add_f32_e32 v5, v31, v5
	;; [unrolled: 1-line block ×4, first 2 shown]
	ds_read2_b64 v[30:33], v1 offset0:5 offset1:6
	s_waitcnt lgkmcnt(1)
	v_add_f32_e32 v1, v4, v34
	v_add_f32_e32 v4, v5, v35
	;; [unrolled: 1-line block ×4, first 2 shown]
	s_waitcnt lgkmcnt(0)
	v_add_f32_e32 v1, v1, v30
	v_add_f32_e32 v5, v4, v31
	;; [unrolled: 1-line block ×4, first 2 shown]
	v_pk_add_f32 v[18:19], v[4:5], v[6:7]
.LBB184_44:
	s_or_b64 exec, exec, s[14:15]
	s_lshl_b64 s[22:23], s[24:25], 8
	v_mov_b32_e32 v1, s23
	v_add_co_u32_e32 v4, vcc, s22, v2
	v_addc_co_u32_e32 v5, vcc, v3, v1, vcc
	v_add_co_u32_e32 v2, vcc, 0x100, v4
	v_cndmask_b32_e64 v1, 0, 1, s[40:41]
	s_mov_b64 s[16:17], vcc
	v_cmp_ne_u32_e64 s[14:15], 1, v1
	s_andn2_b64 vcc, exec, s[40:41]
	v_addc_co_u32_e64 v1, s[16:17], 0, v5, s[16:17]
	s_barrier
	s_cbranch_vccnz .LBB184_46
; %bb.45:
	flat_load_dwordx2 v[6:7], v[4:5] offset:256
	v_mul_u32_u24_e32 v3, 33, v8
	s_lshl_b64 s[16:17], s[24:25], 6
	v_add_lshl_u32 v3, v3, v0, 3
	v_mov_b32_e32 v24, s17
	v_add_co_u32_e32 v14, vcc, s16, v4
	v_addc_co_u32_e32 v15, vcc, v5, v24, vcc
	s_mul_i32 s31, s25, 0xc0
	s_waitcnt vmcnt(0) lgkmcnt(0)
	ds_write_b64 v3, v[6:7]
	flat_load_dwordx2 v[6:7], v[14:15] offset:256
	v_add_co_u32_e32 v14, vcc, s16, v14
	v_addc_co_u32_e32 v15, vcc, v15, v24, vcc
	s_waitcnt vmcnt(0) lgkmcnt(0)
	ds_write_b64 v3, v[6:7] offset:2112
	flat_load_dwordx2 v[6:7], v[14:15] offset:256
	v_mov_b32_e32 v14, 0xc0
	v_mad_u64_u32 v[4:5], s[16:17], s24, v14, v[4:5]
	v_add_u32_e32 v5, s31, v5
	s_waitcnt vmcnt(0) lgkmcnt(0)
	ds_write_b64 v3, v[6:7] offset:4224
	flat_load_dwordx2 v[4:5], v[4:5] offset:256
	s_waitcnt vmcnt(0) lgkmcnt(0)
	ds_write_b64 v3, v[4:5] offset:6336
	s_cbranch_execz .LBB184_47
	s_branch .LBB184_62
.LBB184_46:
.LBB184_47:
	v_or_b32_e32 v3, 32, v0
	v_lshlrev_b32_e32 v4, 3, v3
	v_sub_co_u32_e32 v4, vcc, v2, v4
	s_ashr_i32 s31, s30, 31
	v_subbrev_co_u32_e32 v5, vcc, 0, v1, vcc
	s_lshl_b64 s[40:41], s[30:31], 3
	v_mov_b32_e32 v6, s41
	v_add_co_u32_e32 v4, vcc, s40, v4
	v_addc_co_u32_e32 v5, vcc, v5, v6, vcc
	v_add_co_u32_e32 v4, vcc, -8, v4
	v_addc_co_u32_e32 v5, vcc, -1, v5, vcc
	v_cmp_gt_i32_e64 s[16:17], s30, v3
	s_sub_i32 s31, s30, 32
	v_mov_b32_e32 v6, 0
	v_cndmask_b32_e64 v5, v5, v1, s[16:17]
	v_cndmask_b32_e64 v4, v4, v2, s[16:17]
	v_cmp_gt_i32_e32 vcc, s31, v8
	v_mov_b32_e32 v7, v6
	s_and_saveexec_b64 s[42:43], vcc
	s_cbranch_execz .LBB184_49
; %bb.48:
	flat_load_dwordx2 v[6:7], v[4:5]
.LBB184_49:
	s_or_b64 exec, exec, s[42:43]
	v_mul_u32_u24_e32 v3, 33, v8
	v_add_lshl_u32 v3, v3, v0, 3
	s_waitcnt vmcnt(0) lgkmcnt(0)
	ds_write_b64 v3, v[6:7]
	v_add_u32_e32 v6, 8, v8
	v_cmp_le_i32_e32 vcc, s31, v6
	s_and_saveexec_b64 s[42:43], vcc
	s_xor_b64 s[42:43], exec, s[42:43]
	s_cbranch_execz .LBB184_51
; %bb.50:
	v_mul_u32_u24_e32 v6, 33, v6
	v_add_lshl_u32 v14, v6, v0, 3
	v_mov_b32_e32 v6, 0
	v_mov_b32_e32 v7, v6
	ds_write_b64 v14, v[6:7]
.LBB184_51:
	s_andn2_saveexec_b64 s[42:43], s[42:43]
	s_cbranch_execz .LBB184_53
; %bb.52:
	s_lshl_b64 s[44:45], s[24:25], 6
	v_mov_b32_e32 v7, s45
	v_add_co_u32_e32 v6, vcc, s44, v4
	v_addc_co_u32_e32 v7, vcc, v5, v7, vcc
	flat_load_dwordx2 v[6:7], v[6:7]
	s_waitcnt vmcnt(0) lgkmcnt(0)
	ds_write_b64 v3, v[6:7] offset:2112
.LBB184_53:
	s_or_b64 exec, exec, s[42:43]
	v_add_u32_e32 v6, 16, v8
	v_cmp_le_i32_e32 vcc, s31, v6
	s_and_saveexec_b64 s[42:43], vcc
	s_xor_b64 s[42:43], exec, s[42:43]
	s_cbranch_execz .LBB184_55
; %bb.54:
	v_mov_b32_e32 v6, 0
	v_mov_b32_e32 v7, v6
	ds_write_b64 v3, v[6:7] offset:4224
.LBB184_55:
	s_andn2_saveexec_b64 s[42:43], s[42:43]
	s_cbranch_execz .LBB184_57
; %bb.56:
	s_lshl_b64 s[44:45], s[24:25], 7
	v_mov_b32_e32 v7, s45
	v_add_co_u32_e32 v6, vcc, s44, v4
	v_addc_co_u32_e32 v7, vcc, v5, v7, vcc
	flat_load_dwordx2 v[6:7], v[6:7]
	s_waitcnt vmcnt(0) lgkmcnt(0)
	ds_write_b64 v3, v[6:7] offset:4224
.LBB184_57:
	s_or_b64 exec, exec, s[42:43]
	v_add_u32_e32 v6, 24, v8
	v_cmp_le_i32_e32 vcc, s31, v6
	s_and_saveexec_b64 s[42:43], vcc
	s_xor_b64 s[42:43], exec, s[42:43]
	s_cbranch_execz .LBB184_59
; %bb.58:
	v_mov_b32_e32 v6, 0
	v_mov_b32_e32 v7, v6
	ds_write_b64 v3, v[6:7] offset:6336
                                        ; implicit-def: $vgpr3
.LBB184_59:
	s_andn2_saveexec_b64 s[42:43], s[42:43]
	s_cbranch_execz .LBB184_61
; %bb.60:
	v_mov_b32_e32 v6, 0xc0
	v_mad_u64_u32 v[6:7], s[44:45], s24, v6, v[4:5]
	s_mul_i32 s31, s25, 0xc0
	v_add_u32_e32 v7, s31, v7
	flat_load_dwordx2 v[6:7], v[6:7]
	s_waitcnt vmcnt(0) lgkmcnt(0)
	ds_write_b64 v3, v[6:7] offset:6336
.LBB184_61:
	s_or_b64 exec, exec, s[42:43]
	v_lshlrev_b32_e32 v3, 3, v0
	v_add_co_u32_e32 v3, vcc, v4, v3
	v_addc_co_u32_e32 v4, vcc, 0, v5, vcc
	v_mov_b32_e32 v5, s41
	v_subrev_co_u32_e32 v3, vcc, s40, v3
	v_subb_co_u32_e32 v4, vcc, v4, v5, vcc
	v_add_co_u32_e32 v3, vcc, 0x108, v3
	v_addc_co_u32_e32 v4, vcc, 0, v4, vcc
	v_cndmask_b32_e64 v1, v4, v1, s[16:17]
	v_cndmask_b32_e64 v2, v3, v2, s[16:17]
.LBB184_62:
	v_add_u32_e32 v6, 0x2380, v13
	s_lshl_b64 s[16:17], s[24:25], 5
	s_waitcnt lgkmcnt(0)
	s_barrier
	s_and_saveexec_b64 s[40:41], s[18:19]
	s_cbranch_execnz .LBB184_71
; %bb.63:
	s_or_b64 exec, exec, s[40:41]
	s_and_saveexec_b64 s[18:19], s[8:9]
	s_cbranch_execnz .LBB184_72
.LBB184_64:
	s_or_b64 exec, exec, s[18:19]
	s_and_saveexec_b64 s[8:9], s[10:11]
	s_cbranch_execnz .LBB184_73
.LBB184_65:
	s_or_b64 exec, exec, s[8:9]
	s_and_saveexec_b64 s[8:9], s[12:13]
	s_cbranch_execz .LBB184_67
.LBB184_66:
	ds_read_b64 v[4:5], v9
	s_waitcnt lgkmcnt(0)
	ds_write_b64 v12, v[4:5] offset:24
.LBB184_67:
	s_or_b64 exec, exec, s[8:9]
	s_waitcnt lgkmcnt(0)
	s_barrier
	ds_read_b64 v[4:5], v11
	ds_read_b128 v[30:33], v6 offset:256
	ds_read2_b64 v[34:37], v10 offset1:33
	ds_read_b64 v[10:11], v9
	ds_read_b128 v[38:41], v6 offset:272
	v_cmp_eq_u32_e64 s[10:11], 1, v8
	s_waitcnt lgkmcnt(3)
	v_pk_mul_f32 v[14:15], v[30:31], v[4:5] op_sel:[0,1]
	v_pk_fma_f32 v[24:25], v[30:31], v[4:5], v[14:15] op_sel:[0,0,1] op_sel_hi:[1,1,0] neg_lo:[0,0,1] neg_hi:[0,0,1]
	v_pk_fma_f32 v[4:5], v[30:31], v[4:5], v[14:15] op_sel:[0,0,1] op_sel_hi:[1,0,0]
	v_mov_b32_e32 v25, v5
	s_waitcnt lgkmcnt(2)
	v_pk_mul_f32 v[14:15], v[32:33], v[34:35] op_sel:[0,1]
	v_pk_add_f32 v[4:5], v[24:25], 0 op_sel_hi:[1,0]
	v_pk_fma_f32 v[24:25], v[32:33], v[34:35], v[14:15] op_sel:[0,0,1] op_sel_hi:[1,1,0] neg_lo:[0,0,1] neg_hi:[0,0,1]
	v_pk_fma_f32 v[14:15], v[32:33], v[34:35], v[14:15] op_sel:[0,0,1] op_sel_hi:[1,0,0]
	v_mov_b32_e32 v25, v15
	s_waitcnt lgkmcnt(0)
	v_pk_mul_f32 v[14:15], v[38:39], v[36:37] op_sel:[0,1]
	v_pk_add_f32 v[4:5], v[4:5], v[24:25]
	v_pk_fma_f32 v[24:25], v[38:39], v[36:37], v[14:15] op_sel:[0,0,1] op_sel_hi:[1,1,0] neg_lo:[0,0,1] neg_hi:[0,0,1]
	v_pk_fma_f32 v[14:15], v[38:39], v[36:37], v[14:15] op_sel:[0,0,1] op_sel_hi:[1,0,0]
	v_mov_b32_e32 v25, v15
	v_pk_mul_f32 v[14:15], v[40:41], v[10:11] op_sel:[0,1]
	v_pk_add_f32 v[4:5], v[4:5], v[24:25]
	v_pk_fma_f32 v[24:25], v[40:41], v[10:11], v[14:15] op_sel:[0,0,1] op_sel_hi:[1,1,0] neg_lo:[0,0,1] neg_hi:[0,0,1]
	v_pk_fma_f32 v[10:11], v[40:41], v[10:11], v[14:15] op_sel:[0,0,1] op_sel_hi:[1,0,0]
	v_mov_b32_e32 v25, v11
	v_pk_add_f32 v[4:5], v[4:5], v[24:25]
	s_barrier
	ds_write_b64 v29, v[4:5]
	s_waitcnt lgkmcnt(0)
	s_barrier
	s_and_saveexec_b64 s[8:9], s[10:11]
	s_cbranch_execz .LBB184_69
; %bb.68:
	v_lshlrev_b32_e32 v3, 3, v28
	ds_read2_b64 v[30:33], v3 offset1:7
	ds_read2_b64 v[34:37], v3 offset0:1 offset1:2
	ds_read2_b64 v[38:41], v3 offset0:3 offset1:4
	s_waitcnt lgkmcnt(1)
	v_add_f32_e32 v4, v34, v30
	v_add_f32_e32 v5, v35, v31
	;; [unrolled: 1-line block ×4, first 2 shown]
	ds_read2_b64 v[34:37], v3 offset0:5 offset1:6
	s_waitcnt lgkmcnt(1)
	v_add_f32_e32 v3, v4, v38
	v_add_f32_e32 v4, v5, v39
	;; [unrolled: 1-line block ×4, first 2 shown]
	s_waitcnt lgkmcnt(0)
	v_add_f32_e32 v4, v3, v34
	v_add_f32_e32 v5, v5, v35
	v_pk_add_f32 v[4:5], v[4:5], v[36:37]
	v_pk_add_f32 v[18:19], v[4:5], v[32:33]
.LBB184_69:
	s_or_b64 exec, exec, s[8:9]
	s_lshl_b64 s[8:9], s[16:17], 3
	v_mov_b32_e32 v3, s9
	v_subrev_co_u32_e64 v24, s[8:9], s8, v2
	s_and_b64 vcc, exec, s[14:15]
	v_subb_co_u32_e64 v25, s[8:9], v1, v3, s[8:9]
	s_barrier
	s_cbranch_vccnz .LBB184_74
; %bb.70:
	flat_load_dwordx2 v[2:3], v[24:25]
	v_mad_u32_u24 v1, v8, 33, v0
	s_lshl_b64 s[8:9], s[24:25], 6
	v_lshlrev_b32_e32 v13, 3, v1
	v_mov_b32_e32 v7, s9
	v_add_co_u32_e32 v4, vcc, s8, v24
	v_addc_co_u32_e32 v5, vcc, v25, v7, vcc
	s_mul_i32 s12, s25, 0xc0
	v_add_u32_e32 v9, 0x318, v1
	s_waitcnt vmcnt(0) lgkmcnt(0)
	ds_write_b64 v13, v[2:3]
	flat_load_dwordx2 v[2:3], v[4:5]
	v_add_co_u32_e32 v4, vcc, s8, v4
	v_addc_co_u32_e32 v5, vcc, v5, v7, vcc
	v_add_u32_e32 v7, 24, v8
	s_waitcnt vmcnt(0) lgkmcnt(0)
	ds_write_b64 v13, v[2:3] offset:2112
	flat_load_dwordx2 v[2:3], v[4:5]
	v_mov_b32_e32 v4, 0xc0
	v_mad_u64_u32 v[4:5], s[8:9], s24, v4, v[24:25]
	v_add_u32_e32 v5, s12, v5
	s_waitcnt vmcnt(0) lgkmcnt(0)
	ds_write_b64 v13, v[2:3] offset:4224
	flat_load_dwordx2 v[10:11], v[4:5]
	v_add_u32_e32 v4, 8, v8
	v_add_u32_e32 v5, 16, v8
	;; [unrolled: 1-line block ×4, first 2 shown]
	s_waitcnt vmcnt(0) lgkmcnt(0)
	ds_write_b64 v13, v[10:11] offset:6336
	s_cbranch_execz .LBB184_75
	s_branch .LBB184_90
.LBB184_71:
	ds_read_b64 v[4:5], v11
	s_waitcnt lgkmcnt(0)
	ds_write_b64 v12, v[4:5]
	s_or_b64 exec, exec, s[40:41]
	s_and_saveexec_b64 s[18:19], s[8:9]
	s_cbranch_execz .LBB184_64
.LBB184_72:
	ds_read_b64 v[4:5], v10
	s_waitcnt lgkmcnt(0)
	ds_write_b64 v12, v[4:5] offset:8
	s_or_b64 exec, exec, s[18:19]
	s_and_saveexec_b64 s[8:9], s[10:11]
	s_cbranch_execz .LBB184_65
.LBB184_73:
	ds_read_b64 v[4:5], v10 offset:264
	s_waitcnt lgkmcnt(0)
	ds_write_b64 v12, v[4:5] offset:16
	s_or_b64 exec, exec, s[8:9]
	s_and_saveexec_b64 s[8:9], s[12:13]
	s_cbranch_execnz .LBB184_66
	s_branch .LBB184_67
.LBB184_74:
                                        ; implicit-def: $vgpr1
                                        ; implicit-def: $vgpr4
                                        ; implicit-def: $vgpr2
                                        ; implicit-def: $vgpr5
                                        ; implicit-def: $vgpr3
                                        ; implicit-def: $vgpr7
                                        ; implicit-def: $vgpr9
.LBB184_75:
	v_or_b32_e32 v1, 32, v0
	v_lshlrev_b32_e32 v2, 3, v1
	v_sub_co_u32_e32 v2, vcc, v24, v2
	s_ashr_i32 s31, s30, 31
	v_subbrev_co_u32_e32 v3, vcc, 0, v25, vcc
	s_lshl_b64 s[12:13], s[30:31], 3
	v_mov_b32_e32 v4, s13
	v_add_co_u32_e32 v2, vcc, s12, v2
	v_addc_co_u32_e32 v3, vcc, v3, v4, vcc
	v_add_co_u32_e32 v2, vcc, -8, v2
	v_addc_co_u32_e32 v3, vcc, -1, v3, vcc
	v_cmp_gt_i32_e64 s[8:9], s30, v1
	v_mov_b32_e32 v4, 0
	v_cndmask_b32_e64 v3, v3, v25, s[8:9]
	v_cndmask_b32_e64 v2, v2, v24, s[8:9]
	v_cmp_gt_i32_e32 vcc, s30, v8
	v_mov_b32_e32 v5, v4
	s_and_saveexec_b64 s[14:15], vcc
	s_cbranch_execz .LBB184_77
; %bb.76:
	flat_load_dwordx2 v[4:5], v[2:3]
.LBB184_77:
	s_or_b64 exec, exec, s[14:15]
	v_mad_u32_u24 v1, v8, 33, v0
	v_lshlrev_b32_e32 v10, 3, v1
	s_waitcnt vmcnt(0) lgkmcnt(0)
	ds_write_b64 v10, v[4:5]
	v_add_u32_e32 v4, 8, v8
	v_cmp_le_i32_e32 vcc, s30, v4
	s_and_saveexec_b64 s[14:15], vcc
	s_xor_b64 s[14:15], exec, s[14:15]
	s_cbranch_execz .LBB184_79
; %bb.78:
	v_mul_u32_u24_e32 v5, 33, v4
	v_mov_b32_e32 v14, 0
	v_add_lshl_u32 v5, v5, v0, 3
	v_mov_b32_e32 v15, v14
	ds_write_b64 v5, v[14:15]
.LBB184_79:
	s_andn2_saveexec_b64 s[14:15], s[14:15]
	s_cbranch_execz .LBB184_81
; %bb.80:
	s_lshl_b64 s[16:17], s[24:25], 6
	v_mov_b32_e32 v5, s17
	v_add_co_u32_e32 v14, vcc, s16, v2
	v_addc_co_u32_e32 v15, vcc, v3, v5, vcc
	flat_load_dwordx2 v[14:15], v[14:15]
	s_waitcnt vmcnt(0) lgkmcnt(0)
	ds_write_b64 v10, v[14:15] offset:2112
.LBB184_81:
	s_or_b64 exec, exec, s[14:15]
	v_add_u32_e32 v5, 16, v8
	v_cmp_le_i32_e32 vcc, s30, v5
	s_and_saveexec_b64 s[14:15], vcc
	s_xor_b64 s[14:15], exec, s[14:15]
	s_cbranch_execz .LBB184_83
; %bb.82:
	v_mul_u32_u24_e32 v7, 33, v5
	v_mov_b32_e32 v14, 0
	v_add_lshl_u32 v7, v7, v0, 3
	v_mov_b32_e32 v15, v14
	ds_write_b64 v7, v[14:15]
.LBB184_83:
	s_andn2_saveexec_b64 s[14:15], s[14:15]
	s_cbranch_execz .LBB184_85
; %bb.84:
	s_lshl_b64 s[16:17], s[24:25], 7
	v_mov_b32_e32 v7, s17
	v_add_co_u32_e32 v14, vcc, s16, v2
	v_addc_co_u32_e32 v15, vcc, v3, v7, vcc
	flat_load_dwordx2 v[14:15], v[14:15]
	s_waitcnt vmcnt(0) lgkmcnt(0)
	ds_write_b64 v10, v[14:15] offset:4224
.LBB184_85:
	s_or_b64 exec, exec, s[14:15]
	v_add_u32_e32 v7, 24, v8
	v_cmp_le_i32_e32 vcc, s30, v7
                                        ; implicit-def: $vgpr9
	s_and_saveexec_b64 s[14:15], vcc
	s_xor_b64 s[14:15], exec, s[14:15]
	s_cbranch_execz .LBB184_87
; %bb.86:
	v_mov_b32_e32 v14, 0
	v_add_u32_e32 v9, 0x318, v1
	v_mov_b32_e32 v15, v14
	ds_write_b64 v10, v[14:15] offset:6336
                                        ; implicit-def: $vgpr10
.LBB184_87:
	s_andn2_saveexec_b64 s[14:15], s[14:15]
	s_cbranch_execz .LBB184_89
; %bb.88:
	v_mov_b32_e32 v9, 0xc0
	v_mad_u64_u32 v[14:15], s[16:17], s24, v9, v[2:3]
	s_mul_i32 s16, s25, 0xc0
	v_add_u32_e32 v15, s16, v15
	flat_load_dwordx2 v[14:15], v[14:15]
	v_add_u32_e32 v9, 0x318, v1
	s_waitcnt vmcnt(0) lgkmcnt(0)
	ds_write_b64 v10, v[14:15] offset:6336
.LBB184_89:
	s_or_b64 exec, exec, s[14:15]
	v_lshlrev_b32_e32 v0, 3, v0
	v_add_co_u32_e32 v0, vcc, v2, v0
	v_addc_co_u32_e32 v2, vcc, 0, v3, vcc
	v_mov_b32_e32 v3, s13
	v_subrev_co_u32_e32 v0, vcc, s12, v0
	v_subb_co_u32_e32 v2, vcc, v2, v3, vcc
	v_add_co_u32_e32 v0, vcc, 0x108, v0
	v_addc_co_u32_e32 v2, vcc, 0, v2, vcc
	v_cndmask_b32_e64 v25, v2, v25, s[8:9]
	v_cndmask_b32_e64 v24, v0, v24, s[8:9]
	v_add_u32_e32 v2, 0x108, v1
	v_add_u32_e32 v3, 0x210, v1
.LBB184_90:
	v_lshlrev_b32_e32 v0, 3, v1
	s_waitcnt lgkmcnt(0)
	s_barrier
	ds_read_b64 v[30:31], v0
	v_lshlrev_b32_e32 v13, 3, v8
	v_lshlrev_b32_e32 v14, 3, v2
	;; [unrolled: 1-line block ×7, first 2 shown]
	ds_read_b64 v[32:33], v0
	ds_read2_b64 v[8:11], v12 offset1:1
	ds_read2_b64 v[0:3], v12 offset0:2 offset1:3
	ds_read_b64 v[34:35], v4 offset:9088
	ds_read_b64 v[36:37], v14
	ds_read_b64 v[38:39], v13 offset:9088
	ds_read_b128 v[12:15], v6 offset:256
	ds_read_b128 v[4:7], v6 offset:272
	ds_read_b64 v[40:41], v40 offset:9088
	ds_read_b64 v[42:43], v42
	ds_read_b64 v[44:45], v44 offset:9088
	s_waitcnt lgkmcnt(5)
	v_pk_mul_f32 v[46:47], v[38:39], v[30:31] op_sel:[0,1]
	v_pk_fma_f32 v[48:49], v[38:39], v[30:31], v[46:47] op_sel:[0,0,1] op_sel_hi:[1,1,0] neg_lo:[0,0,1] neg_hi:[0,0,1]
	v_pk_fma_f32 v[30:31], v[38:39], v[30:31], v[46:47] op_sel:[0,0,1] op_sel_hi:[1,0,0]
	v_pk_mul_f32 v[38:39], v[34:35], v[36:37] op_sel:[0,1]
	v_pk_fma_f32 v[46:47], v[34:35], v[36:37], v[38:39] op_sel:[0,0,1] op_sel_hi:[1,1,0] neg_lo:[0,0,1] neg_hi:[0,0,1]
	v_pk_fma_f32 v[34:35], v[34:35], v[36:37], v[38:39] op_sel:[0,0,1] op_sel_hi:[1,0,0]
	v_mov_b32_e32 v47, v35
	s_waitcnt lgkmcnt(0)
	v_pk_mul_f32 v[34:35], v[44:45], v[32:33] op_sel:[0,1]
	v_mov_b32_e32 v49, v31
	v_pk_fma_f32 v[36:37], v[44:45], v[32:33], v[34:35] op_sel:[0,0,1] op_sel_hi:[1,1,0] neg_lo:[0,0,1] neg_hi:[0,0,1]
	v_pk_fma_f32 v[32:33], v[44:45], v[32:33], v[34:35] op_sel:[0,0,1] op_sel_hi:[1,0,0]
	v_pk_add_f32 v[30:31], v[48:49], 0 op_sel_hi:[1,0]
	v_mov_b32_e32 v37, v33
	v_pk_mul_f32 v[32:33], v[40:41], v[42:43] op_sel:[0,1]
	v_pk_add_f32 v[30:31], v[30:31], v[46:47]
	v_pk_fma_f32 v[34:35], v[40:41], v[42:43], v[32:33] op_sel:[0,0,1] op_sel_hi:[1,1,0] neg_lo:[0,0,1] neg_hi:[0,0,1]
	v_pk_fma_f32 v[32:33], v[40:41], v[42:43], v[32:33] op_sel:[0,0,1] op_sel_hi:[1,0,0]
	v_pk_add_f32 v[30:31], v[30:31], v[36:37]
	v_mov_b32_e32 v35, v33
	v_pk_add_f32 v[30:31], v[30:31], v[34:35]
	s_barrier
	ds_write_b64 v29, v[30:31]
	s_waitcnt lgkmcnt(0)
	s_barrier
	s_and_saveexec_b64 s[8:9], s[10:11]
	s_cbranch_execz .LBB184_92
; %bb.91:
	v_lshlrev_b32_e32 v42, 3, v28
	ds_read2_b64 v[30:33], v42 offset1:1
	ds_read2_b64 v[34:37], v42 offset0:2 offset1:3
	ds_read2_b64 v[38:41], v42 offset0:4 offset1:5
	s_waitcnt lgkmcnt(2)
	v_pk_add_f32 v[18:19], v[18:19], v[30:31]
	v_pk_add_f32 v[18:19], v[18:19], v[32:33]
	ds_read2_b64 v[30:33], v42 offset0:6 offset1:7
	s_waitcnt lgkmcnt(2)
	v_pk_add_f32 v[18:19], v[18:19], v[34:35]
	v_pk_add_f32 v[18:19], v[18:19], v[36:37]
	s_waitcnt lgkmcnt(1)
	v_pk_add_f32 v[18:19], v[18:19], v[38:39]
	v_pk_add_f32 v[18:19], v[18:19], v[40:41]
	;; [unrolled: 3-line block ×3, first 2 shown]
.LBB184_92:
	s_or_b64 exec, exec, s[8:9]
	v_pk_mul_f32 v[30:31], v[12:13], v[8:9] op_sel:[0,1]
	v_pk_fma_f32 v[32:33], v[12:13], v[8:9], v[30:31] op_sel:[0,0,1] op_sel_hi:[1,1,0] neg_lo:[0,0,1] neg_hi:[0,0,1]
	v_pk_fma_f32 v[8:9], v[12:13], v[8:9], v[30:31] op_sel:[0,0,1] op_sel_hi:[1,0,0]
	v_mov_b32_e32 v12, v11
	v_pk_mul_f32 v[12:13], v[14:15], v[12:13] op_sel_hi:[1,0]
	v_pk_fma_f32 v[30:31], v[14:15], v[10:11], v[12:13] op_sel:[0,0,1] op_sel_hi:[1,1,0] neg_lo:[0,0,1] neg_hi:[0,0,1]
	v_pk_fma_f32 v[10:11], v[14:15], v[10:11], v[12:13] op_sel:[0,0,1] op_sel_hi:[1,0,0]
	v_mov_b32_e32 v33, v9
	v_mov_b32_e32 v31, v11
	v_pk_mul_f32 v[10:11], v[4:5], v[0:1] op_sel:[0,1]
	v_pk_add_f32 v[8:9], v[32:33], 0 op_sel_hi:[1,0]
	v_pk_fma_f32 v[12:13], v[4:5], v[0:1], v[10:11] op_sel:[0,0,1] op_sel_hi:[1,1,0] neg_lo:[0,0,1] neg_hi:[0,0,1]
	v_pk_fma_f32 v[0:1], v[4:5], v[0:1], v[10:11] op_sel:[0,0,1] op_sel_hi:[1,0,0]
	v_mov_b32_e32 v4, v3
	v_pk_add_f32 v[8:9], v[8:9], v[30:31]
	v_mov_b32_e32 v13, v1
	v_pk_mul_f32 v[4:5], v[6:7], v[4:5] op_sel_hi:[1,0]
	v_pk_add_f32 v[0:1], v[8:9], v[12:13]
	v_pk_fma_f32 v[8:9], v[6:7], v[2:3], v[4:5] op_sel:[0,0,1] op_sel_hi:[1,1,0] neg_lo:[0,0,1] neg_hi:[0,0,1]
	v_pk_fma_f32 v[2:3], v[6:7], v[2:3], v[4:5] op_sel:[0,0,1] op_sel_hi:[1,0,0]
	v_mov_b32_e32 v9, v3
	v_pk_add_f32 v[0:1], v[0:1], v[8:9]
	s_barrier
	ds_write_b64 v29, v[0:1]
	s_waitcnt lgkmcnt(0)
	s_barrier
	s_and_saveexec_b64 s[8:9], s[4:5]
	s_cbranch_execz .LBB184_94
; %bb.93:
	v_lshlrev_b32_e32 v14, 3, v28
	ds_read2_b64 v[0:3], v14 offset1:1
	ds_read2_b64 v[4:7], v14 offset0:2 offset1:3
	ds_read2_b64 v[8:11], v14 offset0:4 offset1:5
	s_waitcnt lgkmcnt(2)
	v_pk_add_f32 v[0:1], v[18:19], v[0:1]
	v_pk_add_f32 v[12:13], v[0:1], v[2:3]
	ds_read2_b64 v[0:3], v14 offset0:6 offset1:7
	s_waitcnt lgkmcnt(2)
	v_pk_add_f32 v[4:5], v[12:13], v[4:5]
	v_pk_add_f32 v[4:5], v[4:5], v[6:7]
	s_waitcnt lgkmcnt(1)
	v_pk_add_f32 v[4:5], v[4:5], v[8:9]
	v_pk_add_f32 v[4:5], v[4:5], v[10:11]
	;; [unrolled: 3-line block ×3, first 2 shown]
.LBB184_94:
	s_or_b64 exec, exec, s[8:9]
	s_mul_hi_u32 s4, s7, s26
	s_mul_i32 s33, s33, s26
	s_add_i32 s4, s4, s33
	s_mul_i32 s8, s7, s26
	s_mul_i32 s4, s4, s27
	s_mul_hi_u32 s5, s8, s27
	s_add_i32 s5, s5, s4
	s_mul_i32 s4, s8, s27
	s_lshl_b64 s[4:5], s[4:5], 3
	s_add_u32 s8, s28, s4
	s_mul_i32 s4, s6, s7
	s_addc_u32 s9, s29, s5
	s_ashr_i32 s5, s4, 31
	s_lshl_b64 s[4:5], s[4:5], 3
	s_add_u32 s7, s8, s4
	v_cmp_le_i32_e32 vcc, s30, v26
	s_addc_u32 s26, s9, s5
	s_and_b64 vcc, s[38:39], vcc
	s_cmp_lt_i32 s6, 1
	v_lshlrev_b32_e32 v73, 3, v26
	s_barrier
	s_cbranch_scc1 .LBB184_101
; %bb.95:
	s_mul_i32 s4, s34, s21
	s_mul_hi_u32 s5, s34, s20
	s_add_i32 s4, s5, s4
	s_mul_i32 s5, s35, s20
	s_add_i32 s5, s4, s5
	s_mul_i32 s4, s34, s20
	s_lshl_b64 s[4:5], s[4:5], 3
	v_mov_b32_e32 v0, s5
	v_subrev_co_u32_e64 v74, s[4:5], s4, v20
	v_subb_co_u32_e64 v75, s[4:5], v21, v0, s[4:5]
	v_mov_b32_e32 v0, s37
	v_subrev_co_u32_e64 v1, s[4:5], s36, v24
	v_subb_co_u32_e64 v0, s[4:5], v25, v0, s[4:5]
	v_lshlrev_b32_e32 v3, 2, v72
	v_sub_co_u32_e64 v6, s[4:5], v1, v22
	v_subb_co_u32_e64 v7, s[4:5], v0, v23, s[4:5]
	v_mad_u64_u32 v[0:1], s[4:5], v3, s24, 0
	v_mov_b32_e32 v2, v1
	v_mad_u64_u32 v[2:3], s[4:5], v3, s25, v[2:3]
	v_mov_b32_e32 v1, v2
	v_lshlrev_b64 v[0:1], 3, v[0:1]
	v_add_co_u32_e64 v0, s[4:5], v6, v0
	v_addc_co_u32_e64 v1, s[4:5], v7, v1, s[4:5]
	s_movk_i32 s4, 0xff00
	v_add_co_u32_e64 v0, s[4:5], s4, v0
	v_addc_co_u32_e64 v1, s[4:5], -1, v1, s[4:5]
	s_ashr_i32 s31, s30, 31
	s_lshl_b64 s[4:5], s[30:31], 3
	v_mov_b32_e32 v2, s5
	v_add_co_u32_e64 v3, s[4:5], s4, v0
	v_addc_co_u32_e64 v2, s[4:5], v1, v2, s[4:5]
	v_add_co_u32_e64 v3, s[4:5], -8, v3
	v_addc_co_u32_e64 v2, s[4:5], -1, v2, s[4:5]
	v_add_co_u32_e64 v0, s[4:5], v0, v73
	v_addc_co_u32_e64 v1, s[4:5], 0, v1, s[4:5]
	v_cndmask_b32_e32 v14, v0, v3, vcc
	v_and_b32_e32 v0, 48, v26
	v_and_b32_e32 v4, 15, v26
	v_cndmask_b32_e32 v15, v1, v2, vcc
	v_lshlrev_b32_e32 v1, 3, v0
	s_movk_i32 s8, 0x218
	v_lshrrev_b32_e32 v5, 4, v27
	v_mad_u32_u24 v78, v4, s8, v1
	v_or_b32_e32 v1, 0x78, v73
	v_mad_u32_u24 v79, v4, s8, v1
	v_lshlrev_b32_e32 v1, 5, v5
	v_mad_u32_u24 v80, v4, s8, v1
	v_mov_b32_e32 v1, 0x2180
	s_mul_i32 s31, s25, 0x118
	s_mul_hi_u32 s33, s24, 0x118
	v_lshl_add_u32 v81, v72, 5, v1
	s_movk_i32 s9, 0x860
	v_lshlrev_b32_e32 v1, 3, v5
	s_add_i32 s38, s33, s31
	s_mul_i32 s33, s25, 0x180
	s_mul_hi_u32 s34, s24, 0x180
	v_mad_u32_u24 v82, v72, s9, v73
	v_mad_u32_u24 v83, v4, s8, v1
	s_mul_i32 s8, s25, 24
	s_mul_hi_u32 s9, s24, 24
	s_add_i32 s39, s34, s33
	s_mul_i32 s34, s25, 0x190
	s_mul_hi_u32 s35, s24, 0x190
	s_add_i32 s8, s9, s8
	;; [unrolled: 3-line block ×5, first 2 shown]
	s_mul_i32 s36, s25, 0x188
	s_mul_hi_u32 s37, s24, 0x188
	s_lshl_b64 s[10:11], s[24:25], 3
	s_lshl_b64 s[12:13], s[24:25], 4
	;; [unrolled: 1-line block ×4, first 2 shown]
	s_add_i32 s18, s19, s18
	s_mul_i32 s19, s25, 0x110
	s_mul_hi_u32 s30, s24, 0x110
	s_add_i32 s42, s37, s36
	s_mul_i32 s37, s25, 0x108
	s_mul_hi_u32 s43, s24, 0x108
	s_mulk_i32 s25, 0x88
	s_mul_hi_u32 s44, s24, 0x88
	s_add_i32 s19, s30, s19
	s_add_i32 s43, s43, s37
	;; [unrolled: 1-line block ×3, first 2 shown]
	v_mov_b32_e32 v13, 0
	v_add_u32_e32 v76, 0x2180, v73
	v_add_u32_e32 v77, 0x2380, v73
	v_cmp_gt_u32_e64 s[4:5], 64, v27
	s_mul_i32 s27, s24, 24
	s_mul_i32 s28, s24, 0x90
	;; [unrolled: 1-line block ×10, first 2 shown]
	s_mulk_i32 s24, 0x88
	v_or_b32_e32 v84, v0, v4
	s_mov_b32 s25, 0
	v_mov_b32_e32 v85, s11
	v_mov_b32_e32 v86, s13
	;; [unrolled: 1-line block ×15, first 2 shown]
	s_branch .LBB184_97
.LBB184_96:                             ;   in Loop: Header=BB184_97 Depth=1
	s_or_b64 exec, exec, s[18:19]
	v_mul_f32_e32 v12, v29, v21
	v_fma_f32 v12, v28, v20, -v12
	v_add_f32_e32 v12, v18, v12
	v_mul_f32_e32 v18, v43, v23
	v_fma_f32 v18, v42, v22, -v18
	v_add_f32_e32 v12, v12, v18
	v_mul_f32_e32 v18, v41, v25
	v_fma_f32 v18, v40, v24, -v18
	v_mul_f32_e32 v20, v29, v20
	v_add_f32_e32 v12, v12, v18
	v_mul_f32_e32 v18, v39, v27
	v_mul_f32_e32 v22, v43, v22
	v_fma_f32 v18, v38, v26, -v18
	v_fmac_f32_e32 v20, v28, v21
	v_mul_f32_e32 v24, v41, v24
	v_add_f32_e32 v12, v12, v18
	v_add_f32_e32 v18, v19, v20
	v_fmac_f32_e32 v22, v42, v23
	v_mul_f32_e32 v26, v39, v26
	v_add_f32_e32 v18, v18, v22
	v_fmac_f32_e32 v24, v40, v25
	v_add_f32_e32 v18, v18, v24
	v_fmac_f32_e32 v26, v38, v27
	v_add_f32_e32 v19, v18, v26
	v_mul_f32_e32 v18, v51, v35
	v_fma_f32 v18, v50, v34, -v18
	v_add_f32_e32 v12, v12, v18
	v_mul_f32_e32 v18, v59, v33
	v_fma_f32 v18, v58, v32, -v18
	v_mul_f32_e32 v24, v51, v34
	v_add_f32_e32 v18, v12, v18
	v_mul_f32_e32 v12, v55, v31
	v_mul_f32_e32 v25, v59, v32
	v_fma_f32 v20, v54, v30, -v12
	v_mul_f32_e32 v12, v57, v37
	v_fmac_f32_e32 v24, v50, v35
	v_mul_f32_e32 v21, v55, v30
	v_fma_f32 v22, v56, v36, -v12
	v_add_f32_e32 v12, v19, v24
	v_fmac_f32_e32 v25, v58, v33
	v_mul_f32_e32 v23, v57, v36
	v_add_f32_e32 v19, v12, v25
	v_fmac_f32_e32 v21, v54, v31
	v_mov_b32_e32 v12, v53
	v_fmac_f32_e32 v23, v56, v37
	v_pk_add_f32 v[18:19], v[18:19], v[20:21]
	v_pk_mul_f32 v[20:21], v[70:71], v[12:13] op_sel_hi:[1,0]
	v_pk_add_f32 v[18:19], v[18:19], v[22:23]
	v_pk_fma_f32 v[22:23], v[70:71], v[52:53], v[20:21] op_sel:[0,0,1] op_sel_hi:[1,1,0] neg_lo:[0,0,1] neg_hi:[0,0,1]
	v_pk_fma_f32 v[20:21], v[70:71], v[52:53], v[20:21] op_sel:[0,0,1] op_sel_hi:[1,0,0]
	v_mov_b32_e32 v12, v49
	v_mov_b32_e32 v23, v21
	v_pk_mul_f32 v[20:21], v[8:9], v[12:13] op_sel_hi:[1,0]
	v_pk_add_f32 v[18:19], v[18:19], v[22:23]
	v_pk_fma_f32 v[22:23], v[8:9], v[48:49], v[20:21] op_sel:[0,0,1] op_sel_hi:[1,1,0] neg_lo:[0,0,1] neg_hi:[0,0,1]
	v_pk_fma_f32 v[8:9], v[8:9], v[48:49], v[20:21] op_sel:[0,0,1] op_sel_hi:[1,0,0]
	v_mov_b32_e32 v23, v9
	v_mov_b32_e32 v12, v47
	v_pk_add_f32 v[8:9], v[18:19], v[22:23]
	v_pk_mul_f32 v[18:19], v[10:11], v[12:13] op_sel_hi:[1,0]
	v_pk_fma_f32 v[20:21], v[10:11], v[46:47], v[18:19] op_sel:[0,0,1] op_sel_hi:[1,1,0] neg_lo:[0,0,1] neg_hi:[0,0,1]
	v_pk_fma_f32 v[10:11], v[10:11], v[46:47], v[18:19] op_sel:[0,0,1] op_sel_hi:[1,0,0]
	v_mov_b32_e32 v10, v45
	v_mov_b32_e32 v21, v11
	v_pk_mul_f32 v[10:11], v[68:69], v[10:11] op_sel_hi:[1,0]
	v_pk_fma_f32 v[18:19], v[68:69], v[44:45], v[10:11] op_sel:[0,0,1] op_sel_hi:[1,1,0] neg_lo:[0,0,1] neg_hi:[0,0,1]
	v_pk_fma_f32 v[10:11], v[68:69], v[44:45], v[10:11] op_sel:[0,0,1] op_sel_hi:[1,0,0]
	v_mov_b32_e32 v10, v67
	v_pk_add_f32 v[8:9], v[8:9], v[20:21]
	v_mov_b32_e32 v19, v11
	v_pk_mul_f32 v[10:11], v[0:1], v[10:11] op_sel_hi:[1,0]
	v_pk_add_f32 v[8:9], v[8:9], v[18:19]
	v_pk_fma_f32 v[18:19], v[0:1], v[66:67], v[10:11] op_sel:[0,0,1] op_sel_hi:[1,1,0] neg_lo:[0,0,1] neg_hi:[0,0,1]
	v_pk_fma_f32 v[0:1], v[0:1], v[66:67], v[10:11] op_sel:[0,0,1] op_sel_hi:[1,0,0]
	v_mov_b32_e32 v0, v65
	v_mov_b32_e32 v19, v1
	v_pk_mul_f32 v[0:1], v[6:7], v[0:1] op_sel_hi:[1,0]
	v_pk_fma_f32 v[10:11], v[6:7], v[64:65], v[0:1] op_sel:[0,0,1] op_sel_hi:[1,1,0] neg_lo:[0,0,1] neg_hi:[0,0,1]
	v_pk_fma_f32 v[0:1], v[6:7], v[64:65], v[0:1] op_sel:[0,0,1] op_sel_hi:[1,0,0]
	v_mov_b32_e32 v0, v61
	v_mov_b32_e32 v11, v1
	v_pk_mul_f32 v[0:1], v[4:5], v[0:1] op_sel_hi:[1,0]
	;; [unrolled: 5-line block ×3, first 2 shown]
	v_pk_fma_f32 v[4:5], v[2:3], v[62:63], v[0:1] op_sel:[0,0,1] op_sel_hi:[1,1,0] neg_lo:[0,0,1] neg_hi:[0,0,1]
	v_pk_fma_f32 v[0:1], v[2:3], v[62:63], v[0:1] op_sel:[0,0,1] op_sel_hi:[1,0,0]
	v_mov_b32_e32 v5, v1
	v_pk_add_f32 v[0:1], v[8:9], v[18:19]
	v_pk_add_f32 v[0:1], v[0:1], v[10:11]
	;; [unrolled: 1-line block ×4, first 2 shown]
	v_mov_b32_e32 v0, s15
	s_add_i32 s25, s25, 64
	s_add_i32 s6, s6, -1
	v_add_co_u32_e64 v14, s[8:9], s14, v14
	s_cmp_eq_u32 s6, 0
	v_addc_co_u32_e64 v15, s[8:9], v15, v0, s[8:9]
	s_barrier
	s_cbranch_scc1 .LBB184_101
.LBB184_97:                             ; =>This Inner Loop Header: Depth=1
	s_and_saveexec_b64 s[18:19], s[2:3]
	s_cbranch_execz .LBB184_99
; %bb.98:                               ;   in Loop: Header=BB184_97 Depth=1
	s_mul_i32 s8, s25, s21
	s_mul_hi_u32 s9, s25, s20
	s_add_i32 s9, s9, s8
	s_mul_i32 s8, s25, s20
	s_lshl_b64 s[8:9], s[8:9], 3
	v_mov_b32_e32 v1, s9
	v_add_co_u32_e64 v0, s[8:9], s8, v74
	v_addc_co_u32_e64 v1, s[8:9], v75, v1, s[8:9]
	flat_load_dwordx2 v[0:1], v[0:1]
	s_waitcnt vmcnt(0) lgkmcnt(0)
	ds_write_b64 v76, v[0:1]
.LBB184_99:                             ;   in Loop: Header=BB184_97 Depth=1
	s_or_b64 exec, exec, s[18:19]
	v_add_co_u32_e64 v0, s[8:9], s10, v14
	v_addc_co_u32_e64 v1, s[8:9], v15, v85, s[8:9]
	v_add_co_u32_e64 v2, s[8:9], s12, v14
	s_waitcnt lgkmcnt(0)
	s_barrier
	flat_load_dwordx2 v[20:21], v[14:15]
	v_addc_co_u32_e64 v3, s[8:9], v15, v86, s[8:9]
	flat_load_dwordx2 v[22:23], v[0:1]
	flat_load_dwordx2 v[24:25], v[2:3]
	v_add_co_u32_e64 v0, s[8:9], s27, v14
	v_addc_co_u32_e64 v1, s[8:9], v15, v87, s[8:9]
	flat_load_dwordx2 v[26:27], v[0:1]
	ds_read_b64 v[0:1], v77
	ds_read_b64 v[28:29], v81
	v_add_co_u32_e64 v8, s[8:9], s16, v14
	v_addc_co_u32_e64 v9, s[8:9], v15, v88, s[8:9]
	v_add_co_u32_e64 v10, s[8:9], s24, v14
	v_addc_co_u32_e64 v11, s[8:9], v15, v89, s[8:9]
	;; [unrolled: 2-line block ×3, first 2 shown]
	s_waitcnt vmcnt(0) lgkmcnt(0)
	v_mul_f32_e32 v2, v1, v21
	v_mul_f32_e32 v3, v1, v20
	v_fma_f32 v2, v0, v20, -v2
	v_fmac_f32_e32 v3, v0, v21
	v_mul_f32_e32 v4, v1, v23
	v_mul_f32_e32 v5, v1, v22
	;; [unrolled: 1-line block ×4, first 2 shown]
	ds_write_b64 v82, v[2:3]
	v_fma_f32 v4, v0, v22, -v4
	v_fmac_f32_e32 v5, v0, v23
	v_mul_f32_e32 v12, v1, v27
	v_mul_f32_e32 v31, v0, v27
	v_fma_f32 v6, v0, v24, -v6
	v_fmac_f32_e32 v7, v0, v25
	ds_read_b64 v[42:43], v81 offset:8
	ds_write_b64 v82, v[4:5] offset:536
	v_fma_f32 v30, v0, v26, -v12
	v_fmac_f32_e32 v31, v1, v26
	ds_read_b64 v[40:41], v81 offset:16
	ds_write_b64 v82, v[6:7] offset:1072
	ds_read_b64 v[38:39], v81 offset:24
	ds_write_b64 v82, v[30:31] offset:1608
	s_waitcnt lgkmcnt(0)
	s_barrier
	ds_read2_b64 v[4:7], v80 offset1:1
	ds_read2_b64 v[0:3], v80 offset0:2 offset1:3
	s_waitcnt lgkmcnt(0)
	s_barrier
	flat_load_dwordx2 v[34:35], v[8:9]
	flat_load_dwordx2 v[32:33], v[10:11]
	;; [unrolled: 1-line block ×3, first 2 shown]
	v_add_co_u32_e64 v8, s[8:9], s29, v14
	v_addc_co_u32_e64 v9, s[8:9], v15, v91, s[8:9]
	flat_load_dwordx2 v[36:37], v[8:9]
	ds_read_b64 v[44:45], v77
	ds_read_b64 v[50:51], v81 offset:128
	v_add_co_u32_e64 v8, s[8:9], s22, v14
	v_addc_co_u32_e64 v9, s[8:9], v15, v92, s[8:9]
	v_add_co_u32_e64 v10, s[8:9], s37, v14
	v_addc_co_u32_e64 v11, s[8:9], v15, v93, s[8:9]
	;; [unrolled: 2-line block ×3, first 2 shown]
	v_pk_add_f32 v[4:5], v[4:5], 0 op_sel_hi:[1,0]
	v_pk_add_f32 v[4:5], v[4:5], v[6:7]
	v_pk_add_f32 v[0:1], v[4:5], v[0:1]
	s_waitcnt vmcnt(0) lgkmcnt(0)
	v_mul_f32_e32 v12, v45, v35
	v_mul_f32_e32 v47, v45, v34
	v_mul_f32_e32 v48, v45, v33
	v_mul_f32_e32 v49, v45, v32
	v_fma_f32 v46, v44, v34, -v12
	v_fmac_f32_e32 v47, v44, v35
	v_mul_f32_e32 v52, v45, v31
	v_mul_f32_e32 v53, v45, v30
	v_fma_f32 v48, v44, v32, -v48
	v_fmac_f32_e32 v49, v44, v33
	ds_write_b64 v82, v[46:47]
	v_mul_f32_e32 v54, v45, v37
	v_mul_f32_e32 v63, v44, v37
	v_fma_f32 v52, v44, v30, -v52
	v_fmac_f32_e32 v53, v44, v31
	ds_read_b64 v[58:59], v81 offset:136
	ds_write_b64 v82, v[48:49] offset:536
	v_fma_f32 v62, v44, v36, -v54
	v_fmac_f32_e32 v63, v45, v36
	ds_read_b64 v[54:55], v81 offset:144
	ds_write_b64 v82, v[52:53] offset:1072
	ds_read_b64 v[56:57], v81 offset:152
	ds_write_b64 v82, v[62:63] offset:1608
	s_waitcnt lgkmcnt(0)
	s_barrier
	ds_read2_b64 v[100:103], v80 offset1:1
	ds_read2_b64 v[104:107], v80 offset0:2 offset1:3
	s_waitcnt lgkmcnt(0)
	s_barrier
	flat_load_dwordx2 v[52:53], v[8:9]
	flat_load_dwordx2 v[48:49], v[10:11]
	;; [unrolled: 1-line block ×3, first 2 shown]
	v_add_co_u32_e64 v8, s[8:9], s31, v14
	v_addc_co_u32_e64 v9, s[8:9], v15, v95, s[8:9]
	flat_load_dwordx2 v[44:45], v[8:9]
	ds_read_b64 v[8:9], v77
	ds_read_b64 v[70:71], v81 offset:256
	v_add_co_u32_e64 v62, s[8:9], s33, v14
	v_addc_co_u32_e64 v63, s[8:9], v15, v96, s[8:9]
	v_add_co_u32_e64 v116, s[8:9], s36, v14
	v_addc_co_u32_e64 v117, s[8:9], v15, v97, s[8:9]
	v_add_co_u32_e64 v118, s[8:9], s34, v14
	v_addc_co_u32_e64 v119, s[8:9], v15, v98, s[8:9]
	s_waitcnt vmcnt(0) lgkmcnt(0)
	v_mul_f32_e32 v10, v9, v53
	v_mul_f32_e32 v11, v9, v52
	;; [unrolled: 1-line block ×6, first 2 shown]
	v_fma_f32 v10, v8, v52, -v10
	v_mul_f32_e32 v66, v9, v45
	v_mul_f32_e32 v67, v8, v45
	v_fma_f32 v60, v8, v48, -v12
	v_fmac_f32_e32 v11, v8, v53
	v_fmac_f32_e32 v61, v8, v49
	v_fma_f32 v64, v8, v46, -v64
	v_fma_f32 v66, v8, v44, -v66
	v_fmac_f32_e32 v65, v8, v47
	v_fmac_f32_e32 v67, v9, v44
	ds_write2_b64 v82, v[10:11], v[60:61] offset1:67
	ds_write2_b64 v82, v[64:65], v[66:67] offset0:134 offset1:201
	ds_read2_b64 v[8:11], v81 offset0:33 offset1:34
	ds_read_b64 v[68:69], v81 offset:280
	s_waitcnt lgkmcnt(0)
	s_barrier
	ds_read2_b64 v[108:111], v80 offset1:1
	ds_read2_b64 v[112:115], v80 offset0:2 offset1:3
	s_waitcnt lgkmcnt(0)
	s_barrier
	flat_load_dwordx2 v[66:67], v[62:63]
	flat_load_dwordx2 v[64:65], v[116:117]
	;; [unrolled: 1-line block ×3, first 2 shown]
	v_add_co_u32_e64 v62, s[8:9], s35, v14
	v_addc_co_u32_e64 v63, s[8:9], v15, v99, s[8:9]
	flat_load_dwordx2 v[62:63], v[62:63]
	v_pk_add_f32 v[116:117], v[0:1], v[2:3]
	v_pk_add_f32 v[0:1], v[100:101], 0 op_sel_hi:[1,0]
	v_pk_add_f32 v[0:1], v[0:1], v[102:103]
	v_pk_add_f32 v[0:1], v[0:1], v[104:105]
	;; [unrolled: 1-line block ×3, first 2 shown]
	ds_read_b64 v[2:3], v77
	ds_read_b64 v[0:1], v81 offset:384
	v_pk_add_f32 v[4:5], v[108:109], 0 op_sel_hi:[1,0]
	v_pk_add_f32 v[4:5], v[4:5], v[110:111]
	v_pk_add_f32 v[4:5], v[4:5], v[112:113]
	;; [unrolled: 1-line block ×3, first 2 shown]
	s_waitcnt vmcnt(0) lgkmcnt(0)
	v_mul_f32_e32 v4, v3, v67
	v_mul_f32_e32 v5, v3, v66
	;; [unrolled: 1-line block ×4, first 2 shown]
	v_fma_f32 v4, v2, v66, -v4
	v_fmac_f32_e32 v5, v2, v67
	v_mul_f32_e32 v7, v3, v61
	v_mul_f32_e32 v103, v3, v60
	v_fma_f32 v100, v2, v64, -v6
	v_fmac_f32_e32 v101, v2, v65
	ds_write_b64 v82, v[4:5]
	v_mul_f32_e32 v12, v3, v63
	v_mul_f32_e32 v105, v2, v63
	v_fma_f32 v102, v2, v60, -v7
	v_fmac_f32_e32 v103, v2, v61
	ds_read_b64 v[6:7], v81 offset:392
	ds_write_b64 v82, v[100:101] offset:536
	v_fma_f32 v104, v2, v62, -v12
	v_fmac_f32_e32 v105, v3, v62
	ds_read_b64 v[4:5], v81 offset:400
	ds_write_b64 v82, v[102:103] offset:1072
	ds_read_b64 v[2:3], v81 offset:408
	ds_write_b64 v82, v[104:105] offset:1608
	s_waitcnt lgkmcnt(0)
	s_barrier
	ds_read2_b64 v[100:103], v80 offset1:1
	ds_read2_b64 v[104:107], v80 offset0:2 offset1:3
	s_waitcnt lgkmcnt(0)
	s_barrier
	v_pk_add_f32 v[100:101], v[100:101], 0 op_sel_hi:[1,0]
	v_pk_add_f32 v[100:101], v[100:101], v[102:103]
	v_pk_add_f32 v[100:101], v[100:101], v[104:105]
	;; [unrolled: 1-line block ×3, first 2 shown]
	ds_write2_b64 v83, v[116:117], v[118:119] offset1:16
	ds_write2_b64 v83, v[108:109], v[100:101] offset0:32 offset1:48
	s_waitcnt lgkmcnt(0)
	s_barrier
	s_and_saveexec_b64 s[18:19], s[4:5]
	s_cbranch_execz .LBB184_96
; %bb.100:                              ;   in Loop: Header=BB184_97 Depth=1
	ds_read_b64 v[108:109], v78
	ds_read2_b64 v[100:103], v78 offset0:1 offset1:2
	ds_read2_b64 v[104:107], v78 offset0:3 offset1:4
	s_waitcnt lgkmcnt(1)
	v_add_f32_e32 v12, v100, v108
	v_add_f32_e32 v100, v101, v109
	;; [unrolled: 1-line block ×4, first 2 shown]
	ds_read2_b64 v[100:103], v78 offset0:5 offset1:6
	s_waitcnt lgkmcnt(1)
	v_add_f32_e32 v12, v12, v104
	v_add_f32_e32 v104, v108, v105
	;; [unrolled: 1-line block ×4, first 2 shown]
	v_add_u32_e32 v12, s25, v84
	ds_read2_b64 v[104:107], v78 offset0:7 offset1:8
	v_lshlrev_b64 v[110:111], 3, v[12:13]
	v_mov_b32_e32 v12, s26
	v_add_co_u32_e64 v112, s[8:9], s7, v110
	v_addc_co_u32_e64 v113, s[8:9], v12, v111, s[8:9]
	s_waitcnt lgkmcnt(1)
	v_pk_add_f32 v[100:101], v[108:109], v[100:101]
	ds_read2_b64 v[108:111], v78 offset0:9 offset1:10
	v_pk_add_f32 v[100:101], v[100:101], v[102:103]
	s_waitcnt lgkmcnt(1)
	v_pk_add_f32 v[100:101], v[100:101], v[104:105]
	v_pk_add_f32 v[104:105], v[100:101], v[106:107]
	ds_read2_b64 v[100:103], v78 offset0:11 offset1:12
	s_waitcnt lgkmcnt(1)
	v_pk_add_f32 v[108:109], v[104:105], v[108:109]
	ds_read2_b64 v[104:107], v78 offset0:13 offset1:14
	v_pk_add_f32 v[108:109], v[108:109], v[110:111]
	ds_read_b64 v[110:111], v79
	s_waitcnt lgkmcnt(2)
	v_pk_add_f32 v[100:101], v[108:109], v[100:101]
	v_pk_add_f32 v[100:101], v[100:101], v[102:103]
	s_waitcnt lgkmcnt(1)
	v_pk_add_f32 v[100:101], v[100:101], v[104:105]
	v_pk_add_f32 v[100:101], v[100:101], v[106:107]
	s_waitcnt lgkmcnt(0)
	v_pk_add_f32 v[100:101], v[100:101], v[110:111]
	global_store_dwordx2 v[112:113], v[100:101], off
	s_branch .LBB184_96
.LBB184_101:
	s_movk_i32 s2, 0x218
	s_or_b64 s[0:1], s[0:1], vcc
	v_mad_u32_u24 v0, v72, s2, v73
	s_xor_b64 s[0:1], s[0:1], -1
	ds_write_b64 v0, v[18:19]
	s_waitcnt lgkmcnt(0)
	s_barrier
	s_and_saveexec_b64 s[2:3], s[0:1]
	s_cbranch_execz .LBB184_103
; %bb.102:
	ds_read2_b64 v[0:3], v73 offset1:67
	ds_read2_b64 v[4:7], v73 offset0:134 offset1:201
	v_lshlrev_b64 v[8:9], 3, v[16:17]
	v_mov_b32_e32 v10, s26
	v_add_co_u32_e32 v8, vcc, s7, v8
	s_waitcnt lgkmcnt(1)
	v_pk_add_f32 v[0:1], v[2:3], v[0:1]
	s_waitcnt lgkmcnt(0)
	v_pk_add_f32 v[0:1], v[0:1], v[4:5]
	v_addc_co_u32_e32 v9, vcc, v10, v9, vcc
	v_pk_add_f32 v[0:1], v[0:1], v[6:7]
	global_store_dwordx2 v[8:9], v[0:1], off
.LBB184_103:
	s_endpgm
	.section	.rodata,"a",@progbits
	.p2align	6, 0x0
	.amdhsa_kernel _ZL26rocblas_hemvn_kernel_lowerILb0ELi64ELi4ELi33ELi32ELi16ElPK19rocblas_complex_numIfEPKS3_PS1_EviT6_lT7_lT5_lS8_lS9_lS7_lT8_i
		.amdhsa_group_segment_fixed_size 9600
		.amdhsa_private_segment_fixed_size 0
		.amdhsa_kernarg_size 376
		.amdhsa_user_sgpr_count 6
		.amdhsa_user_sgpr_private_segment_buffer 1
		.amdhsa_user_sgpr_dispatch_ptr 0
		.amdhsa_user_sgpr_queue_ptr 0
		.amdhsa_user_sgpr_kernarg_segment_ptr 1
		.amdhsa_user_sgpr_dispatch_id 0
		.amdhsa_user_sgpr_flat_scratch_init 0
		.amdhsa_user_sgpr_kernarg_preload_length 0
		.amdhsa_user_sgpr_kernarg_preload_offset 0
		.amdhsa_user_sgpr_private_segment_size 0
		.amdhsa_uses_dynamic_stack 0
		.amdhsa_system_sgpr_private_segment_wavefront_offset 0
		.amdhsa_system_sgpr_workgroup_id_x 1
		.amdhsa_system_sgpr_workgroup_id_y 0
		.amdhsa_system_sgpr_workgroup_id_z 1
		.amdhsa_system_sgpr_workgroup_info 0
		.amdhsa_system_vgpr_workitem_id 1
		.amdhsa_next_free_vgpr 120
		.amdhsa_next_free_sgpr 46
		.amdhsa_accum_offset 120
		.amdhsa_reserve_vcc 1
		.amdhsa_reserve_flat_scratch 0
		.amdhsa_float_round_mode_32 0
		.amdhsa_float_round_mode_16_64 0
		.amdhsa_float_denorm_mode_32 3
		.amdhsa_float_denorm_mode_16_64 3
		.amdhsa_dx10_clamp 1
		.amdhsa_ieee_mode 1
		.amdhsa_fp16_overflow 0
		.amdhsa_tg_split 0
		.amdhsa_exception_fp_ieee_invalid_op 0
		.amdhsa_exception_fp_denorm_src 0
		.amdhsa_exception_fp_ieee_div_zero 0
		.amdhsa_exception_fp_ieee_overflow 0
		.amdhsa_exception_fp_ieee_underflow 0
		.amdhsa_exception_fp_ieee_inexact 0
		.amdhsa_exception_int_div_zero 0
	.end_amdhsa_kernel
	.section	.text._ZL26rocblas_hemvn_kernel_lowerILb0ELi64ELi4ELi33ELi32ELi16ElPK19rocblas_complex_numIfEPKS3_PS1_EviT6_lT7_lT5_lS8_lS9_lS7_lT8_i,"axG",@progbits,_ZL26rocblas_hemvn_kernel_lowerILb0ELi64ELi4ELi33ELi32ELi16ElPK19rocblas_complex_numIfEPKS3_PS1_EviT6_lT7_lT5_lS8_lS9_lS7_lT8_i,comdat
.Lfunc_end184:
	.size	_ZL26rocblas_hemvn_kernel_lowerILb0ELi64ELi4ELi33ELi32ELi16ElPK19rocblas_complex_numIfEPKS3_PS1_EviT6_lT7_lT5_lS8_lS9_lS7_lT8_i, .Lfunc_end184-_ZL26rocblas_hemvn_kernel_lowerILb0ELi64ELi4ELi33ELi32ELi16ElPK19rocblas_complex_numIfEPKS3_PS1_EviT6_lT7_lT5_lS8_lS9_lS7_lT8_i
                                        ; -- End function
	.section	.AMDGPU.csdata,"",@progbits
; Kernel info:
; codeLenInByte = 7868
; NumSgprs: 50
; NumVgprs: 120
; NumAgprs: 0
; TotalNumVgprs: 120
; ScratchSize: 0
; MemoryBound: 1
; FloatMode: 240
; IeeeMode: 1
; LDSByteSize: 9600 bytes/workgroup (compile time only)
; SGPRBlocks: 6
; VGPRBlocks: 14
; NumSGPRsForWavesPerEU: 50
; NumVGPRsForWavesPerEU: 120
; AccumOffset: 120
; Occupancy: 4
; WaveLimiterHint : 1
; COMPUTE_PGM_RSRC2:SCRATCH_EN: 0
; COMPUTE_PGM_RSRC2:USER_SGPR: 6
; COMPUTE_PGM_RSRC2:TRAP_HANDLER: 0
; COMPUTE_PGM_RSRC2:TGID_X_EN: 1
; COMPUTE_PGM_RSRC2:TGID_Y_EN: 0
; COMPUTE_PGM_RSRC2:TGID_Z_EN: 1
; COMPUTE_PGM_RSRC2:TIDIG_COMP_CNT: 1
; COMPUTE_PGM_RSRC3_GFX90A:ACCUM_OFFSET: 29
; COMPUTE_PGM_RSRC3_GFX90A:TG_SPLIT: 0
	.section	.text._ZL26rocblas_hemvn_kernel_lowerILb0ELi64ELi4ELi33ELi32ELi16EiPK19rocblas_complex_numIfEPKS3_PS1_EviT6_lT7_lT5_lS8_lS9_lS7_lT8_i,"axG",@progbits,_ZL26rocblas_hemvn_kernel_lowerILb0ELi64ELi4ELi33ELi32ELi16EiPK19rocblas_complex_numIfEPKS3_PS1_EviT6_lT7_lT5_lS8_lS9_lS7_lT8_i,comdat
	.globl	_ZL26rocblas_hemvn_kernel_lowerILb0ELi64ELi4ELi33ELi32ELi16EiPK19rocblas_complex_numIfEPKS3_PS1_EviT6_lT7_lT5_lS8_lS9_lS7_lT8_i ; -- Begin function _ZL26rocblas_hemvn_kernel_lowerILb0ELi64ELi4ELi33ELi32ELi16EiPK19rocblas_complex_numIfEPKS3_PS1_EviT6_lT7_lT5_lS8_lS9_lS7_lT8_i
	.p2align	8
	.type	_ZL26rocblas_hemvn_kernel_lowerILb0ELi64ELi4ELi33ELi32ELi16EiPK19rocblas_complex_numIfEPKS3_PS1_EviT6_lT7_lT5_lS8_lS9_lS7_lT8_i,@function
_ZL26rocblas_hemvn_kernel_lowerILb0ELi64ELi4ELi33ELi32ELi16EiPK19rocblas_complex_numIfEPKS3_PS1_EviT6_lT7_lT5_lS8_lS9_lS7_lT8_i: ; @_ZL26rocblas_hemvn_kernel_lowerILb0ELi64ELi4ELi33ELi32ELi16EiPK19rocblas_complex_numIfEPKS3_PS1_EviT6_lT7_lT5_lS8_lS9_lS7_lT8_i
; %bb.0:
	s_load_dwordx2 s[0:1], s[4:5], 0x84
	s_add_u32 s16, s4, 0x78
	s_addc_u32 s17, s5, 0
	s_waitcnt lgkmcnt(0)
	s_lshr_b32 s2, s0, 16
	s_and_b32 s0, s0, 0xffff
	s_and_b32 s1, s1, 0xffff
	s_mul_i32 s0, s2, s0
	s_mul_i32 s0, s0, s1
	s_cmpk_lg_i32 s0, 0x100
	s_cbranch_scc1 .LBB185_103
; %bb.1:
	s_load_dwordx8 s[8:15], s[4:5], 0x8
	s_mov_b32 s20, s7
	s_mov_b32 s21, 0
	s_waitcnt lgkmcnt(0)
	s_mul_i32 s0, s7, s11
	s_mul_hi_u32 s1, s7, s10
	s_add_i32 s1, s1, s0
	s_mul_i32 s0, s7, s10
	s_lshl_b64 s[0:1], s[0:1], 3
	s_add_u32 s8, s8, s0
	s_addc_u32 s9, s9, s1
	s_load_dwordx2 s[10:11], s[8:9], 0x0
	s_load_dwordx2 s[22:23], s[4:5], 0x68
	s_load_dwordx4 s[0:3], s[4:5], 0x58
	s_waitcnt lgkmcnt(0)
	s_or_b32 s7, s10, s11
	s_bitset0_b32 s7, 31
	s_cmp_lg_u32 s7, 0
	s_cselect_b64 s[10:11], -1, 0
	s_and_b64 vcc, exec, s[10:11]
	s_cbranch_vccnz .LBB185_4
; %bb.2:
	s_mul_i32 s3, s20, s3
	s_mul_hi_u32 s7, s20, s2
	s_add_i32 s3, s7, s3
	s_mul_i32 s2, s20, s2
	s_lshl_b64 s[2:3], s[2:3], 3
	s_add_u32 s0, s0, s2
	s_addc_u32 s1, s1, s3
	s_load_dwordx2 s[0:1], s[0:1], 0x0
                                        ; implicit-def: $sgpr8_sgpr9
	s_waitcnt lgkmcnt(0)
	v_cmp_eq_f32_e64 s[2:3], s0, 1.0
	v_cmp_eq_f32_e64 s[0:1], s1, 0
	s_and_b64 s[0:1], s[2:3], s[0:1]
	s_mov_b64 s[2:3], 0
	s_andn2_b64 vcc, exec, s[0:1]
	s_mov_b64 s[0:1], 0
	s_cbranch_vccz .LBB185_5
; %bb.3:
	s_mov_b64 s[0:1], -1
	s_mov_b64 s[8:9], 0
	s_branch .LBB185_5
.LBB185_4:
	s_mov_b64 s[2:3], -1
	s_mov_b64 s[0:1], 0
                                        ; implicit-def: $sgpr8_sgpr9
.LBB185_5:
	s_and_b64 vcc, exec, s[2:3]
	s_cbranch_vccz .LBB185_7
; %bb.6:
	s_lshl_b64 s[0:1], s[20:21], 3
	s_add_u32 s0, s12, s0
	s_addc_u32 s1, s13, s1
	s_load_dwordx2 s[0:1], s[0:1], 0x0
	s_lshl_b64 s[2:3], s[14:15], 3
	s_waitcnt lgkmcnt(0)
	s_add_u32 s8, s0, s2
	s_addc_u32 s9, s1, s3
	s_mov_b64 s[0:1], -1
.LBB185_7:
	s_andn2_b64 vcc, exec, s[0:1]
	s_cbranch_vccnz .LBB185_103
; %bb.8:
	v_cndmask_b32_e64 v1, 0, 1, s[10:11]
	v_cmp_ne_u32_e64 s[0:1], 1, v1
	s_andn2_b64 vcc, exec, s[10:11]
	s_mov_b64 s[2:3], 0
	s_cbranch_vccnz .LBB185_10
; %bb.9:
	s_load_dwordx4 s[12:15], s[4:5], 0x38
	s_lshl_b64 s[2:3], s[20:21], 3
	s_waitcnt lgkmcnt(0)
	s_add_u32 s2, s12, s2
	s_addc_u32 s3, s13, s3
	s_load_dwordx2 s[2:3], s[2:3], 0x0
	s_lshl_b64 s[10:11], s[14:15], 3
	s_waitcnt lgkmcnt(0)
	s_add_u32 s2, s2, s10
	s_addc_u32 s3, s3, s11
.LBB185_10:
	s_and_b64 vcc, exec, s[0:1]
	s_cbranch_vccnz .LBB185_103
; %bb.11:
	s_load_dword s33, s[16:17], 0x0
	s_load_dword s21, s[4:5], 0x0
	;; [unrolled: 1-line block ×3, first 2 shown]
	v_and_b32_e32 v26, 0x3ff, v0
	s_lshl_b32 s28, s6, 6
	v_add_u32_e32 v16, s28, v26
	s_waitcnt lgkmcnt(0)
	s_ashr_i32 s42, s21, 31
	s_lshr_b32 s1, s42, 26
	v_bfe_u32 v17, v0, 10, 10
	s_add_i32 s1, s21, s1
	v_mul_lo_u32 v0, v16, s7
	s_andn2_b32 s1, s1, 63
	v_ashrrev_i32_e32 v1, 31, v0
	s_add_i32 s0, s33, -1
	s_sub_i32 s1, s21, s1
	v_lshlrev_b64 v[0:1], 3, v[0:1]
	s_cmp_eq_u32 s6, s0
	v_mov_b32_e32 v2, s3
	v_add_co_u32_e32 v20, vcc, s2, v0
	s_cselect_b32 s26, s1, 0
	v_addc_co_u32_e32 v21, vcc, v2, v1, vcc
	v_cmp_ne_u32_e64 s[0:1], 0, v17
	v_cmp_eq_u32_e64 s[2:3], 0, v17
	s_and_saveexec_b64 s[10:11], s[2:3]
	s_cbranch_execz .LBB185_16
; %bb.12:
	s_cmp_lg_u32 s26, 0
	s_cselect_b64 s[12:13], -1, 0
	v_cmp_le_i32_e32 vcc, s26, v26
	v_mov_b32_e32 v0, 0x2380
	s_and_b64 s[12:13], s[12:13], vcc
	v_lshl_add_u32 v0, v26, 3, v0
	s_and_saveexec_b64 s[14:15], s[12:13]
	s_xor_b64 s[12:13], exec, s[14:15]
	s_cbranch_execz .LBB185_14
; %bb.13:
	v_mov_b32_e32 v2, 0
	v_mov_b32_e32 v3, v2
	ds_write_b64 v0, v[2:3]
                                        ; implicit-def: $vgpr0
.LBB185_14:
	s_andn2_saveexec_b64 s[12:13], s[12:13]
	s_cbranch_execz .LBB185_16
; %bb.15:
	flat_load_dwordx2 v[2:3], v[20:21]
	s_waitcnt vmcnt(0) lgkmcnt(0)
	ds_write_b64 v0, v[2:3]
.LBB185_16:
	s_or_b64 exec, exec, s[10:11]
	s_load_dword s24, s[4:5], 0x28
	s_ashr_i32 s29, s28, 31
	v_lshl_add_u32 v27, v17, 6, v26
	s_lshl_b64 s[4:5], s[28:29], 3
	v_and_b32_e32 v0, 31, v26
	v_lshrrev_b32_e32 v8, 5, v27
	s_add_u32 s8, s8, s4
	s_addc_u32 s9, s9, s5
	s_waitcnt lgkmcnt(0)
	v_mad_u64_u32 v[2:3], s[4:5], v8, s24, v[0:1]
	s_mul_i32 s4, s28, s24
	s_ashr_i32 s5, s4, 31
	s_lshl_b64 s[30:31], s[4:5], 3
	v_ashrrev_i32_e32 v3, 31, v2
	s_add_u32 s4, s30, s8
	v_lshlrev_b64 v[22:23], 3, v[2:3]
	s_addc_u32 s5, s31, s9
	v_mov_b32_e32 v1, s5
	v_add_co_u32_e32 v2, vcc, s4, v22
	s_cmp_lg_u32 s26, 0
	v_addc_co_u32_e32 v3, vcc, v1, v23, vcc
	s_cselect_b64 s[34:35], -1, 0
	s_cmp_eq_u32 s26, 0
	s_cselect_b64 s[36:37], -1, 0
	s_and_b64 vcc, exec, s[34:35]
	s_cbranch_vccnz .LBB185_18
; %bb.17:
	flat_load_dwordx2 v[4:5], v[2:3]
	s_lshl_b32 s4, s24, 3
	s_ashr_i32 s5, s4, 31
	v_mul_u32_u24_e32 v1, 33, v8
	s_lshl_b64 s[4:5], s[4:5], 3
	v_add_lshl_u32 v1, v1, v0, 3
	v_mov_b32_e32 v7, s5
	v_add_co_u32_e32 v6, vcc, s4, v2
	v_addc_co_u32_e32 v7, vcc, v3, v7, vcc
	s_ashr_i32 s25, s24, 31
	s_lshl_b64 s[4:5], s[24:25], 6
	v_mov_b32_e32 v9, s5
	s_waitcnt vmcnt(0) lgkmcnt(0)
	ds_write_b64 v1, v[4:5]
	flat_load_dwordx2 v[4:5], v[6:7]
	v_add_co_u32_e32 v6, vcc, s4, v6
	v_addc_co_u32_e32 v7, vcc, v7, v9, vcc
	s_waitcnt vmcnt(0) lgkmcnt(0)
	ds_write_b64 v1, v[4:5] offset:2112
	flat_load_dwordx2 v[4:5], v[6:7]
	v_add_co_u32_e32 v6, vcc, s4, v6
	v_addc_co_u32_e32 v7, vcc, v7, v9, vcc
	s_waitcnt vmcnt(0) lgkmcnt(0)
	ds_write_b64 v1, v[4:5] offset:4224
	flat_load_dwordx2 v[4:5], v[6:7]
	s_waitcnt vmcnt(0) lgkmcnt(0)
	ds_write_b64 v1, v[4:5] offset:6336
	s_cbranch_execz .LBB185_19
	s_branch .LBB185_34
.LBB185_18:
.LBB185_19:
	v_lshlrev_b32_e32 v1, 3, v0
	v_sub_co_u32_e32 v4, vcc, v2, v1
	s_ashr_i32 s27, s26, 31
	v_subbrev_co_u32_e32 v5, vcc, 0, v3, vcc
	s_lshl_b64 s[8:9], s[26:27], 3
	v_mov_b32_e32 v6, s9
	v_add_co_u32_e32 v4, vcc, s8, v4
	v_addc_co_u32_e32 v5, vcc, v5, v6, vcc
	v_add_co_u32_e32 v4, vcc, -8, v4
	v_addc_co_u32_e32 v5, vcc, -1, v5, vcc
	v_cmp_gt_i32_e32 vcc, s26, v0
	v_mov_b32_e32 v6, 0
	v_cndmask_b32_e32 v5, v5, v3, vcc
	v_cndmask_b32_e32 v4, v4, v2, vcc
	v_cmp_gt_i32_e64 s[4:5], s26, v8
	v_mov_b32_e32 v7, v6
	s_and_saveexec_b64 s[10:11], s[4:5]
	s_cbranch_execz .LBB185_21
; %bb.20:
	flat_load_dwordx2 v[6:7], v[4:5]
.LBB185_21:
	s_or_b64 exec, exec, s[10:11]
	v_mul_u32_u24_e32 v9, 33, v8
	v_add_lshl_u32 v9, v9, v0, 3
	s_waitcnt vmcnt(0) lgkmcnt(0)
	ds_write_b64 v9, v[6:7]
	v_add_u32_e32 v6, 8, v8
	v_cmp_le_i32_e64 s[4:5], s26, v6
	s_and_saveexec_b64 s[10:11], s[4:5]
	s_xor_b64 s[4:5], exec, s[10:11]
	s_cbranch_execz .LBB185_23
; %bb.22:
	v_mul_u32_u24_e32 v6, 33, v6
	v_add_lshl_u32 v10, v6, v0, 3
	v_mov_b32_e32 v6, 0
	v_mov_b32_e32 v7, v6
	ds_write_b64 v10, v[6:7]
.LBB185_23:
	s_andn2_saveexec_b64 s[10:11], s[4:5]
	s_cbranch_execz .LBB185_25
; %bb.24:
	s_lshl_b32 s4, s24, 3
	s_ashr_i32 s5, s4, 31
	s_lshl_b64 s[4:5], s[4:5], 3
	v_mov_b32_e32 v7, s5
	v_add_co_u32_e64 v6, s[4:5], s4, v4
	v_addc_co_u32_e64 v7, s[4:5], v5, v7, s[4:5]
	flat_load_dwordx2 v[6:7], v[6:7]
	s_waitcnt vmcnt(0) lgkmcnt(0)
	ds_write_b64 v9, v[6:7] offset:2112
.LBB185_25:
	s_or_b64 exec, exec, s[10:11]
	v_add_u32_e32 v6, 16, v8
	v_cmp_le_i32_e64 s[4:5], s26, v6
	s_and_saveexec_b64 s[10:11], s[4:5]
	s_xor_b64 s[4:5], exec, s[10:11]
	s_cbranch_execz .LBB185_27
; %bb.26:
	v_mov_b32_e32 v6, 0
	v_mov_b32_e32 v7, v6
	ds_write_b64 v9, v[6:7] offset:4224
.LBB185_27:
	s_andn2_saveexec_b64 s[10:11], s[4:5]
	s_cbranch_execz .LBB185_29
; %bb.28:
	s_lshl_b32 s4, s24, 4
	s_ashr_i32 s5, s4, 31
	s_lshl_b64 s[4:5], s[4:5], 3
	v_mov_b32_e32 v7, s5
	v_add_co_u32_e64 v6, s[4:5], s4, v4
	v_addc_co_u32_e64 v7, s[4:5], v5, v7, s[4:5]
	flat_load_dwordx2 v[6:7], v[6:7]
	s_waitcnt vmcnt(0) lgkmcnt(0)
	ds_write_b64 v9, v[6:7] offset:4224
.LBB185_29:
	s_or_b64 exec, exec, s[10:11]
	v_add_u32_e32 v6, 24, v8
	v_cmp_le_i32_e64 s[4:5], s26, v6
	s_and_saveexec_b64 s[10:11], s[4:5]
	s_xor_b64 s[4:5], exec, s[10:11]
	s_cbranch_execz .LBB185_31
; %bb.30:
	v_mov_b32_e32 v6, 0
	v_mov_b32_e32 v7, v6
	ds_write_b64 v9, v[6:7] offset:6336
                                        ; implicit-def: $vgpr9
.LBB185_31:
	s_andn2_saveexec_b64 s[10:11], s[4:5]
	s_cbranch_execz .LBB185_33
; %bb.32:
	s_mul_i32 s4, s24, 24
	s_ashr_i32 s5, s4, 31
	s_lshl_b64 s[4:5], s[4:5], 3
	v_mov_b32_e32 v7, s5
	v_add_co_u32_e64 v6, s[4:5], s4, v4
	v_addc_co_u32_e64 v7, s[4:5], v5, v7, s[4:5]
	flat_load_dwordx2 v[6:7], v[6:7]
	s_waitcnt vmcnt(0) lgkmcnt(0)
	ds_write_b64 v9, v[6:7] offset:6336
.LBB185_33:
	s_or_b64 exec, exec, s[10:11]
	v_add_co_u32_e64 v1, s[4:5], v4, v1
	v_addc_co_u32_e64 v4, s[4:5], 0, v5, s[4:5]
	v_mov_b32_e32 v5, s9
	v_subrev_co_u32_e64 v1, s[4:5], s8, v1
	v_subb_co_u32_e64 v4, s[4:5], v4, v5, s[4:5]
	v_add_co_u32_e64 v1, s[4:5], 8, v1
	v_addc_co_u32_e64 v4, s[4:5], 0, v4, s[4:5]
	v_cndmask_b32_e32 v3, v4, v3, vcc
	v_cndmask_b32_e32 v2, v1, v2, vcc
.LBB185_34:
	v_lshlrev_b32_e32 v1, 2, v8
	v_mul_u32_u24_e32 v28, 33, v0
	v_cmp_lt_u32_e64 s[18:19], v1, v0
	v_add_lshl_u32 v12, v1, v28, 3
	s_waitcnt lgkmcnt(0)
	s_barrier
	s_and_saveexec_b64 s[4:5], s[18:19]
	s_cbranch_execz .LBB185_36
; %bb.35:
	v_mul_u32_u24_e32 v4, 0x84, v8
	v_add_lshl_u32 v4, v4, v0, 3
	ds_read_b64 v[4:5], v4
	s_waitcnt lgkmcnt(0)
	ds_write_b64 v12, v[4:5]
.LBB185_36:
	s_or_b64 exec, exec, s[4:5]
	v_or_b32_e32 v4, 1, v1
	v_cmp_lt_u32_e64 s[8:9], v4, v0
	s_and_saveexec_b64 s[4:5], s[8:9]
	s_cbranch_execz .LBB185_38
; %bb.37:
	v_mul_u32_u24_e32 v4, 33, v4
	v_add_lshl_u32 v4, v4, v0, 3
	ds_read_b64 v[4:5], v4
	s_waitcnt lgkmcnt(0)
	ds_write_b64 v12, v[4:5] offset:8
.LBB185_38:
	s_or_b64 exec, exec, s[4:5]
	v_or_b32_e32 v4, 2, v1
	v_cmp_lt_u32_e64 s[10:11], v4, v0
	s_and_saveexec_b64 s[4:5], s[10:11]
	s_cbranch_execz .LBB185_40
; %bb.39:
	v_mul_u32_u24_e32 v4, 33, v4
	v_add_lshl_u32 v4, v4, v0, 3
	ds_read_b64 v[4:5], v4
	s_waitcnt lgkmcnt(0)
	ds_write_b64 v12, v[4:5] offset:16
.LBB185_40:
	s_or_b64 exec, exec, s[4:5]
	v_or_b32_e32 v4, 3, v1
	v_cmp_lt_u32_e64 s[12:13], v4, v0
	v_mad_u32_u24 v4, v4, 33, v0
	v_lshlrev_b32_e32 v9, 3, v4
	s_and_saveexec_b64 s[4:5], s[12:13]
	s_cbranch_execz .LBB185_42
; %bb.41:
	ds_read_b64 v[4:5], v9
	s_waitcnt lgkmcnt(0)
	ds_write_b64 v12, v[4:5] offset:24
.LBB185_42:
	s_or_b64 exec, exec, s[4:5]
	v_mul_u32_u24_e32 v4, 0x84, v8
	v_add_lshl_u32 v11, v4, v0, 3
	s_waitcnt lgkmcnt(0)
	s_barrier
	v_lshlrev_b32_e32 v13, 3, v1
	v_add_u32_e32 v10, 0xfffffdf0, v9
	ds_read_b64 v[14:15], v11
	ds_read_b128 v[4:7], v13 offset:9088
	ds_read2_b64 v[30:33], v10 offset1:33
	ds_read_b64 v[18:19], v9
	ds_read_b128 v[34:37], v13 offset:9104
	s_mov_b32 s14, 0
	s_mov_b32 s15, s14
	s_waitcnt lgkmcnt(3)
	v_pk_mul_f32 v[24:25], v[4:5], v[14:15] op_sel:[0,1]
	v_pk_fma_f32 v[38:39], v[4:5], v[14:15], v[24:25] op_sel:[0,0,1] op_sel_hi:[1,1,0] neg_lo:[0,0,1] neg_hi:[0,0,1]
	v_pk_fma_f32 v[4:5], v[4:5], v[14:15], v[24:25] op_sel:[0,0,1] op_sel_hi:[1,0,0]
	s_waitcnt lgkmcnt(2)
	v_pk_mul_f32 v[14:15], v[6:7], v[30:31] op_sel:[0,1]
	v_pk_fma_f32 v[24:25], v[6:7], v[30:31], v[14:15] op_sel:[0,0,1] op_sel_hi:[1,1,0] neg_lo:[0,0,1] neg_hi:[0,0,1]
	v_pk_fma_f32 v[6:7], v[6:7], v[30:31], v[14:15] op_sel:[0,0,1] op_sel_hi:[1,0,0]
	v_mov_b32_e32 v39, v5
	v_mov_b32_e32 v25, v7
	s_waitcnt lgkmcnt(0)
	v_pk_mul_f32 v[6:7], v[34:35], v[32:33] op_sel:[0,1]
	v_pk_add_f32 v[4:5], v[38:39], 0 op_sel_hi:[1,0]
	v_pk_fma_f32 v[14:15], v[34:35], v[32:33], v[6:7] op_sel:[0,0,1] op_sel_hi:[1,1,0] neg_lo:[0,0,1] neg_hi:[0,0,1]
	v_pk_fma_f32 v[6:7], v[34:35], v[32:33], v[6:7] op_sel:[0,0,1] op_sel_hi:[1,0,0]
	v_pk_add_f32 v[4:5], v[4:5], v[24:25]
	v_mov_b32_e32 v15, v7
	v_pk_mul_f32 v[6:7], v[36:37], v[18:19] op_sel:[0,1]
	v_pk_add_f32 v[4:5], v[4:5], v[14:15]
	v_pk_fma_f32 v[14:15], v[36:37], v[18:19], v[6:7] op_sel:[0,0,1] op_sel_hi:[1,1,0] neg_lo:[0,0,1] neg_hi:[0,0,1]
	v_pk_fma_f32 v[6:7], v[36:37], v[18:19], v[6:7] op_sel:[0,0,1] op_sel_hi:[1,0,0]
	v_mov_b32_e32 v15, v7
	v_add_lshl_u32 v29, v8, v28, 3
	v_pk_add_f32 v[4:5], v[4:5], v[14:15]
	v_cmp_gt_u32_e64 s[4:5], 32, v27
	v_pk_mov_b32 v[18:19], s[14:15], s[14:15] op_sel:[0,1]
	s_barrier
	ds_write_b64 v29, v[4:5]
	s_waitcnt lgkmcnt(0)
	s_barrier
	s_and_saveexec_b64 s[14:15], s[4:5]
	s_cbranch_execz .LBB185_44
; %bb.43:
	v_lshlrev_b32_e32 v1, 3, v28
	ds_read2_b64 v[4:7], v1 offset1:7
	ds_read2_b64 v[30:33], v1 offset0:1 offset1:2
	ds_read2_b64 v[34:37], v1 offset0:3 offset1:4
	s_waitcnt lgkmcnt(1)
	v_add_f32_e32 v4, v30, v4
	v_add_f32_e32 v5, v31, v5
	;; [unrolled: 1-line block ×4, first 2 shown]
	ds_read2_b64 v[30:33], v1 offset0:5 offset1:6
	s_waitcnt lgkmcnt(1)
	v_add_f32_e32 v1, v4, v34
	v_add_f32_e32 v4, v5, v35
	;; [unrolled: 1-line block ×4, first 2 shown]
	s_waitcnt lgkmcnt(0)
	v_add_f32_e32 v1, v1, v30
	v_add_f32_e32 v5, v4, v31
	;; [unrolled: 1-line block ×4, first 2 shown]
	v_pk_add_f32 v[18:19], v[4:5], v[6:7]
.LBB185_44:
	s_or_b64 exec, exec, s[14:15]
	s_lshl_b32 s14, s24, 5
	s_ashr_i32 s15, s14, 31
	s_lshl_b64 s[38:39], s[14:15], 3
	v_mov_b32_e32 v1, s39
	v_add_co_u32_e32 v4, vcc, s38, v2
	v_addc_co_u32_e32 v5, vcc, v3, v1, vcc
	v_add_co_u32_e32 v2, vcc, 0x100, v4
	v_cndmask_b32_e64 v1, 0, 1, s[36:37]
	s_mov_b64 s[16:17], vcc
	v_cmp_ne_u32_e64 s[14:15], 1, v1
	s_andn2_b64 vcc, exec, s[36:37]
	v_addc_co_u32_e64 v1, s[16:17], 0, v5, s[16:17]
	s_barrier
	s_cbranch_vccnz .LBB185_46
; %bb.45:
	flat_load_dwordx2 v[6:7], v[4:5] offset:256
	s_lshl_b32 s16, s24, 3
	s_ashr_i32 s17, s16, 31
	v_mul_u32_u24_e32 v3, 33, v8
	s_lshl_b64 s[16:17], s[16:17], 3
	v_add_lshl_u32 v3, v3, v0, 3
	v_mov_b32_e32 v14, s17
	v_add_co_u32_e32 v4, vcc, s16, v4
	v_addc_co_u32_e32 v5, vcc, v5, v14, vcc
	s_ashr_i32 s25, s24, 31
	s_lshl_b64 s[16:17], s[24:25], 6
	v_mov_b32_e32 v14, s17
	s_waitcnt vmcnt(0) lgkmcnt(0)
	ds_write_b64 v3, v[6:7]
	flat_load_dwordx2 v[6:7], v[4:5] offset:256
	v_add_co_u32_e32 v4, vcc, s16, v4
	v_addc_co_u32_e32 v5, vcc, v5, v14, vcc
	s_waitcnt vmcnt(0) lgkmcnt(0)
	ds_write_b64 v3, v[6:7] offset:2112
	flat_load_dwordx2 v[6:7], v[4:5] offset:256
	v_add_co_u32_e32 v4, vcc, s16, v4
	v_addc_co_u32_e32 v5, vcc, v5, v14, vcc
	s_waitcnt vmcnt(0) lgkmcnt(0)
	ds_write_b64 v3, v[6:7] offset:4224
	flat_load_dwordx2 v[4:5], v[4:5] offset:256
	s_waitcnt vmcnt(0) lgkmcnt(0)
	ds_write_b64 v3, v[4:5] offset:6336
	s_cbranch_execz .LBB185_47
	s_branch .LBB185_62
.LBB185_46:
.LBB185_47:
	v_or_b32_e32 v3, 32, v0
	v_lshlrev_b32_e32 v4, 3, v3
	v_sub_co_u32_e32 v4, vcc, v2, v4
	s_ashr_i32 s27, s26, 31
	v_subbrev_co_u32_e32 v5, vcc, 0, v1, vcc
	s_lshl_b64 s[36:37], s[26:27], 3
	v_mov_b32_e32 v6, s37
	v_add_co_u32_e32 v4, vcc, s36, v4
	v_addc_co_u32_e32 v5, vcc, v5, v6, vcc
	v_add_co_u32_e32 v4, vcc, -8, v4
	v_addc_co_u32_e32 v5, vcc, -1, v5, vcc
	v_cmp_gt_i32_e64 s[16:17], s26, v3
	s_sub_i32 s25, s26, 32
	v_mov_b32_e32 v6, 0
	v_cndmask_b32_e64 v5, v5, v1, s[16:17]
	v_cndmask_b32_e64 v4, v4, v2, s[16:17]
	v_cmp_gt_i32_e32 vcc, s25, v8
	v_mov_b32_e32 v7, v6
	s_and_saveexec_b64 s[40:41], vcc
	s_cbranch_execz .LBB185_49
; %bb.48:
	flat_load_dwordx2 v[6:7], v[4:5]
.LBB185_49:
	s_or_b64 exec, exec, s[40:41]
	v_mul_u32_u24_e32 v3, 33, v8
	v_add_lshl_u32 v3, v3, v0, 3
	s_waitcnt vmcnt(0) lgkmcnt(0)
	ds_write_b64 v3, v[6:7]
	v_add_u32_e32 v6, 8, v8
	v_cmp_le_i32_e32 vcc, s25, v6
	s_and_saveexec_b64 s[40:41], vcc
	s_xor_b64 s[40:41], exec, s[40:41]
	s_cbranch_execz .LBB185_51
; %bb.50:
	v_mul_u32_u24_e32 v6, 33, v6
	v_add_lshl_u32 v14, v6, v0, 3
	v_mov_b32_e32 v6, 0
	v_mov_b32_e32 v7, v6
	ds_write_b64 v14, v[6:7]
.LBB185_51:
	s_andn2_saveexec_b64 s[40:41], s[40:41]
	s_cbranch_execz .LBB185_53
; %bb.52:
	s_lshl_b32 s44, s24, 3
	s_ashr_i32 s45, s44, 31
	s_lshl_b64 s[44:45], s[44:45], 3
	v_mov_b32_e32 v7, s45
	v_add_co_u32_e32 v6, vcc, s44, v4
	v_addc_co_u32_e32 v7, vcc, v5, v7, vcc
	flat_load_dwordx2 v[6:7], v[6:7]
	s_waitcnt vmcnt(0) lgkmcnt(0)
	ds_write_b64 v3, v[6:7] offset:2112
.LBB185_53:
	s_or_b64 exec, exec, s[40:41]
	v_add_u32_e32 v6, 16, v8
	v_cmp_le_i32_e32 vcc, s25, v6
	s_and_saveexec_b64 s[40:41], vcc
	s_xor_b64 s[40:41], exec, s[40:41]
	s_cbranch_execz .LBB185_55
; %bb.54:
	v_mul_u32_u24_e32 v6, 33, v6
	v_add_lshl_u32 v14, v6, v0, 3
	v_mov_b32_e32 v6, 0
	v_mov_b32_e32 v7, v6
	ds_write_b64 v14, v[6:7]
.LBB185_55:
	s_andn2_saveexec_b64 s[40:41], s[40:41]
	s_cbranch_execz .LBB185_57
; %bb.56:
	s_lshl_b32 s44, s24, 4
	s_ashr_i32 s45, s44, 31
	s_lshl_b64 s[44:45], s[44:45], 3
	v_mov_b32_e32 v7, s45
	v_add_co_u32_e32 v6, vcc, s44, v4
	v_addc_co_u32_e32 v7, vcc, v5, v7, vcc
	flat_load_dwordx2 v[6:7], v[6:7]
	s_waitcnt vmcnt(0) lgkmcnt(0)
	ds_write_b64 v3, v[6:7] offset:4224
.LBB185_57:
	s_or_b64 exec, exec, s[40:41]
	v_add_u32_e32 v6, 24, v8
	v_cmp_le_i32_e32 vcc, s25, v6
	s_and_saveexec_b64 s[40:41], vcc
	s_xor_b64 s[40:41], exec, s[40:41]
	s_cbranch_execz .LBB185_59
; %bb.58:
	v_mov_b32_e32 v6, 0
	v_mov_b32_e32 v7, v6
	ds_write_b64 v3, v[6:7] offset:6336
                                        ; implicit-def: $vgpr3
.LBB185_59:
	s_andn2_saveexec_b64 s[40:41], s[40:41]
	s_cbranch_execz .LBB185_61
; %bb.60:
	s_mul_i32 s44, s24, 24
	s_ashr_i32 s45, s44, 31
	s_lshl_b64 s[44:45], s[44:45], 3
	v_mov_b32_e32 v7, s45
	v_add_co_u32_e32 v6, vcc, s44, v4
	v_addc_co_u32_e32 v7, vcc, v5, v7, vcc
	flat_load_dwordx2 v[6:7], v[6:7]
	s_waitcnt vmcnt(0) lgkmcnt(0)
	ds_write_b64 v3, v[6:7] offset:6336
.LBB185_61:
	s_or_b64 exec, exec, s[40:41]
	v_lshlrev_b32_e32 v3, 3, v0
	v_add_co_u32_e32 v3, vcc, v4, v3
	v_addc_co_u32_e32 v4, vcc, 0, v5, vcc
	v_mov_b32_e32 v5, s37
	v_subrev_co_u32_e32 v3, vcc, s36, v3
	v_subb_co_u32_e32 v4, vcc, v4, v5, vcc
	v_add_co_u32_e32 v3, vcc, 0x108, v3
	v_addc_co_u32_e32 v4, vcc, 0, v4, vcc
	v_cndmask_b32_e64 v1, v4, v1, s[16:17]
	v_cndmask_b32_e64 v2, v3, v2, s[16:17]
.LBB185_62:
	v_add_u32_e32 v6, 0x2380, v13
	s_waitcnt lgkmcnt(0)
	s_barrier
	s_and_saveexec_b64 s[16:17], s[18:19]
	s_cbranch_execnz .LBB185_71
; %bb.63:
	s_or_b64 exec, exec, s[16:17]
	s_and_saveexec_b64 s[16:17], s[8:9]
	s_cbranch_execnz .LBB185_72
.LBB185_64:
	s_or_b64 exec, exec, s[16:17]
	s_and_saveexec_b64 s[8:9], s[10:11]
	s_cbranch_execnz .LBB185_73
.LBB185_65:
	s_or_b64 exec, exec, s[8:9]
	s_and_saveexec_b64 s[8:9], s[12:13]
	s_cbranch_execz .LBB185_67
.LBB185_66:
	ds_read_b64 v[4:5], v9
	s_waitcnt lgkmcnt(0)
	ds_write_b64 v12, v[4:5] offset:24
.LBB185_67:
	s_or_b64 exec, exec, s[8:9]
	s_waitcnt lgkmcnt(0)
	s_barrier
	ds_read_b64 v[4:5], v11
	ds_read_b128 v[30:33], v6 offset:256
	ds_read2_b64 v[34:37], v10 offset1:33
	ds_read_b64 v[10:11], v9
	ds_read_b128 v[38:41], v6 offset:272
	v_cmp_eq_u32_e64 s[10:11], 1, v8
	s_waitcnt lgkmcnt(3)
	v_pk_mul_f32 v[14:15], v[30:31], v[4:5] op_sel:[0,1]
	v_pk_fma_f32 v[24:25], v[30:31], v[4:5], v[14:15] op_sel:[0,0,1] op_sel_hi:[1,1,0] neg_lo:[0,0,1] neg_hi:[0,0,1]
	v_pk_fma_f32 v[4:5], v[30:31], v[4:5], v[14:15] op_sel:[0,0,1] op_sel_hi:[1,0,0]
	v_mov_b32_e32 v25, v5
	s_waitcnt lgkmcnt(2)
	v_pk_mul_f32 v[14:15], v[32:33], v[34:35] op_sel:[0,1]
	v_pk_add_f32 v[4:5], v[24:25], 0 op_sel_hi:[1,0]
	v_pk_fma_f32 v[24:25], v[32:33], v[34:35], v[14:15] op_sel:[0,0,1] op_sel_hi:[1,1,0] neg_lo:[0,0,1] neg_hi:[0,0,1]
	v_pk_fma_f32 v[14:15], v[32:33], v[34:35], v[14:15] op_sel:[0,0,1] op_sel_hi:[1,0,0]
	v_mov_b32_e32 v25, v15
	s_waitcnt lgkmcnt(0)
	v_pk_mul_f32 v[14:15], v[38:39], v[36:37] op_sel:[0,1]
	v_pk_add_f32 v[4:5], v[4:5], v[24:25]
	v_pk_fma_f32 v[24:25], v[38:39], v[36:37], v[14:15] op_sel:[0,0,1] op_sel_hi:[1,1,0] neg_lo:[0,0,1] neg_hi:[0,0,1]
	v_pk_fma_f32 v[14:15], v[38:39], v[36:37], v[14:15] op_sel:[0,0,1] op_sel_hi:[1,0,0]
	v_mov_b32_e32 v25, v15
	v_pk_mul_f32 v[14:15], v[40:41], v[10:11] op_sel:[0,1]
	v_pk_add_f32 v[4:5], v[4:5], v[24:25]
	v_pk_fma_f32 v[24:25], v[40:41], v[10:11], v[14:15] op_sel:[0,0,1] op_sel_hi:[1,1,0] neg_lo:[0,0,1] neg_hi:[0,0,1]
	v_pk_fma_f32 v[10:11], v[40:41], v[10:11], v[14:15] op_sel:[0,0,1] op_sel_hi:[1,0,0]
	v_mov_b32_e32 v25, v11
	v_pk_add_f32 v[4:5], v[4:5], v[24:25]
	s_barrier
	ds_write_b64 v29, v[4:5]
	s_waitcnt lgkmcnt(0)
	s_barrier
	s_and_saveexec_b64 s[8:9], s[10:11]
	s_cbranch_execz .LBB185_69
; %bb.68:
	v_lshlrev_b32_e32 v3, 3, v28
	ds_read2_b64 v[30:33], v3 offset1:7
	ds_read2_b64 v[34:37], v3 offset0:1 offset1:2
	ds_read2_b64 v[38:41], v3 offset0:3 offset1:4
	s_waitcnt lgkmcnt(1)
	v_add_f32_e32 v4, v34, v30
	v_add_f32_e32 v5, v35, v31
	;; [unrolled: 1-line block ×4, first 2 shown]
	ds_read2_b64 v[34:37], v3 offset0:5 offset1:6
	s_waitcnt lgkmcnt(1)
	v_add_f32_e32 v3, v4, v38
	v_add_f32_e32 v4, v5, v39
	v_add_f32_e32 v3, v3, v40
	v_add_f32_e32 v5, v4, v41
	s_waitcnt lgkmcnt(0)
	v_add_f32_e32 v4, v3, v34
	v_add_f32_e32 v5, v5, v35
	v_pk_add_f32 v[4:5], v[4:5], v[36:37]
	v_pk_add_f32 v[18:19], v[4:5], v[32:33]
.LBB185_69:
	s_or_b64 exec, exec, s[8:9]
	v_mov_b32_e32 v3, s39
	v_subrev_co_u32_e64 v24, s[8:9], s38, v2
	s_and_b64 vcc, exec, s[14:15]
	v_subb_co_u32_e64 v25, s[8:9], v1, v3, s[8:9]
	s_barrier
	s_cbranch_vccnz .LBB185_74
; %bb.70:
	flat_load_dwordx2 v[2:3], v[24:25]
	s_lshl_b32 s8, s24, 3
	s_ashr_i32 s9, s8, 31
	v_mad_u32_u24 v1, v8, 33, v0
	s_lshl_b64 s[8:9], s[8:9], 3
	v_lshlrev_b32_e32 v13, 3, v1
	v_mov_b32_e32 v5, s9
	v_add_co_u32_e32 v4, vcc, s8, v24
	v_addc_co_u32_e32 v5, vcc, v25, v5, vcc
	s_ashr_i32 s25, s24, 31
	s_lshl_b64 s[8:9], s[24:25], 6
	v_mov_b32_e32 v7, s9
	v_add_u32_e32 v9, 0x318, v1
	s_waitcnt vmcnt(0) lgkmcnt(0)
	ds_write_b64 v13, v[2:3]
	flat_load_dwordx2 v[2:3], v[4:5]
	v_add_co_u32_e32 v4, vcc, s8, v4
	v_addc_co_u32_e32 v5, vcc, v5, v7, vcc
	s_waitcnt vmcnt(0) lgkmcnt(0)
	ds_write_b64 v13, v[2:3] offset:2112
	flat_load_dwordx2 v[2:3], v[4:5]
	v_add_co_u32_e32 v4, vcc, s8, v4
	v_addc_co_u32_e32 v5, vcc, v5, v7, vcc
	v_add_u32_e32 v7, 24, v8
	s_waitcnt vmcnt(0) lgkmcnt(0)
	ds_write_b64 v13, v[2:3] offset:4224
	flat_load_dwordx2 v[10:11], v[4:5]
	v_add_u32_e32 v4, 8, v8
	v_add_u32_e32 v5, 16, v8
	;; [unrolled: 1-line block ×4, first 2 shown]
	s_waitcnt vmcnt(0) lgkmcnt(0)
	ds_write_b64 v13, v[10:11] offset:6336
	s_cbranch_execz .LBB185_75
	s_branch .LBB185_90
.LBB185_71:
	ds_read_b64 v[4:5], v11
	s_waitcnt lgkmcnt(0)
	ds_write_b64 v12, v[4:5]
	s_or_b64 exec, exec, s[16:17]
	s_and_saveexec_b64 s[16:17], s[8:9]
	s_cbranch_execz .LBB185_64
.LBB185_72:
	ds_read_b64 v[4:5], v10
	s_waitcnt lgkmcnt(0)
	ds_write_b64 v12, v[4:5] offset:8
	s_or_b64 exec, exec, s[16:17]
	s_and_saveexec_b64 s[8:9], s[10:11]
	s_cbranch_execz .LBB185_65
.LBB185_73:
	ds_read_b64 v[4:5], v10 offset:264
	s_waitcnt lgkmcnt(0)
	ds_write_b64 v12, v[4:5] offset:16
	s_or_b64 exec, exec, s[8:9]
	s_and_saveexec_b64 s[8:9], s[12:13]
	s_cbranch_execnz .LBB185_66
	s_branch .LBB185_67
.LBB185_74:
                                        ; implicit-def: $vgpr1
                                        ; implicit-def: $vgpr4
                                        ; implicit-def: $vgpr2
                                        ; implicit-def: $vgpr5
                                        ; implicit-def: $vgpr3
                                        ; implicit-def: $vgpr7
                                        ; implicit-def: $vgpr9
.LBB185_75:
	v_or_b32_e32 v1, 32, v0
	v_lshlrev_b32_e32 v2, 3, v1
	v_sub_co_u32_e32 v2, vcc, v24, v2
	s_ashr_i32 s27, s26, 31
	v_subbrev_co_u32_e32 v3, vcc, 0, v25, vcc
	s_lshl_b64 s[12:13], s[26:27], 3
	v_mov_b32_e32 v4, s13
	v_add_co_u32_e32 v2, vcc, s12, v2
	v_addc_co_u32_e32 v3, vcc, v3, v4, vcc
	v_add_co_u32_e32 v2, vcc, -8, v2
	v_addc_co_u32_e32 v3, vcc, -1, v3, vcc
	v_cmp_gt_i32_e64 s[8:9], s26, v1
	v_mov_b32_e32 v4, 0
	v_cndmask_b32_e64 v3, v3, v25, s[8:9]
	v_cndmask_b32_e64 v2, v2, v24, s[8:9]
	v_cmp_gt_i32_e32 vcc, s26, v8
	v_mov_b32_e32 v5, v4
	s_and_saveexec_b64 s[14:15], vcc
	s_cbranch_execz .LBB185_77
; %bb.76:
	flat_load_dwordx2 v[4:5], v[2:3]
.LBB185_77:
	s_or_b64 exec, exec, s[14:15]
	v_mad_u32_u24 v1, v8, 33, v0
	v_lshlrev_b32_e32 v10, 3, v1
	s_waitcnt vmcnt(0) lgkmcnt(0)
	ds_write_b64 v10, v[4:5]
	v_add_u32_e32 v4, 8, v8
	v_cmp_le_i32_e32 vcc, s26, v4
	s_and_saveexec_b64 s[14:15], vcc
	s_xor_b64 s[14:15], exec, s[14:15]
	s_cbranch_execz .LBB185_79
; %bb.78:
	v_mul_u32_u24_e32 v5, 33, v4
	v_mov_b32_e32 v14, 0
	v_add_lshl_u32 v5, v5, v0, 3
	v_mov_b32_e32 v15, v14
	ds_write_b64 v5, v[14:15]
.LBB185_79:
	s_andn2_saveexec_b64 s[14:15], s[14:15]
	s_cbranch_execz .LBB185_81
; %bb.80:
	s_lshl_b32 s16, s24, 3
	s_ashr_i32 s17, s16, 31
	s_lshl_b64 s[16:17], s[16:17], 3
	v_mov_b32_e32 v5, s17
	v_add_co_u32_e32 v14, vcc, s16, v2
	v_addc_co_u32_e32 v15, vcc, v3, v5, vcc
	flat_load_dwordx2 v[14:15], v[14:15]
	s_waitcnt vmcnt(0) lgkmcnt(0)
	ds_write_b64 v10, v[14:15] offset:2112
.LBB185_81:
	s_or_b64 exec, exec, s[14:15]
	v_add_u32_e32 v5, 16, v8
	v_cmp_le_i32_e32 vcc, s26, v5
	s_and_saveexec_b64 s[14:15], vcc
	s_xor_b64 s[14:15], exec, s[14:15]
	s_cbranch_execz .LBB185_83
; %bb.82:
	v_mul_u32_u24_e32 v7, 33, v5
	v_mov_b32_e32 v14, 0
	v_add_lshl_u32 v7, v7, v0, 3
	v_mov_b32_e32 v15, v14
	ds_write_b64 v7, v[14:15]
.LBB185_83:
	s_andn2_saveexec_b64 s[14:15], s[14:15]
	s_cbranch_execz .LBB185_85
; %bb.84:
	s_lshl_b32 s16, s24, 4
	s_ashr_i32 s17, s16, 31
	s_lshl_b64 s[16:17], s[16:17], 3
	v_mov_b32_e32 v7, s17
	v_add_co_u32_e32 v14, vcc, s16, v2
	v_addc_co_u32_e32 v15, vcc, v3, v7, vcc
	flat_load_dwordx2 v[14:15], v[14:15]
	s_waitcnt vmcnt(0) lgkmcnt(0)
	ds_write_b64 v10, v[14:15] offset:4224
.LBB185_85:
	s_or_b64 exec, exec, s[14:15]
	v_add_u32_e32 v7, 24, v8
	v_cmp_le_i32_e32 vcc, s26, v7
                                        ; implicit-def: $vgpr9
	s_and_saveexec_b64 s[14:15], vcc
	s_xor_b64 s[14:15], exec, s[14:15]
	s_cbranch_execz .LBB185_87
; %bb.86:
	v_mad_u32_u24 v9, v7, 33, v0
	v_mov_b32_e32 v10, 0
	v_lshlrev_b32_e32 v13, 3, v9
	v_mov_b32_e32 v11, v10
	ds_write_b64 v13, v[10:11]
                                        ; implicit-def: $vgpr10
.LBB185_87:
	s_andn2_saveexec_b64 s[14:15], s[14:15]
	s_cbranch_execz .LBB185_89
; %bb.88:
	s_mul_i32 s16, s24, 24
	s_ashr_i32 s17, s16, 31
	s_lshl_b64 s[16:17], s[16:17], 3
	v_mov_b32_e32 v9, s17
	v_add_co_u32_e32 v14, vcc, s16, v2
	v_addc_co_u32_e32 v15, vcc, v3, v9, vcc
	flat_load_dwordx2 v[14:15], v[14:15]
	v_add_u32_e32 v9, 0x318, v1
	s_waitcnt vmcnt(0) lgkmcnt(0)
	ds_write_b64 v10, v[14:15] offset:6336
.LBB185_89:
	s_or_b64 exec, exec, s[14:15]
	v_lshlrev_b32_e32 v0, 3, v0
	v_add_co_u32_e32 v0, vcc, v2, v0
	v_addc_co_u32_e32 v2, vcc, 0, v3, vcc
	v_mov_b32_e32 v3, s13
	v_subrev_co_u32_e32 v0, vcc, s12, v0
	v_subb_co_u32_e32 v2, vcc, v2, v3, vcc
	v_add_co_u32_e32 v0, vcc, 0x108, v0
	v_addc_co_u32_e32 v2, vcc, 0, v2, vcc
	v_cndmask_b32_e64 v25, v2, v25, s[8:9]
	v_cndmask_b32_e64 v24, v0, v24, s[8:9]
	v_add_u32_e32 v2, 0x108, v1
	v_add_u32_e32 v3, 0x210, v1
.LBB185_90:
	v_lshlrev_b32_e32 v0, 3, v1
	s_waitcnt lgkmcnt(0)
	s_barrier
	ds_read_b64 v[30:31], v0
	v_lshlrev_b32_e32 v13, 3, v8
	v_lshlrev_b32_e32 v14, 3, v2
	;; [unrolled: 1-line block ×7, first 2 shown]
	ds_read_b64 v[32:33], v0
	ds_read2_b64 v[8:11], v12 offset1:1
	ds_read2_b64 v[0:3], v12 offset0:2 offset1:3
	ds_read_b64 v[34:35], v4 offset:9088
	ds_read_b64 v[36:37], v14
	ds_read_b64 v[38:39], v13 offset:9088
	ds_read_b128 v[12:15], v6 offset:256
	ds_read_b128 v[4:7], v6 offset:272
	ds_read_b64 v[40:41], v40 offset:9088
	ds_read_b64 v[42:43], v42
	ds_read_b64 v[44:45], v44 offset:9088
	s_waitcnt lgkmcnt(5)
	v_pk_mul_f32 v[46:47], v[38:39], v[30:31] op_sel:[0,1]
	v_pk_fma_f32 v[48:49], v[38:39], v[30:31], v[46:47] op_sel:[0,0,1] op_sel_hi:[1,1,0] neg_lo:[0,0,1] neg_hi:[0,0,1]
	v_pk_fma_f32 v[30:31], v[38:39], v[30:31], v[46:47] op_sel:[0,0,1] op_sel_hi:[1,0,0]
	v_pk_mul_f32 v[38:39], v[34:35], v[36:37] op_sel:[0,1]
	v_pk_fma_f32 v[46:47], v[34:35], v[36:37], v[38:39] op_sel:[0,0,1] op_sel_hi:[1,1,0] neg_lo:[0,0,1] neg_hi:[0,0,1]
	v_pk_fma_f32 v[34:35], v[34:35], v[36:37], v[38:39] op_sel:[0,0,1] op_sel_hi:[1,0,0]
	v_mov_b32_e32 v47, v35
	s_waitcnt lgkmcnt(0)
	v_pk_mul_f32 v[34:35], v[44:45], v[32:33] op_sel:[0,1]
	v_mov_b32_e32 v49, v31
	v_pk_fma_f32 v[36:37], v[44:45], v[32:33], v[34:35] op_sel:[0,0,1] op_sel_hi:[1,1,0] neg_lo:[0,0,1] neg_hi:[0,0,1]
	v_pk_fma_f32 v[32:33], v[44:45], v[32:33], v[34:35] op_sel:[0,0,1] op_sel_hi:[1,0,0]
	v_pk_add_f32 v[30:31], v[48:49], 0 op_sel_hi:[1,0]
	v_mov_b32_e32 v37, v33
	v_pk_mul_f32 v[32:33], v[40:41], v[42:43] op_sel:[0,1]
	v_pk_add_f32 v[30:31], v[30:31], v[46:47]
	v_pk_fma_f32 v[34:35], v[40:41], v[42:43], v[32:33] op_sel:[0,0,1] op_sel_hi:[1,1,0] neg_lo:[0,0,1] neg_hi:[0,0,1]
	v_pk_fma_f32 v[32:33], v[40:41], v[42:43], v[32:33] op_sel:[0,0,1] op_sel_hi:[1,0,0]
	v_pk_add_f32 v[30:31], v[30:31], v[36:37]
	v_mov_b32_e32 v35, v33
	v_pk_add_f32 v[30:31], v[30:31], v[34:35]
	s_barrier
	ds_write_b64 v29, v[30:31]
	s_waitcnt lgkmcnt(0)
	s_barrier
	s_and_saveexec_b64 s[8:9], s[10:11]
	s_cbranch_execz .LBB185_92
; %bb.91:
	v_lshlrev_b32_e32 v42, 3, v28
	ds_read2_b64 v[30:33], v42 offset1:1
	ds_read2_b64 v[34:37], v42 offset0:2 offset1:3
	ds_read2_b64 v[38:41], v42 offset0:4 offset1:5
	s_waitcnt lgkmcnt(2)
	v_pk_add_f32 v[18:19], v[18:19], v[30:31]
	v_pk_add_f32 v[18:19], v[18:19], v[32:33]
	ds_read2_b64 v[30:33], v42 offset0:6 offset1:7
	s_waitcnt lgkmcnt(2)
	v_pk_add_f32 v[18:19], v[18:19], v[34:35]
	v_pk_add_f32 v[18:19], v[18:19], v[36:37]
	s_waitcnt lgkmcnt(1)
	v_pk_add_f32 v[18:19], v[18:19], v[38:39]
	v_pk_add_f32 v[18:19], v[18:19], v[40:41]
	;; [unrolled: 3-line block ×3, first 2 shown]
.LBB185_92:
	s_or_b64 exec, exec, s[8:9]
	v_pk_mul_f32 v[30:31], v[12:13], v[8:9] op_sel:[0,1]
	v_pk_fma_f32 v[32:33], v[12:13], v[8:9], v[30:31] op_sel:[0,0,1] op_sel_hi:[1,1,0] neg_lo:[0,0,1] neg_hi:[0,0,1]
	v_pk_fma_f32 v[8:9], v[12:13], v[8:9], v[30:31] op_sel:[0,0,1] op_sel_hi:[1,0,0]
	v_mov_b32_e32 v12, v11
	v_pk_mul_f32 v[12:13], v[14:15], v[12:13] op_sel_hi:[1,0]
	v_pk_fma_f32 v[30:31], v[14:15], v[10:11], v[12:13] op_sel:[0,0,1] op_sel_hi:[1,1,0] neg_lo:[0,0,1] neg_hi:[0,0,1]
	v_pk_fma_f32 v[10:11], v[14:15], v[10:11], v[12:13] op_sel:[0,0,1] op_sel_hi:[1,0,0]
	v_mov_b32_e32 v33, v9
	v_mov_b32_e32 v31, v11
	v_pk_mul_f32 v[10:11], v[4:5], v[0:1] op_sel:[0,1]
	v_pk_add_f32 v[8:9], v[32:33], 0 op_sel_hi:[1,0]
	v_pk_fma_f32 v[12:13], v[4:5], v[0:1], v[10:11] op_sel:[0,0,1] op_sel_hi:[1,1,0] neg_lo:[0,0,1] neg_hi:[0,0,1]
	v_pk_fma_f32 v[0:1], v[4:5], v[0:1], v[10:11] op_sel:[0,0,1] op_sel_hi:[1,0,0]
	v_mov_b32_e32 v4, v3
	v_pk_add_f32 v[8:9], v[8:9], v[30:31]
	v_mov_b32_e32 v13, v1
	v_pk_mul_f32 v[4:5], v[6:7], v[4:5] op_sel_hi:[1,0]
	v_pk_add_f32 v[0:1], v[8:9], v[12:13]
	v_pk_fma_f32 v[8:9], v[6:7], v[2:3], v[4:5] op_sel:[0,0,1] op_sel_hi:[1,1,0] neg_lo:[0,0,1] neg_hi:[0,0,1]
	v_pk_fma_f32 v[2:3], v[6:7], v[2:3], v[4:5] op_sel:[0,0,1] op_sel_hi:[1,0,0]
	v_mov_b32_e32 v9, v3
	v_pk_add_f32 v[0:1], v[0:1], v[8:9]
	s_barrier
	ds_write_b64 v29, v[0:1]
	s_waitcnt lgkmcnt(0)
	s_barrier
	s_and_saveexec_b64 s[8:9], s[4:5]
	s_cbranch_execz .LBB185_94
; %bb.93:
	v_lshlrev_b32_e32 v14, 3, v28
	ds_read2_b64 v[0:3], v14 offset1:1
	ds_read2_b64 v[4:7], v14 offset0:2 offset1:3
	ds_read2_b64 v[8:11], v14 offset0:4 offset1:5
	s_waitcnt lgkmcnt(2)
	v_pk_add_f32 v[0:1], v[18:19], v[0:1]
	v_pk_add_f32 v[12:13], v[0:1], v[2:3]
	ds_read2_b64 v[0:3], v14 offset0:6 offset1:7
	s_waitcnt lgkmcnt(2)
	v_pk_add_f32 v[4:5], v[12:13], v[4:5]
	v_pk_add_f32 v[4:5], v[4:5], v[6:7]
	s_waitcnt lgkmcnt(1)
	v_pk_add_f32 v[4:5], v[4:5], v[8:9]
	v_pk_add_f32 v[4:5], v[4:5], v[10:11]
	;; [unrolled: 3-line block ×3, first 2 shown]
.LBB185_94:
	s_or_b64 exec, exec, s[8:9]
	s_mul_hi_u32 s4, s21, s20
	s_mul_i32 s42, s42, s20
	s_add_i32 s4, s4, s42
	s_mul_i32 s8, s21, s20
	s_mul_i32 s4, s4, s33
	s_mul_hi_u32 s5, s8, s33
	s_add_i32 s5, s5, s4
	s_mul_i32 s4, s8, s33
	s_lshl_b64 s[4:5], s[4:5], 3
	s_add_u32 s8, s22, s4
	s_mul_i32 s4, s6, s21
	s_addc_u32 s9, s23, s5
	s_ashr_i32 s5, s4, 31
	s_lshl_b64 s[4:5], s[4:5], 3
	s_add_u32 s29, s8, s4
	v_cmp_le_i32_e32 vcc, s26, v26
	s_addc_u32 s33, s9, s5
	s_and_b64 vcc, s[34:35], vcc
	s_cmp_lt_i32 s6, 1
	v_lshlrev_b32_e32 v72, 3, v26
	s_barrier
	s_cbranch_scc1 .LBB185_101
; %bb.95:
	s_mul_i32 s4, s28, s7
	s_ashr_i32 s5, s4, 31
	s_lshl_b64 s[4:5], s[4:5], 3
	v_mov_b32_e32 v0, s5
	v_subrev_co_u32_e64 v73, s[4:5], s4, v20
	v_subb_co_u32_e64 v74, s[4:5], v21, v0, s[4:5]
	v_mov_b32_e32 v0, s31
	v_subrev_co_u32_e64 v1, s[4:5], s30, v24
	v_subb_co_u32_e64 v0, s[4:5], v25, v0, s[4:5]
	v_sub_co_u32_e64 v4, s[4:5], v1, v22
	v_subb_co_u32_e64 v5, s[4:5], v0, v23, s[4:5]
	v_mul_lo_u32 v0, v17, s24
	v_lshl_add_u32 v0, v0, 2, v26
	v_ashrrev_i32_e32 v1, 31, v0
	v_lshlrev_b64 v[0:1], 3, v[0:1]
	v_add_co_u32_e64 v0, s[4:5], v4, v0
	v_addc_co_u32_e64 v1, s[4:5], v5, v1, s[4:5]
	s_movk_i32 s4, 0xff00
	v_add_co_u32_e64 v0, s[4:5], s4, v0
	v_addc_co_u32_e64 v1, s[4:5], -1, v1, s[4:5]
	v_sub_co_u32_e64 v4, s[4:5], v0, v72
	v_subbrev_co_u32_e64 v5, s[4:5], 0, v1, s[4:5]
	s_ashr_i32 s27, s26, 31
	s_lshl_b64 s[4:5], s[26:27], 3
	v_mov_b32_e32 v6, s5
	v_add_co_u32_e64 v4, s[4:5], s4, v4
	v_addc_co_u32_e64 v5, s[4:5], v5, v6, s[4:5]
	v_add_co_u32_e64 v4, s[4:5], -8, v4
	v_addc_co_u32_e64 v5, s[4:5], -1, v5, s[4:5]
	v_cndmask_b32_e32 v14, v0, v4, vcc
	v_and_b32_e32 v0, 48, v26
	v_and_b32_e32 v2, 15, v26
	v_cndmask_b32_e32 v15, v1, v5, vcc
	v_lshlrev_b32_e32 v1, 3, v0
	s_movk_i32 s8, 0x218
	v_lshrrev_b32_e32 v3, 4, v27
	v_mad_u32_u24 v77, v2, s8, v1
	v_or_b32_e32 v1, 0x78, v72
	v_mad_u32_u24 v78, v2, s8, v1
	v_lshlrev_b32_e32 v1, 5, v3
	v_mad_u32_u24 v79, v2, s8, v1
	v_mov_b32_e32 v1, 0x2180
	s_ashr_i32 s25, s24, 31
	v_lshl_add_u32 v80, v17, 5, v1
	s_movk_i32 s9, 0x860
	v_lshlrev_b32_e32 v1, 3, v3
	v_mad_u32_u24 v81, v17, s9, v72
	v_mad_u32_u24 v82, v2, s8, v1
	s_lshl_b64 s[10:11], s[24:25], 3
	s_lshl_b64 s[12:13], s[24:25], 4
	s_mul_hi_i32 s8, s24, 24
	s_lshl_b64 s[16:17], s[24:25], 7
	s_mul_hi_i32 s9, s24, 0x90
	s_mul_hi_i32 s21, s24, 0x98
	s_lshl_b64 s[18:19], s[24:25], 8
	s_mul_hi_i32 s22, s24, 0x110
	s_mul_hi_i32 s23, s24, 0x118
	;; [unrolled: 1-line block ×8, first 2 shown]
	v_mov_b32_e32 v13, 0
	s_lshl_b32 s7, s7, 6
	v_add_u32_e32 v75, 0x2180, v72
	v_add_u32_e32 v76, 0x2380, v72
	v_cmp_gt_u32_e64 s[4:5], 64, v27
	s_lshl_b64 s[14:15], s[24:25], 9
	s_mul_i32 s26, s24, 24
	s_mul_i32 s27, s24, 0x90
	;; [unrolled: 1-line block ×10, first 2 shown]
	s_mulk_i32 s24, 0x88
	v_or_b32_e32 v12, v0, v2
	s_mov_b32 s20, 0
	v_mov_b32_e32 v83, s11
	v_mov_b32_e32 v84, s13
	;; [unrolled: 1-line block ×15, first 2 shown]
	s_branch .LBB185_97
.LBB185_96:                             ;   in Loop: Header=BB185_97 Depth=1
	s_or_b64 exec, exec, s[22:23]
	v_mul_f32_e32 v98, v29, v21
	v_fma_f32 v98, v28, v20, -v98
	v_mul_f32_e32 v20, v29, v20
	v_mul_f32_e32 v29, v43, v23
	v_add_f32_e32 v18, v18, v98
	v_fma_f32 v29, v42, v22, -v29
	v_add_f32_e32 v18, v18, v29
	v_mul_f32_e32 v29, v41, v25
	v_fma_f32 v29, v40, v24, -v29
	v_mul_f32_e32 v22, v43, v22
	v_add_f32_e32 v18, v18, v29
	v_mul_f32_e32 v29, v39, v27
	v_fmac_f32_e32 v20, v28, v21
	v_mul_f32_e32 v24, v41, v24
	v_fma_f32 v29, v38, v26, -v29
	v_add_f32_e32 v19, v19, v20
	v_fmac_f32_e32 v22, v42, v23
	v_mul_f32_e32 v20, v51, v35
	v_mul_f32_e32 v26, v39, v26
	v_add_f32_e32 v18, v18, v29
	v_add_f32_e32 v19, v19, v22
	v_fmac_f32_e32 v24, v40, v25
	v_fma_f32 v20, v50, v34, -v20
	v_add_f32_e32 v19, v19, v24
	v_fmac_f32_e32 v26, v38, v27
	v_mul_f32_e32 v24, v51, v34
	v_add_f32_e32 v18, v18, v20
	v_mul_f32_e32 v20, v59, v33
	v_add_f32_e32 v19, v19, v26
	v_fma_f32 v20, v58, v32, -v20
	v_mul_f32_e32 v25, v59, v32
	v_fmac_f32_e32 v24, v50, v35
	v_add_f32_e32 v18, v18, v20
	v_mul_f32_e32 v20, v55, v31
	v_mul_f32_e32 v21, v55, v30
	v_add_f32_e32 v19, v19, v24
	v_fmac_f32_e32 v25, v58, v33
	v_fma_f32 v20, v54, v30, -v20
	v_add_f32_e32 v19, v19, v25
	v_fmac_f32_e32 v21, v54, v31
	v_mul_f32_e32 v22, v57, v37
	v_mul_f32_e32 v23, v57, v36
	v_pk_add_f32 v[18:19], v[18:19], v[20:21]
	v_mov_b32_e32 v20, v53
	v_fma_f32 v22, v56, v36, -v22
	v_fmac_f32_e32 v23, v56, v37
	v_pk_mul_f32 v[20:21], v[70:71], v[20:21] op_sel_hi:[1,0]
	v_pk_add_f32 v[18:19], v[18:19], v[22:23]
	v_pk_fma_f32 v[22:23], v[70:71], v[52:53], v[20:21] op_sel:[0,0,1] op_sel_hi:[1,1,0] neg_lo:[0,0,1] neg_hi:[0,0,1]
	v_pk_fma_f32 v[20:21], v[70:71], v[52:53], v[20:21] op_sel:[0,0,1] op_sel_hi:[1,0,0]
	v_mov_b32_e32 v20, v49
	v_mov_b32_e32 v23, v21
	v_pk_mul_f32 v[20:21], v[8:9], v[20:21] op_sel_hi:[1,0]
	v_pk_add_f32 v[18:19], v[18:19], v[22:23]
	v_pk_fma_f32 v[22:23], v[8:9], v[48:49], v[20:21] op_sel:[0,0,1] op_sel_hi:[1,1,0] neg_lo:[0,0,1] neg_hi:[0,0,1]
	v_pk_fma_f32 v[8:9], v[8:9], v[48:49], v[20:21] op_sel:[0,0,1] op_sel_hi:[1,0,0]
	v_mov_b32_e32 v23, v9
	v_pk_add_f32 v[8:9], v[18:19], v[22:23]
	v_mov_b32_e32 v18, v47
	v_pk_mul_f32 v[18:19], v[10:11], v[18:19] op_sel_hi:[1,0]
	v_pk_fma_f32 v[20:21], v[10:11], v[46:47], v[18:19] op_sel:[0,0,1] op_sel_hi:[1,1,0] neg_lo:[0,0,1] neg_hi:[0,0,1]
	v_pk_fma_f32 v[10:11], v[10:11], v[46:47], v[18:19] op_sel:[0,0,1] op_sel_hi:[1,0,0]
	v_mov_b32_e32 v10, v45
	v_mov_b32_e32 v21, v11
	v_pk_mul_f32 v[10:11], v[68:69], v[10:11] op_sel_hi:[1,0]
	v_pk_fma_f32 v[18:19], v[68:69], v[44:45], v[10:11] op_sel:[0,0,1] op_sel_hi:[1,1,0] neg_lo:[0,0,1] neg_hi:[0,0,1]
	v_pk_fma_f32 v[10:11], v[68:69], v[44:45], v[10:11] op_sel:[0,0,1] op_sel_hi:[1,0,0]
	v_mov_b32_e32 v10, v67
	v_pk_add_f32 v[8:9], v[8:9], v[20:21]
	v_mov_b32_e32 v19, v11
	v_pk_mul_f32 v[10:11], v[0:1], v[10:11] op_sel_hi:[1,0]
	v_pk_add_f32 v[8:9], v[8:9], v[18:19]
	v_pk_fma_f32 v[18:19], v[0:1], v[66:67], v[10:11] op_sel:[0,0,1] op_sel_hi:[1,1,0] neg_lo:[0,0,1] neg_hi:[0,0,1]
	v_pk_fma_f32 v[0:1], v[0:1], v[66:67], v[10:11] op_sel:[0,0,1] op_sel_hi:[1,0,0]
	v_mov_b32_e32 v0, v65
	v_mov_b32_e32 v19, v1
	v_pk_mul_f32 v[0:1], v[6:7], v[0:1] op_sel_hi:[1,0]
	v_pk_fma_f32 v[10:11], v[6:7], v[64:65], v[0:1] op_sel:[0,0,1] op_sel_hi:[1,1,0] neg_lo:[0,0,1] neg_hi:[0,0,1]
	v_pk_fma_f32 v[0:1], v[6:7], v[64:65], v[0:1] op_sel:[0,0,1] op_sel_hi:[1,0,0]
	v_mov_b32_e32 v0, v61
	v_mov_b32_e32 v11, v1
	v_pk_mul_f32 v[0:1], v[4:5], v[0:1] op_sel_hi:[1,0]
	;; [unrolled: 5-line block ×3, first 2 shown]
	v_pk_fma_f32 v[4:5], v[2:3], v[62:63], v[0:1] op_sel:[0,0,1] op_sel_hi:[1,1,0] neg_lo:[0,0,1] neg_hi:[0,0,1]
	v_pk_fma_f32 v[0:1], v[2:3], v[62:63], v[0:1] op_sel:[0,0,1] op_sel_hi:[1,0,0]
	v_mov_b32_e32 v5, v1
	v_pk_add_f32 v[0:1], v[8:9], v[18:19]
	v_pk_add_f32 v[0:1], v[0:1], v[10:11]
	;; [unrolled: 1-line block ×4, first 2 shown]
	v_mov_b32_e32 v0, s15
	v_add_co_u32_e64 v14, s[8:9], s14, v14
	s_add_i32 s6, s6, -1
	s_add_i32 s20, s20, s7
	v_addc_co_u32_e64 v15, s[8:9], v15, v0, s[8:9]
	s_cmp_eq_u32 s6, 0
	v_add_u32_e32 v12, 64, v12
	s_barrier
	s_cbranch_scc1 .LBB185_101
.LBB185_97:                             ; =>This Inner Loop Header: Depth=1
	s_and_saveexec_b64 s[22:23], s[2:3]
	s_cbranch_execz .LBB185_99
; %bb.98:                               ;   in Loop: Header=BB185_97 Depth=1
	s_ashr_i32 s21, s20, 31
	s_lshl_b64 s[8:9], s[20:21], 3
	v_mov_b32_e32 v1, s9
	v_add_co_u32_e64 v0, s[8:9], s8, v73
	v_addc_co_u32_e64 v1, s[8:9], v74, v1, s[8:9]
	flat_load_dwordx2 v[0:1], v[0:1]
	s_waitcnt vmcnt(0) lgkmcnt(0)
	ds_write_b64 v75, v[0:1]
.LBB185_99:                             ;   in Loop: Header=BB185_97 Depth=1
	s_or_b64 exec, exec, s[22:23]
	v_add_co_u32_e64 v0, s[8:9], s10, v14
	v_addc_co_u32_e64 v1, s[8:9], v15, v83, s[8:9]
	v_add_co_u32_e64 v2, s[8:9], s12, v14
	s_waitcnt lgkmcnt(0)
	s_barrier
	flat_load_dwordx2 v[20:21], v[14:15]
	v_addc_co_u32_e64 v3, s[8:9], v15, v84, s[8:9]
	flat_load_dwordx2 v[22:23], v[0:1]
	flat_load_dwordx2 v[24:25], v[2:3]
	v_add_co_u32_e64 v0, s[8:9], s26, v14
	v_addc_co_u32_e64 v1, s[8:9], v15, v85, s[8:9]
	flat_load_dwordx2 v[26:27], v[0:1]
	ds_read_b64 v[0:1], v76
	ds_read_b64 v[28:29], v80
	v_add_co_u32_e64 v8, s[8:9], s16, v14
	v_addc_co_u32_e64 v9, s[8:9], v15, v86, s[8:9]
	v_add_co_u32_e64 v10, s[8:9], s24, v14
	v_addc_co_u32_e64 v11, s[8:9], v15, v87, s[8:9]
	;; [unrolled: 2-line block ×3, first 2 shown]
	s_waitcnt vmcnt(0) lgkmcnt(0)
	v_mul_f32_e32 v2, v1, v21
	v_mul_f32_e32 v3, v1, v20
	v_fma_f32 v2, v0, v20, -v2
	v_fmac_f32_e32 v3, v0, v21
	v_mul_f32_e32 v4, v1, v23
	v_mul_f32_e32 v5, v1, v22
	;; [unrolled: 1-line block ×4, first 2 shown]
	ds_write_b64 v81, v[2:3]
	v_fma_f32 v4, v0, v22, -v4
	v_fmac_f32_e32 v5, v0, v23
	v_mul_f32_e32 v30, v1, v27
	v_mul_f32_e32 v31, v0, v27
	v_fma_f32 v6, v0, v24, -v6
	v_fmac_f32_e32 v7, v0, v25
	ds_read_b64 v[42:43], v80 offset:8
	ds_write_b64 v81, v[4:5] offset:536
	v_fma_f32 v30, v0, v26, -v30
	v_fmac_f32_e32 v31, v1, v26
	ds_read_b64 v[40:41], v80 offset:16
	ds_write_b64 v81, v[6:7] offset:1072
	ds_read_b64 v[38:39], v80 offset:24
	ds_write_b64 v81, v[30:31] offset:1608
	s_waitcnt lgkmcnt(0)
	s_barrier
	ds_read2_b64 v[4:7], v79 offset1:1
	ds_read2_b64 v[0:3], v79 offset0:2 offset1:3
	s_waitcnt lgkmcnt(0)
	s_barrier
	flat_load_dwordx2 v[34:35], v[8:9]
	flat_load_dwordx2 v[32:33], v[10:11]
	;; [unrolled: 1-line block ×3, first 2 shown]
	v_add_co_u32_e64 v8, s[8:9], s28, v14
	v_addc_co_u32_e64 v9, s[8:9], v15, v89, s[8:9]
	flat_load_dwordx2 v[36:37], v[8:9]
	ds_read_b64 v[44:45], v76
	ds_read_b64 v[50:51], v80 offset:128
	v_add_co_u32_e64 v8, s[8:9], s18, v14
	v_addc_co_u32_e64 v9, s[8:9], v15, v90, s[8:9]
	v_add_co_u32_e64 v10, s[8:9], s37, v14
	v_addc_co_u32_e64 v11, s[8:9], v15, v91, s[8:9]
	;; [unrolled: 2-line block ×3, first 2 shown]
	v_pk_add_f32 v[4:5], v[4:5], 0 op_sel_hi:[1,0]
	v_pk_add_f32 v[4:5], v[4:5], v[6:7]
	v_pk_add_f32 v[0:1], v[4:5], v[0:1]
	s_waitcnt vmcnt(0) lgkmcnt(0)
	v_mul_f32_e32 v46, v45, v35
	v_mul_f32_e32 v47, v45, v34
	;; [unrolled: 1-line block ×4, first 2 shown]
	v_fma_f32 v46, v44, v34, -v46
	v_fmac_f32_e32 v47, v44, v35
	v_mul_f32_e32 v52, v45, v31
	v_mul_f32_e32 v53, v45, v30
	v_fma_f32 v48, v44, v32, -v48
	v_fmac_f32_e32 v49, v44, v33
	ds_write_b64 v81, v[46:47]
	v_mul_f32_e32 v54, v45, v37
	v_mul_f32_e32 v63, v44, v37
	v_fma_f32 v52, v44, v30, -v52
	v_fmac_f32_e32 v53, v44, v31
	ds_read_b64 v[58:59], v80 offset:136
	ds_write_b64 v81, v[48:49] offset:536
	v_fma_f32 v62, v44, v36, -v54
	v_fmac_f32_e32 v63, v45, v36
	ds_read_b64 v[54:55], v80 offset:144
	ds_write_b64 v81, v[52:53] offset:1072
	ds_read_b64 v[56:57], v80 offset:152
	ds_write_b64 v81, v[62:63] offset:1608
	s_waitcnt lgkmcnt(0)
	s_barrier
	ds_read2_b64 v[98:101], v79 offset1:1
	ds_read2_b64 v[102:105], v79 offset0:2 offset1:3
	s_waitcnt lgkmcnt(0)
	s_barrier
	flat_load_dwordx2 v[52:53], v[8:9]
	flat_load_dwordx2 v[48:49], v[10:11]
	;; [unrolled: 1-line block ×3, first 2 shown]
	v_add_co_u32_e64 v8, s[8:9], s30, v14
	v_addc_co_u32_e64 v9, s[8:9], v15, v93, s[8:9]
	flat_load_dwordx2 v[44:45], v[8:9]
	ds_read_b64 v[8:9], v76
	ds_read_b64 v[70:71], v80 offset:256
	v_add_co_u32_e64 v62, s[8:9], s31, v14
	v_addc_co_u32_e64 v63, s[8:9], v15, v94, s[8:9]
	v_add_co_u32_e64 v114, s[8:9], s36, v14
	v_addc_co_u32_e64 v115, s[8:9], v15, v95, s[8:9]
	;; [unrolled: 2-line block ×3, first 2 shown]
	s_waitcnt vmcnt(0) lgkmcnt(0)
	v_mul_f32_e32 v10, v9, v53
	v_mul_f32_e32 v11, v9, v52
	;; [unrolled: 1-line block ×6, first 2 shown]
	v_fma_f32 v10, v8, v52, -v10
	v_mul_f32_e32 v66, v9, v45
	v_mul_f32_e32 v67, v8, v45
	v_fma_f32 v60, v8, v48, -v60
	v_fmac_f32_e32 v11, v8, v53
	v_fmac_f32_e32 v61, v8, v49
	v_fma_f32 v64, v8, v46, -v64
	v_fma_f32 v66, v8, v44, -v66
	v_fmac_f32_e32 v65, v8, v47
	v_fmac_f32_e32 v67, v9, v44
	ds_write2_b64 v81, v[10:11], v[60:61] offset1:67
	ds_write2_b64 v81, v[64:65], v[66:67] offset0:134 offset1:201
	ds_read2_b64 v[8:11], v80 offset0:33 offset1:34
	ds_read_b64 v[68:69], v80 offset:280
	s_waitcnt lgkmcnt(0)
	s_barrier
	ds_read2_b64 v[106:109], v79 offset1:1
	ds_read2_b64 v[110:113], v79 offset0:2 offset1:3
	s_waitcnt lgkmcnt(0)
	s_barrier
	flat_load_dwordx2 v[66:67], v[62:63]
	flat_load_dwordx2 v[64:65], v[114:115]
	;; [unrolled: 1-line block ×3, first 2 shown]
	v_add_co_u32_e64 v62, s[8:9], s35, v14
	v_addc_co_u32_e64 v63, s[8:9], v15, v97, s[8:9]
	flat_load_dwordx2 v[62:63], v[62:63]
	v_pk_add_f32 v[114:115], v[0:1], v[2:3]
	v_pk_add_f32 v[0:1], v[98:99], 0 op_sel_hi:[1,0]
	v_pk_add_f32 v[0:1], v[0:1], v[100:101]
	v_pk_add_f32 v[0:1], v[0:1], v[102:103]
	;; [unrolled: 1-line block ×3, first 2 shown]
	ds_read_b64 v[2:3], v76
	ds_read_b64 v[0:1], v80 offset:384
	v_pk_add_f32 v[4:5], v[106:107], 0 op_sel_hi:[1,0]
	v_pk_add_f32 v[4:5], v[4:5], v[108:109]
	v_pk_add_f32 v[4:5], v[4:5], v[110:111]
	;; [unrolled: 1-line block ×3, first 2 shown]
	s_waitcnt vmcnt(0) lgkmcnt(0)
	v_mul_f32_e32 v4, v3, v67
	v_mul_f32_e32 v5, v3, v66
	;; [unrolled: 1-line block ×4, first 2 shown]
	v_fma_f32 v4, v2, v66, -v4
	v_fmac_f32_e32 v5, v2, v67
	v_mul_f32_e32 v7, v3, v61
	v_mul_f32_e32 v101, v3, v60
	v_fma_f32 v98, v2, v64, -v6
	v_fmac_f32_e32 v99, v2, v65
	ds_write_b64 v81, v[4:5]
	v_mul_f32_e32 v102, v3, v63
	v_mul_f32_e32 v103, v2, v63
	v_fma_f32 v100, v2, v60, -v7
	v_fmac_f32_e32 v101, v2, v61
	ds_read_b64 v[6:7], v80 offset:392
	ds_write_b64 v81, v[98:99] offset:536
	v_fma_f32 v102, v2, v62, -v102
	v_fmac_f32_e32 v103, v3, v62
	ds_read_b64 v[4:5], v80 offset:400
	ds_write_b64 v81, v[100:101] offset:1072
	ds_read_b64 v[2:3], v80 offset:408
	ds_write_b64 v81, v[102:103] offset:1608
	s_waitcnt lgkmcnt(0)
	s_barrier
	ds_read2_b64 v[98:101], v79 offset1:1
	ds_read2_b64 v[102:105], v79 offset0:2 offset1:3
	s_waitcnt lgkmcnt(0)
	s_barrier
	v_pk_add_f32 v[98:99], v[98:99], 0 op_sel_hi:[1,0]
	v_pk_add_f32 v[98:99], v[98:99], v[100:101]
	v_pk_add_f32 v[98:99], v[98:99], v[102:103]
	v_pk_add_f32 v[98:99], v[98:99], v[104:105]
	ds_write2_b64 v82, v[114:115], v[116:117] offset1:16
	ds_write2_b64 v82, v[106:107], v[98:99] offset0:32 offset1:48
	s_waitcnt lgkmcnt(0)
	s_barrier
	s_and_saveexec_b64 s[22:23], s[4:5]
	s_cbranch_execz .LBB185_96
; %bb.100:                              ;   in Loop: Header=BB185_97 Depth=1
	ds_read_b64 v[106:107], v77
	ds_read2_b64 v[98:101], v77 offset0:1 offset1:2
	ds_read2_b64 v[102:105], v77 offset0:3 offset1:4
	v_lshlrev_b64 v[108:109], 3, v[12:13]
	v_mov_b32_e32 v111, s33
	v_add_co_u32_e64 v110, s[8:9], s29, v108
	s_waitcnt lgkmcnt(1)
	v_add_f32_e32 v98, v98, v106
	v_add_f32_e32 v99, v99, v107
	;; [unrolled: 1-line block ×4, first 2 shown]
	ds_read2_b64 v[98:101], v77 offset0:5 offset1:6
	s_waitcnt lgkmcnt(1)
	v_add_f32_e32 v102, v106, v102
	v_add_f32_e32 v103, v107, v103
	;; [unrolled: 1-line block ×4, first 2 shown]
	ds_read2_b64 v[102:105], v77 offset0:7 offset1:8
	v_addc_co_u32_e64 v111, s[8:9], v111, v109, s[8:9]
	s_waitcnt lgkmcnt(1)
	v_pk_add_f32 v[98:99], v[106:107], v[98:99]
	ds_read2_b64 v[106:109], v77 offset0:9 offset1:10
	v_pk_add_f32 v[98:99], v[98:99], v[100:101]
	s_waitcnt lgkmcnt(1)
	v_pk_add_f32 v[98:99], v[98:99], v[102:103]
	v_pk_add_f32 v[102:103], v[98:99], v[104:105]
	ds_read2_b64 v[98:101], v77 offset0:11 offset1:12
	s_waitcnt lgkmcnt(1)
	v_pk_add_f32 v[106:107], v[102:103], v[106:107]
	ds_read2_b64 v[102:105], v77 offset0:13 offset1:14
	v_pk_add_f32 v[106:107], v[106:107], v[108:109]
	ds_read_b64 v[108:109], v78
	s_waitcnt lgkmcnt(2)
	v_pk_add_f32 v[98:99], v[106:107], v[98:99]
	v_pk_add_f32 v[98:99], v[98:99], v[100:101]
	s_waitcnt lgkmcnt(1)
	v_pk_add_f32 v[98:99], v[98:99], v[102:103]
	v_pk_add_f32 v[98:99], v[98:99], v[104:105]
	s_waitcnt lgkmcnt(0)
	v_pk_add_f32 v[98:99], v[98:99], v[108:109]
	global_store_dwordx2 v[110:111], v[98:99], off
	s_branch .LBB185_96
.LBB185_101:
	s_movk_i32 s2, 0x218
	s_or_b64 s[0:1], s[0:1], vcc
	v_mad_u32_u24 v0, v17, s2, v72
	s_xor_b64 s[0:1], s[0:1], -1
	ds_write_b64 v0, v[18:19]
	s_waitcnt lgkmcnt(0)
	s_barrier
	s_and_saveexec_b64 s[2:3], s[0:1]
	s_cbranch_execz .LBB185_103
; %bb.102:
	ds_read2_b64 v[0:3], v72 offset1:67
	ds_read2_b64 v[4:7], v72 offset0:134 offset1:201
	v_ashrrev_i32_e32 v17, 31, v16
	v_lshlrev_b64 v[8:9], 3, v[16:17]
	v_mov_b32_e32 v10, s33
	s_waitcnt lgkmcnt(1)
	v_pk_add_f32 v[0:1], v[2:3], v[0:1]
	v_add_co_u32_e32 v8, vcc, s29, v8
	s_waitcnt lgkmcnt(0)
	v_pk_add_f32 v[0:1], v[0:1], v[4:5]
	v_addc_co_u32_e32 v9, vcc, v10, v9, vcc
	v_pk_add_f32 v[0:1], v[0:1], v[6:7]
	global_store_dwordx2 v[8:9], v[0:1], off
.LBB185_103:
	s_endpgm
	.section	.rodata,"a",@progbits
	.p2align	6, 0x0
	.amdhsa_kernel _ZL26rocblas_hemvn_kernel_lowerILb0ELi64ELi4ELi33ELi32ELi16EiPK19rocblas_complex_numIfEPKS3_PS1_EviT6_lT7_lT5_lS8_lS9_lS7_lT8_i
		.amdhsa_group_segment_fixed_size 9600
		.amdhsa_private_segment_fixed_size 0
		.amdhsa_kernarg_size 376
		.amdhsa_user_sgpr_count 6
		.amdhsa_user_sgpr_private_segment_buffer 1
		.amdhsa_user_sgpr_dispatch_ptr 0
		.amdhsa_user_sgpr_queue_ptr 0
		.amdhsa_user_sgpr_kernarg_segment_ptr 1
		.amdhsa_user_sgpr_dispatch_id 0
		.amdhsa_user_sgpr_flat_scratch_init 0
		.amdhsa_user_sgpr_kernarg_preload_length 0
		.amdhsa_user_sgpr_kernarg_preload_offset 0
		.amdhsa_user_sgpr_private_segment_size 0
		.amdhsa_uses_dynamic_stack 0
		.amdhsa_system_sgpr_private_segment_wavefront_offset 0
		.amdhsa_system_sgpr_workgroup_id_x 1
		.amdhsa_system_sgpr_workgroup_id_y 0
		.amdhsa_system_sgpr_workgroup_id_z 1
		.amdhsa_system_sgpr_workgroup_info 0
		.amdhsa_system_vgpr_workitem_id 1
		.amdhsa_next_free_vgpr 118
		.amdhsa_next_free_sgpr 46
		.amdhsa_accum_offset 120
		.amdhsa_reserve_vcc 1
		.amdhsa_reserve_flat_scratch 0
		.amdhsa_float_round_mode_32 0
		.amdhsa_float_round_mode_16_64 0
		.amdhsa_float_denorm_mode_32 3
		.amdhsa_float_denorm_mode_16_64 3
		.amdhsa_dx10_clamp 1
		.amdhsa_ieee_mode 1
		.amdhsa_fp16_overflow 0
		.amdhsa_tg_split 0
		.amdhsa_exception_fp_ieee_invalid_op 0
		.amdhsa_exception_fp_denorm_src 0
		.amdhsa_exception_fp_ieee_div_zero 0
		.amdhsa_exception_fp_ieee_overflow 0
		.amdhsa_exception_fp_ieee_underflow 0
		.amdhsa_exception_fp_ieee_inexact 0
		.amdhsa_exception_int_div_zero 0
	.end_amdhsa_kernel
	.section	.text._ZL26rocblas_hemvn_kernel_lowerILb0ELi64ELi4ELi33ELi32ELi16EiPK19rocblas_complex_numIfEPKS3_PS1_EviT6_lT7_lT5_lS8_lS9_lS7_lT8_i,"axG",@progbits,_ZL26rocblas_hemvn_kernel_lowerILb0ELi64ELi4ELi33ELi32ELi16EiPK19rocblas_complex_numIfEPKS3_PS1_EviT6_lT7_lT5_lS8_lS9_lS7_lT8_i,comdat
.Lfunc_end185:
	.size	_ZL26rocblas_hemvn_kernel_lowerILb0ELi64ELi4ELi33ELi32ELi16EiPK19rocblas_complex_numIfEPKS3_PS1_EviT6_lT7_lT5_lS8_lS9_lS7_lT8_i, .Lfunc_end185-_ZL26rocblas_hemvn_kernel_lowerILb0ELi64ELi4ELi33ELi32ELi16EiPK19rocblas_complex_numIfEPKS3_PS1_EviT6_lT7_lT5_lS8_lS9_lS7_lT8_i
                                        ; -- End function
	.section	.AMDGPU.csdata,"",@progbits
; Kernel info:
; codeLenInByte = 7732
; NumSgprs: 50
; NumVgprs: 118
; NumAgprs: 0
; TotalNumVgprs: 118
; ScratchSize: 0
; MemoryBound: 1
; FloatMode: 240
; IeeeMode: 1
; LDSByteSize: 9600 bytes/workgroup (compile time only)
; SGPRBlocks: 6
; VGPRBlocks: 14
; NumSGPRsForWavesPerEU: 50
; NumVGPRsForWavesPerEU: 118
; AccumOffset: 120
; Occupancy: 4
; WaveLimiterHint : 1
; COMPUTE_PGM_RSRC2:SCRATCH_EN: 0
; COMPUTE_PGM_RSRC2:USER_SGPR: 6
; COMPUTE_PGM_RSRC2:TRAP_HANDLER: 0
; COMPUTE_PGM_RSRC2:TGID_X_EN: 1
; COMPUTE_PGM_RSRC2:TGID_Y_EN: 0
; COMPUTE_PGM_RSRC2:TGID_Z_EN: 1
; COMPUTE_PGM_RSRC2:TIDIG_COMP_CNT: 1
; COMPUTE_PGM_RSRC3_GFX90A:ACCUM_OFFSET: 29
; COMPUTE_PGM_RSRC3_GFX90A:TG_SPLIT: 0
	.section	.text._ZL26rocblas_hemvn_kernel_lowerILb0ELi64ELi4ELi33ELi32ELi16El19rocblas_complex_numIfEPKPKS1_PS1_EviT6_lT7_lT5_lS8_lS9_lS7_lT8_i,"axG",@progbits,_ZL26rocblas_hemvn_kernel_lowerILb0ELi64ELi4ELi33ELi32ELi16El19rocblas_complex_numIfEPKPKS1_PS1_EviT6_lT7_lT5_lS8_lS9_lS7_lT8_i,comdat
	.globl	_ZL26rocblas_hemvn_kernel_lowerILb0ELi64ELi4ELi33ELi32ELi16El19rocblas_complex_numIfEPKPKS1_PS1_EviT6_lT7_lT5_lS8_lS9_lS7_lT8_i ; -- Begin function _ZL26rocblas_hemvn_kernel_lowerILb0ELi64ELi4ELi33ELi32ELi16El19rocblas_complex_numIfEPKPKS1_PS1_EviT6_lT7_lT5_lS8_lS9_lS7_lT8_i
	.p2align	8
	.type	_ZL26rocblas_hemvn_kernel_lowerILb0ELi64ELi4ELi33ELi32ELi16El19rocblas_complex_numIfEPKPKS1_PS1_EviT6_lT7_lT5_lS8_lS9_lS7_lT8_i,@function
_ZL26rocblas_hemvn_kernel_lowerILb0ELi64ELi4ELi33ELi32ELi16El19rocblas_complex_numIfEPKPKS1_PS1_EviT6_lT7_lT5_lS8_lS9_lS7_lT8_i: ; @_ZL26rocblas_hemvn_kernel_lowerILb0ELi64ELi4ELi33ELi32ELi16El19rocblas_complex_numIfEPKPKS1_PS1_EviT6_lT7_lT5_lS8_lS9_lS7_lT8_i
; %bb.0:
	s_load_dwordx2 s[0:1], s[4:5], 0x84
	s_add_u32 s14, s4, 0x78
	s_addc_u32 s15, s5, 0
	s_waitcnt lgkmcnt(0)
	s_lshr_b32 s2, s0, 16
	s_and_b32 s0, s0, 0xffff
	s_and_b32 s1, s1, 0xffff
	s_mul_i32 s0, s2, s0
	s_mul_i32 s0, s0, s1
	s_cmpk_lg_i32 s0, 0x100
	s_cbranch_scc1 .LBB186_103
; %bb.1:
	s_load_dwordx2 s[8:9], s[4:5], 0x4
	s_load_dwordx4 s[0:3], s[4:5], 0x18
	s_load_dwordx2 s[26:27], s[4:5], 0x28
	s_mov_b32 s28, s7
	s_waitcnt lgkmcnt(0)
	s_or_b32 s7, s8, s9
	s_bitset0_b32 s7, 31
	s_cmp_lg_u32 s7, 0
	s_cselect_b64 s[16:17], -1, 0
	s_and_b64 vcc, exec, s[16:17]
	s_cbranch_vccnz .LBB186_4
; %bb.2:
	s_load_dwordx2 s[8:9], s[4:5], 0x58
                                        ; implicit-def: $sgpr12_sgpr13
	s_waitcnt lgkmcnt(0)
	v_cmp_eq_f32_e64 s[10:11], s8, 1.0
	v_cmp_eq_f32_e64 s[8:9], s9, 0
	s_and_b64 s[8:9], s[10:11], s[8:9]
	s_mov_b64 s[10:11], 0
	s_andn2_b64 vcc, exec, s[8:9]
	s_mov_b64 s[8:9], 0
	s_cbranch_vccz .LBB186_5
; %bb.3:
	s_mov_b64 s[8:9], -1
	s_mov_b64 s[12:13], 0
	s_branch .LBB186_5
.LBB186_4:
	s_mov_b64 s[10:11], -1
	s_mov_b64 s[8:9], 0
                                        ; implicit-def: $sgpr12_sgpr13
.LBB186_5:
	s_and_b64 vcc, exec, s[10:11]
	s_cbranch_vccz .LBB186_7
; %bb.6:
	s_mov_b32 s29, 0
	s_lshl_b64 s[8:9], s[28:29], 3
	s_add_u32 s0, s0, s8
	s_addc_u32 s1, s1, s9
	s_load_dwordx2 s[0:1], s[0:1], 0x0
	s_lshl_b64 s[2:3], s[2:3], 3
	s_mov_b64 s[8:9], -1
	s_waitcnt lgkmcnt(0)
	s_add_u32 s12, s0, s2
	s_addc_u32 s13, s1, s3
.LBB186_7:
	s_andn2_b64 vcc, exec, s[8:9]
	s_cbranch_vccnz .LBB186_103
; %bb.8:
	s_load_dwordx4 s[8:11], s[4:5], 0x38
	s_load_dwordx2 s[22:23], s[4:5], 0x48
	v_cndmask_b32_e64 v1, 0, 1, s[16:17]
	v_cmp_ne_u32_e64 s[0:1], 1, v1
	s_andn2_b64 vcc, exec, s[16:17]
	s_mov_b64 s[2:3], 0
	s_cbranch_vccnz .LBB186_10
; %bb.9:
	s_mov_b32 s29, 0
	s_lshl_b64 s[2:3], s[28:29], 3
	s_waitcnt lgkmcnt(0)
	s_add_u32 s2, s8, s2
	s_addc_u32 s3, s9, s3
	s_load_dwordx2 s[2:3], s[2:3], 0x0
	s_lshl_b64 s[8:9], s[10:11], 3
	s_waitcnt lgkmcnt(0)
	s_add_u32 s2, s2, s8
	s_addc_u32 s3, s3, s9
.LBB186_10:
	s_and_b64 vcc, exec, s[0:1]
	s_cbranch_vccnz .LBB186_103
; %bb.11:
	s_load_dword s29, s[14:15], 0x0
	s_load_dword s7, s[4:5], 0x0
	v_and_b32_e32 v26, 0x3ff, v0
	s_lshl_b32 s34, s6, 6
	v_add_u32_e32 v16, s34, v26
	s_waitcnt lgkmcnt(0)
	s_add_i32 s0, s29, -1
	s_ashr_i32 s33, s7, 31
	s_lshr_b32 s1, s33, 26
	s_add_i32 s1, s7, s1
	s_andn2_b32 s1, s1, 63
	s_sub_i32 s1, s7, s1
	s_cmp_eq_u32 s6, s0
	v_ashrrev_i32_e32 v17, 31, v16
	v_bfe_u32 v72, v0, 10, 10
	s_cselect_b32 s30, s1, 0
	v_mul_lo_u32 v2, v17, s22
	v_mul_lo_u32 v3, v16, s23
	v_mad_u64_u32 v[0:1], s[0:1], v16, s22, 0
	v_add3_u32 v1, v1, v3, v2
	v_lshlrev_b64 v[0:1], 3, v[0:1]
	v_mov_b32_e32 v2, s3
	v_add_co_u32_e32 v20, vcc, s2, v0
	v_addc_co_u32_e32 v21, vcc, v2, v1, vcc
	v_cmp_ne_u32_e64 s[0:1], 0, v72
	v_cmp_eq_u32_e64 s[2:3], 0, v72
	s_and_saveexec_b64 s[8:9], s[2:3]
	s_cbranch_execz .LBB186_16
; %bb.12:
	s_cmp_lg_u32 s30, 0
	s_cselect_b64 s[10:11], -1, 0
	v_cmp_le_i32_e32 vcc, s30, v26
	v_mov_b32_e32 v0, 0x2380
	s_and_b64 s[10:11], s[10:11], vcc
	v_lshl_add_u32 v0, v26, 3, v0
	s_and_saveexec_b64 s[14:15], s[10:11]
	s_xor_b64 s[10:11], exec, s[14:15]
	s_cbranch_execz .LBB186_14
; %bb.13:
	v_mov_b32_e32 v2, 0
	v_mov_b32_e32 v3, v2
	ds_write_b64 v0, v[2:3]
                                        ; implicit-def: $vgpr0
.LBB186_14:
	s_andn2_saveexec_b64 s[10:11], s[10:11]
	s_cbranch_execz .LBB186_16
; %bb.15:
	flat_load_dwordx2 v[2:3], v[20:21]
	s_waitcnt vmcnt(0) lgkmcnt(0)
	ds_write_b64 v0, v[2:3]
.LBB186_16:
	s_or_b64 exec, exec, s[8:9]
	s_ashr_i32 s35, s34, 31
	v_lshl_add_u32 v27, v72, 6, v26
	s_lshl_b64 s[8:9], s[34:35], 3
	v_and_b32_e32 v0, 31, v26
	v_lshrrev_b32_e32 v8, 5, v27
	s_add_u32 s10, s12, s8
	v_mov_b32_e32 v1, 0
	s_addc_u32 s11, s13, s9
	v_mad_u64_u32 v[2:3], s[8:9], v8, s26, v[0:1]
	v_mov_b32_e32 v4, v3
	v_mad_u64_u32 v[4:5], s[8:9], v8, s27, v[4:5]
	s_mul_i32 s8, s34, s27
	s_mul_hi_u32 s9, s34, s26
	s_add_i32 s8, s9, s8
	s_mul_i32 s9, s35, s26
	s_add_i32 s9, s8, s9
	s_mul_i32 s8, s34, s26
	s_lshl_b64 s[36:37], s[8:9], 3
	v_mov_b32_e32 v3, v4
	s_add_u32 s8, s36, s10
	v_lshlrev_b64 v[22:23], 3, v[2:3]
	s_addc_u32 s9, s37, s11
	v_mov_b32_e32 v1, s9
	v_add_co_u32_e32 v2, vcc, s8, v22
	s_cmp_lg_u32 s30, 0
	v_addc_co_u32_e32 v3, vcc, v1, v23, vcc
	s_cselect_b64 s[38:39], -1, 0
	s_cmp_eq_u32 s30, 0
	s_cselect_b64 s[40:41], -1, 0
	s_and_b64 vcc, exec, s[38:39]
	s_cbranch_vccnz .LBB186_18
; %bb.17:
	flat_load_dwordx2 v[4:5], v[2:3]
	v_mul_u32_u24_e32 v1, 33, v8
	s_lshl_b64 s[8:9], s[26:27], 6
	v_add_lshl_u32 v1, v1, v0, 3
	v_mov_b32_e32 v9, s9
	v_add_co_u32_e32 v6, vcc, s8, v2
	v_addc_co_u32_e32 v7, vcc, v3, v9, vcc
	s_mul_i32 s10, s27, 0xc0
	s_waitcnt vmcnt(0) lgkmcnt(0)
	ds_write_b64 v1, v[4:5]
	flat_load_dwordx2 v[4:5], v[6:7]
	v_add_co_u32_e32 v6, vcc, s8, v6
	v_addc_co_u32_e32 v7, vcc, v7, v9, vcc
	s_waitcnt vmcnt(0) lgkmcnt(0)
	ds_write_b64 v1, v[4:5] offset:2112
	flat_load_dwordx2 v[4:5], v[6:7]
	v_mov_b32_e32 v6, 0xc0
	v_mad_u64_u32 v[6:7], s[8:9], s26, v6, v[2:3]
	v_add_u32_e32 v7, s10, v7
	s_waitcnt vmcnt(0) lgkmcnt(0)
	ds_write_b64 v1, v[4:5] offset:4224
	flat_load_dwordx2 v[4:5], v[6:7]
	s_waitcnt vmcnt(0) lgkmcnt(0)
	ds_write_b64 v1, v[4:5] offset:6336
	s_cbranch_execz .LBB186_19
	s_branch .LBB186_34
.LBB186_18:
.LBB186_19:
	v_lshlrev_b32_e32 v1, 3, v0
	v_sub_co_u32_e32 v4, vcc, v2, v1
	s_ashr_i32 s31, s30, 31
	v_subbrev_co_u32_e32 v5, vcc, 0, v3, vcc
	s_lshl_b64 s[10:11], s[30:31], 3
	v_mov_b32_e32 v6, s11
	v_add_co_u32_e32 v4, vcc, s10, v4
	v_addc_co_u32_e32 v5, vcc, v5, v6, vcc
	v_add_co_u32_e32 v4, vcc, -8, v4
	v_addc_co_u32_e32 v5, vcc, -1, v5, vcc
	v_cmp_gt_i32_e32 vcc, s30, v0
	v_mov_b32_e32 v6, 0
	v_cndmask_b32_e32 v5, v5, v3, vcc
	v_cndmask_b32_e32 v4, v4, v2, vcc
	v_cmp_gt_i32_e64 s[8:9], s30, v8
	v_mov_b32_e32 v7, v6
	s_and_saveexec_b64 s[12:13], s[8:9]
	s_cbranch_execz .LBB186_21
; %bb.20:
	flat_load_dwordx2 v[6:7], v[4:5]
.LBB186_21:
	s_or_b64 exec, exec, s[12:13]
	v_mul_u32_u24_e32 v9, 33, v8
	v_add_lshl_u32 v9, v9, v0, 3
	s_waitcnt vmcnt(0) lgkmcnt(0)
	ds_write_b64 v9, v[6:7]
	v_add_u32_e32 v6, 8, v8
	v_cmp_le_i32_e64 s[8:9], s30, v6
	s_and_saveexec_b64 s[12:13], s[8:9]
	s_xor_b64 s[8:9], exec, s[12:13]
	s_cbranch_execz .LBB186_23
; %bb.22:
	v_mul_u32_u24_e32 v6, 33, v6
	v_add_lshl_u32 v10, v6, v0, 3
	v_mov_b32_e32 v6, 0
	v_mov_b32_e32 v7, v6
	ds_write_b64 v10, v[6:7]
.LBB186_23:
	s_andn2_saveexec_b64 s[12:13], s[8:9]
	s_cbranch_execz .LBB186_25
; %bb.24:
	s_lshl_b64 s[8:9], s[26:27], 6
	v_mov_b32_e32 v7, s9
	v_add_co_u32_e64 v6, s[8:9], s8, v4
	v_addc_co_u32_e64 v7, s[8:9], v5, v7, s[8:9]
	flat_load_dwordx2 v[6:7], v[6:7]
	s_waitcnt vmcnt(0) lgkmcnt(0)
	ds_write_b64 v9, v[6:7] offset:2112
.LBB186_25:
	s_or_b64 exec, exec, s[12:13]
	v_add_u32_e32 v6, 16, v8
	v_cmp_le_i32_e64 s[8:9], s30, v6
	s_and_saveexec_b64 s[12:13], s[8:9]
	s_xor_b64 s[8:9], exec, s[12:13]
	s_cbranch_execz .LBB186_27
; %bb.26:
	v_mov_b32_e32 v6, 0
	v_mov_b32_e32 v7, v6
	ds_write_b64 v9, v[6:7] offset:4224
.LBB186_27:
	s_andn2_saveexec_b64 s[12:13], s[8:9]
	s_cbranch_execz .LBB186_29
; %bb.28:
	s_lshl_b64 s[8:9], s[26:27], 7
	v_mov_b32_e32 v7, s9
	v_add_co_u32_e64 v6, s[8:9], s8, v4
	v_addc_co_u32_e64 v7, s[8:9], v5, v7, s[8:9]
	flat_load_dwordx2 v[6:7], v[6:7]
	s_waitcnt vmcnt(0) lgkmcnt(0)
	ds_write_b64 v9, v[6:7] offset:4224
.LBB186_29:
	s_or_b64 exec, exec, s[12:13]
	v_add_u32_e32 v6, 24, v8
	v_cmp_le_i32_e64 s[8:9], s30, v6
	s_and_saveexec_b64 s[12:13], s[8:9]
	s_xor_b64 s[8:9], exec, s[12:13]
	s_cbranch_execz .LBB186_31
; %bb.30:
	v_mov_b32_e32 v6, 0
	v_mov_b32_e32 v7, v6
	ds_write_b64 v9, v[6:7] offset:6336
                                        ; implicit-def: $vgpr9
.LBB186_31:
	s_andn2_saveexec_b64 s[8:9], s[8:9]
	s_cbranch_execz .LBB186_33
; %bb.32:
	v_mov_b32_e32 v6, 0xc0
	v_mad_u64_u32 v[6:7], s[12:13], s26, v6, v[4:5]
	s_mul_i32 s12, s27, 0xc0
	v_add_u32_e32 v7, s12, v7
	flat_load_dwordx2 v[6:7], v[6:7]
	s_waitcnt vmcnt(0) lgkmcnt(0)
	ds_write_b64 v9, v[6:7] offset:6336
.LBB186_33:
	s_or_b64 exec, exec, s[8:9]
	v_add_co_u32_e64 v1, s[8:9], v4, v1
	v_addc_co_u32_e64 v4, s[8:9], 0, v5, s[8:9]
	v_mov_b32_e32 v5, s11
	v_subrev_co_u32_e64 v1, s[8:9], s10, v1
	v_subb_co_u32_e64 v4, s[8:9], v4, v5, s[8:9]
	v_add_co_u32_e64 v1, s[8:9], 8, v1
	v_addc_co_u32_e64 v4, s[8:9], 0, v4, s[8:9]
	v_cndmask_b32_e32 v3, v4, v3, vcc
	v_cndmask_b32_e32 v2, v1, v2, vcc
.LBB186_34:
	v_lshlrev_b32_e32 v1, 2, v8
	v_mul_u32_u24_e32 v28, 33, v0
	v_cmp_lt_u32_e64 s[8:9], v1, v0
	v_add_lshl_u32 v12, v1, v28, 3
	s_waitcnt lgkmcnt(0)
	s_barrier
	s_and_saveexec_b64 s[10:11], s[8:9]
	s_cbranch_execz .LBB186_36
; %bb.35:
	v_mul_u32_u24_e32 v4, 0x84, v8
	v_add_lshl_u32 v4, v4, v0, 3
	ds_read_b64 v[4:5], v4
	s_waitcnt lgkmcnt(0)
	ds_write_b64 v12, v[4:5]
.LBB186_36:
	s_or_b64 exec, exec, s[10:11]
	v_or_b32_e32 v4, 1, v1
	v_cmp_lt_u32_e64 s[10:11], v4, v0
	s_and_saveexec_b64 s[12:13], s[10:11]
	s_cbranch_execz .LBB186_38
; %bb.37:
	v_mul_u32_u24_e32 v4, 33, v4
	v_add_lshl_u32 v4, v4, v0, 3
	ds_read_b64 v[4:5], v4
	s_waitcnt lgkmcnt(0)
	ds_write_b64 v12, v[4:5] offset:8
.LBB186_38:
	s_or_b64 exec, exec, s[12:13]
	v_or_b32_e32 v4, 2, v1
	v_cmp_lt_u32_e64 s[12:13], v4, v0
	s_and_saveexec_b64 s[14:15], s[12:13]
	s_cbranch_execz .LBB186_40
; %bb.39:
	v_mul_u32_u24_e32 v4, 33, v4
	v_add_lshl_u32 v4, v4, v0, 3
	ds_read_b64 v[4:5], v4
	s_waitcnt lgkmcnt(0)
	ds_write_b64 v12, v[4:5] offset:16
.LBB186_40:
	s_or_b64 exec, exec, s[14:15]
	v_or_b32_e32 v4, 3, v1
	v_cmp_lt_u32_e64 s[14:15], v4, v0
	v_mad_u32_u24 v4, v4, 33, v0
	v_lshlrev_b32_e32 v9, 3, v4
	s_and_saveexec_b64 s[16:17], s[14:15]
	s_cbranch_execz .LBB186_42
; %bb.41:
	ds_read_b64 v[4:5], v9
	s_waitcnt lgkmcnt(0)
	ds_write_b64 v12, v[4:5] offset:24
.LBB186_42:
	s_or_b64 exec, exec, s[16:17]
	v_mul_u32_u24_e32 v4, 0x84, v8
	v_add_lshl_u32 v11, v4, v0, 3
	s_waitcnt lgkmcnt(0)
	s_barrier
	v_lshlrev_b32_e32 v13, 3, v1
	v_add_u32_e32 v10, 0xfffffdf0, v9
	ds_read_b64 v[14:15], v11
	ds_read_b128 v[4:7], v13 offset:9088
	ds_read2_b64 v[30:33], v10 offset1:33
	ds_read_b64 v[18:19], v9
	ds_read_b128 v[34:37], v13 offset:9104
	s_mov_b32 s16, 0
	s_mov_b32 s17, s16
	s_waitcnt lgkmcnt(3)
	v_pk_mul_f32 v[24:25], v[4:5], v[14:15] op_sel:[0,1]
	v_pk_fma_f32 v[38:39], v[4:5], v[14:15], v[24:25] op_sel:[0,0,1] op_sel_hi:[1,1,0] neg_lo:[0,0,1] neg_hi:[0,0,1]
	v_pk_fma_f32 v[4:5], v[4:5], v[14:15], v[24:25] op_sel:[0,0,1] op_sel_hi:[1,0,0]
	s_waitcnt lgkmcnt(2)
	v_pk_mul_f32 v[14:15], v[6:7], v[30:31] op_sel:[0,1]
	v_pk_fma_f32 v[24:25], v[6:7], v[30:31], v[14:15] op_sel:[0,0,1] op_sel_hi:[1,1,0] neg_lo:[0,0,1] neg_hi:[0,0,1]
	v_pk_fma_f32 v[6:7], v[6:7], v[30:31], v[14:15] op_sel:[0,0,1] op_sel_hi:[1,0,0]
	v_mov_b32_e32 v39, v5
	v_mov_b32_e32 v25, v7
	s_waitcnt lgkmcnt(0)
	v_pk_mul_f32 v[6:7], v[34:35], v[32:33] op_sel:[0,1]
	v_pk_add_f32 v[4:5], v[38:39], 0 op_sel_hi:[1,0]
	v_pk_fma_f32 v[14:15], v[34:35], v[32:33], v[6:7] op_sel:[0,0,1] op_sel_hi:[1,1,0] neg_lo:[0,0,1] neg_hi:[0,0,1]
	v_pk_fma_f32 v[6:7], v[34:35], v[32:33], v[6:7] op_sel:[0,0,1] op_sel_hi:[1,0,0]
	v_pk_add_f32 v[4:5], v[4:5], v[24:25]
	v_mov_b32_e32 v15, v7
	v_pk_mul_f32 v[6:7], v[36:37], v[18:19] op_sel:[0,1]
	v_pk_add_f32 v[4:5], v[4:5], v[14:15]
	v_pk_fma_f32 v[14:15], v[36:37], v[18:19], v[6:7] op_sel:[0,0,1] op_sel_hi:[1,1,0] neg_lo:[0,0,1] neg_hi:[0,0,1]
	v_pk_fma_f32 v[6:7], v[36:37], v[18:19], v[6:7] op_sel:[0,0,1] op_sel_hi:[1,0,0]
	v_mov_b32_e32 v15, v7
	v_add_lshl_u32 v29, v8, v28, 3
	v_pk_add_f32 v[4:5], v[4:5], v[14:15]
	v_cmp_gt_u32_e64 s[20:21], 32, v27
	v_pk_mov_b32 v[18:19], s[16:17], s[16:17] op_sel:[0,1]
	s_barrier
	ds_write_b64 v29, v[4:5]
	s_waitcnt lgkmcnt(0)
	s_barrier
	s_and_saveexec_b64 s[16:17], s[20:21]
	s_cbranch_execz .LBB186_44
; %bb.43:
	v_lshlrev_b32_e32 v1, 3, v28
	ds_read2_b64 v[4:7], v1 offset1:7
	ds_read2_b64 v[30:33], v1 offset0:1 offset1:2
	ds_read2_b64 v[34:37], v1 offset0:3 offset1:4
	s_waitcnt lgkmcnt(1)
	v_add_f32_e32 v4, v30, v4
	v_add_f32_e32 v5, v31, v5
	;; [unrolled: 1-line block ×4, first 2 shown]
	ds_read2_b64 v[30:33], v1 offset0:5 offset1:6
	s_waitcnt lgkmcnt(1)
	v_add_f32_e32 v1, v4, v34
	v_add_f32_e32 v4, v5, v35
	;; [unrolled: 1-line block ×4, first 2 shown]
	s_waitcnt lgkmcnt(0)
	v_add_f32_e32 v1, v1, v30
	v_add_f32_e32 v5, v4, v31
	;; [unrolled: 1-line block ×4, first 2 shown]
	v_pk_add_f32 v[18:19], v[4:5], v[6:7]
.LBB186_44:
	s_or_b64 exec, exec, s[16:17]
	s_lshl_b64 s[24:25], s[26:27], 8
	v_mov_b32_e32 v1, s25
	v_add_co_u32_e32 v4, vcc, s24, v2
	v_addc_co_u32_e32 v5, vcc, v3, v1, vcc
	v_add_co_u32_e32 v2, vcc, 0x100, v4
	v_cndmask_b32_e64 v1, 0, 1, s[40:41]
	s_mov_b64 s[18:19], vcc
	v_cmp_ne_u32_e64 s[16:17], 1, v1
	s_andn2_b64 vcc, exec, s[40:41]
	v_addc_co_u32_e64 v1, s[18:19], 0, v5, s[18:19]
	s_barrier
	s_cbranch_vccnz .LBB186_46
; %bb.45:
	flat_load_dwordx2 v[6:7], v[4:5] offset:256
	v_mul_u32_u24_e32 v3, 33, v8
	s_lshl_b64 s[18:19], s[26:27], 6
	v_add_lshl_u32 v3, v3, v0, 3
	v_mov_b32_e32 v24, s19
	v_add_co_u32_e32 v14, vcc, s18, v4
	v_addc_co_u32_e32 v15, vcc, v5, v24, vcc
	s_mul_i32 s31, s27, 0xc0
	s_waitcnt vmcnt(0) lgkmcnt(0)
	ds_write_b64 v3, v[6:7]
	flat_load_dwordx2 v[6:7], v[14:15] offset:256
	v_add_co_u32_e32 v14, vcc, s18, v14
	v_addc_co_u32_e32 v15, vcc, v15, v24, vcc
	s_waitcnt vmcnt(0) lgkmcnt(0)
	ds_write_b64 v3, v[6:7] offset:2112
	flat_load_dwordx2 v[6:7], v[14:15] offset:256
	v_mov_b32_e32 v14, 0xc0
	v_mad_u64_u32 v[4:5], s[18:19], s26, v14, v[4:5]
	v_add_u32_e32 v5, s31, v5
	s_waitcnt vmcnt(0) lgkmcnt(0)
	ds_write_b64 v3, v[6:7] offset:4224
	flat_load_dwordx2 v[4:5], v[4:5] offset:256
	s_waitcnt vmcnt(0) lgkmcnt(0)
	ds_write_b64 v3, v[4:5] offset:6336
	s_cbranch_execz .LBB186_47
	s_branch .LBB186_62
.LBB186_46:
.LBB186_47:
	v_or_b32_e32 v3, 32, v0
	v_lshlrev_b32_e32 v4, 3, v3
	v_sub_co_u32_e32 v4, vcc, v2, v4
	s_ashr_i32 s31, s30, 31
	v_subbrev_co_u32_e32 v5, vcc, 0, v1, vcc
	s_lshl_b64 s[40:41], s[30:31], 3
	v_mov_b32_e32 v6, s41
	v_add_co_u32_e32 v4, vcc, s40, v4
	v_addc_co_u32_e32 v5, vcc, v5, v6, vcc
	v_add_co_u32_e32 v4, vcc, -8, v4
	v_addc_co_u32_e32 v5, vcc, -1, v5, vcc
	v_cmp_gt_i32_e64 s[18:19], s30, v3
	s_sub_i32 s31, s30, 32
	v_mov_b32_e32 v6, 0
	v_cndmask_b32_e64 v5, v5, v1, s[18:19]
	v_cndmask_b32_e64 v4, v4, v2, s[18:19]
	v_cmp_gt_i32_e32 vcc, s31, v8
	v_mov_b32_e32 v7, v6
	s_and_saveexec_b64 s[42:43], vcc
	s_cbranch_execz .LBB186_49
; %bb.48:
	flat_load_dwordx2 v[6:7], v[4:5]
.LBB186_49:
	s_or_b64 exec, exec, s[42:43]
	v_mul_u32_u24_e32 v3, 33, v8
	v_add_lshl_u32 v3, v3, v0, 3
	s_waitcnt vmcnt(0) lgkmcnt(0)
	ds_write_b64 v3, v[6:7]
	v_add_u32_e32 v6, 8, v8
	v_cmp_le_i32_e32 vcc, s31, v6
	s_and_saveexec_b64 s[42:43], vcc
	s_xor_b64 s[42:43], exec, s[42:43]
	s_cbranch_execz .LBB186_51
; %bb.50:
	v_mul_u32_u24_e32 v6, 33, v6
	v_add_lshl_u32 v14, v6, v0, 3
	v_mov_b32_e32 v6, 0
	v_mov_b32_e32 v7, v6
	ds_write_b64 v14, v[6:7]
.LBB186_51:
	s_andn2_saveexec_b64 s[42:43], s[42:43]
	s_cbranch_execz .LBB186_53
; %bb.52:
	s_lshl_b64 s[44:45], s[26:27], 6
	v_mov_b32_e32 v7, s45
	v_add_co_u32_e32 v6, vcc, s44, v4
	v_addc_co_u32_e32 v7, vcc, v5, v7, vcc
	flat_load_dwordx2 v[6:7], v[6:7]
	s_waitcnt vmcnt(0) lgkmcnt(0)
	ds_write_b64 v3, v[6:7] offset:2112
.LBB186_53:
	s_or_b64 exec, exec, s[42:43]
	v_add_u32_e32 v6, 16, v8
	v_cmp_le_i32_e32 vcc, s31, v6
	s_and_saveexec_b64 s[42:43], vcc
	s_xor_b64 s[42:43], exec, s[42:43]
	s_cbranch_execz .LBB186_55
; %bb.54:
	v_mov_b32_e32 v6, 0
	v_mov_b32_e32 v7, v6
	ds_write_b64 v3, v[6:7] offset:4224
.LBB186_55:
	s_andn2_saveexec_b64 s[42:43], s[42:43]
	s_cbranch_execz .LBB186_57
; %bb.56:
	s_lshl_b64 s[44:45], s[26:27], 7
	v_mov_b32_e32 v7, s45
	v_add_co_u32_e32 v6, vcc, s44, v4
	v_addc_co_u32_e32 v7, vcc, v5, v7, vcc
	flat_load_dwordx2 v[6:7], v[6:7]
	s_waitcnt vmcnt(0) lgkmcnt(0)
	ds_write_b64 v3, v[6:7] offset:4224
.LBB186_57:
	s_or_b64 exec, exec, s[42:43]
	v_add_u32_e32 v6, 24, v8
	v_cmp_le_i32_e32 vcc, s31, v6
	s_and_saveexec_b64 s[42:43], vcc
	s_xor_b64 s[42:43], exec, s[42:43]
	s_cbranch_execz .LBB186_59
; %bb.58:
	v_mov_b32_e32 v6, 0
	v_mov_b32_e32 v7, v6
	ds_write_b64 v3, v[6:7] offset:6336
                                        ; implicit-def: $vgpr3
.LBB186_59:
	s_andn2_saveexec_b64 s[42:43], s[42:43]
	s_cbranch_execz .LBB186_61
; %bb.60:
	v_mov_b32_e32 v6, 0xc0
	v_mad_u64_u32 v[6:7], s[44:45], s26, v6, v[4:5]
	s_mul_i32 s31, s27, 0xc0
	v_add_u32_e32 v7, s31, v7
	flat_load_dwordx2 v[6:7], v[6:7]
	s_waitcnt vmcnt(0) lgkmcnt(0)
	ds_write_b64 v3, v[6:7] offset:6336
.LBB186_61:
	s_or_b64 exec, exec, s[42:43]
	v_lshlrev_b32_e32 v3, 3, v0
	v_add_co_u32_e32 v3, vcc, v4, v3
	v_addc_co_u32_e32 v4, vcc, 0, v5, vcc
	v_mov_b32_e32 v5, s41
	v_subrev_co_u32_e32 v3, vcc, s40, v3
	v_subb_co_u32_e32 v4, vcc, v4, v5, vcc
	v_add_co_u32_e32 v3, vcc, 0x108, v3
	v_addc_co_u32_e32 v4, vcc, 0, v4, vcc
	v_cndmask_b32_e64 v1, v4, v1, s[18:19]
	v_cndmask_b32_e64 v2, v3, v2, s[18:19]
.LBB186_62:
	v_add_u32_e32 v6, 0x2380, v13
	s_lshl_b64 s[18:19], s[26:27], 5
	s_waitcnt lgkmcnt(0)
	s_barrier
	s_and_saveexec_b64 s[40:41], s[8:9]
	s_cbranch_execnz .LBB186_71
; %bb.63:
	s_or_b64 exec, exec, s[40:41]
	s_and_saveexec_b64 s[8:9], s[10:11]
	s_cbranch_execnz .LBB186_72
.LBB186_64:
	s_or_b64 exec, exec, s[8:9]
	s_and_saveexec_b64 s[8:9], s[12:13]
	s_cbranch_execnz .LBB186_73
.LBB186_65:
	s_or_b64 exec, exec, s[8:9]
	s_and_saveexec_b64 s[8:9], s[14:15]
	s_cbranch_execz .LBB186_67
.LBB186_66:
	ds_read_b64 v[4:5], v9
	s_waitcnt lgkmcnt(0)
	ds_write_b64 v12, v[4:5] offset:24
.LBB186_67:
	s_or_b64 exec, exec, s[8:9]
	s_waitcnt lgkmcnt(0)
	s_barrier
	ds_read_b64 v[4:5], v11
	ds_read_b128 v[30:33], v6 offset:256
	ds_read2_b64 v[34:37], v10 offset1:33
	ds_read_b64 v[10:11], v9
	ds_read_b128 v[38:41], v6 offset:272
	v_cmp_eq_u32_e64 s[8:9], 1, v8
	s_waitcnt lgkmcnt(3)
	v_pk_mul_f32 v[14:15], v[30:31], v[4:5] op_sel:[0,1]
	v_pk_fma_f32 v[24:25], v[30:31], v[4:5], v[14:15] op_sel:[0,0,1] op_sel_hi:[1,1,0] neg_lo:[0,0,1] neg_hi:[0,0,1]
	v_pk_fma_f32 v[4:5], v[30:31], v[4:5], v[14:15] op_sel:[0,0,1] op_sel_hi:[1,0,0]
	v_mov_b32_e32 v25, v5
	s_waitcnt lgkmcnt(2)
	v_pk_mul_f32 v[14:15], v[32:33], v[34:35] op_sel:[0,1]
	v_pk_add_f32 v[4:5], v[24:25], 0 op_sel_hi:[1,0]
	v_pk_fma_f32 v[24:25], v[32:33], v[34:35], v[14:15] op_sel:[0,0,1] op_sel_hi:[1,1,0] neg_lo:[0,0,1] neg_hi:[0,0,1]
	v_pk_fma_f32 v[14:15], v[32:33], v[34:35], v[14:15] op_sel:[0,0,1] op_sel_hi:[1,0,0]
	v_mov_b32_e32 v25, v15
	s_waitcnt lgkmcnt(0)
	v_pk_mul_f32 v[14:15], v[38:39], v[36:37] op_sel:[0,1]
	v_pk_add_f32 v[4:5], v[4:5], v[24:25]
	v_pk_fma_f32 v[24:25], v[38:39], v[36:37], v[14:15] op_sel:[0,0,1] op_sel_hi:[1,1,0] neg_lo:[0,0,1] neg_hi:[0,0,1]
	v_pk_fma_f32 v[14:15], v[38:39], v[36:37], v[14:15] op_sel:[0,0,1] op_sel_hi:[1,0,0]
	v_mov_b32_e32 v25, v15
	v_pk_mul_f32 v[14:15], v[40:41], v[10:11] op_sel:[0,1]
	v_pk_add_f32 v[4:5], v[4:5], v[24:25]
	v_pk_fma_f32 v[24:25], v[40:41], v[10:11], v[14:15] op_sel:[0,0,1] op_sel_hi:[1,1,0] neg_lo:[0,0,1] neg_hi:[0,0,1]
	v_pk_fma_f32 v[10:11], v[40:41], v[10:11], v[14:15] op_sel:[0,0,1] op_sel_hi:[1,0,0]
	v_mov_b32_e32 v25, v11
	v_pk_add_f32 v[4:5], v[4:5], v[24:25]
	s_barrier
	ds_write_b64 v29, v[4:5]
	s_waitcnt lgkmcnt(0)
	s_barrier
	s_and_saveexec_b64 s[10:11], s[8:9]
	s_cbranch_execz .LBB186_69
; %bb.68:
	v_lshlrev_b32_e32 v3, 3, v28
	ds_read2_b64 v[30:33], v3 offset1:7
	ds_read2_b64 v[34:37], v3 offset0:1 offset1:2
	ds_read2_b64 v[38:41], v3 offset0:3 offset1:4
	s_waitcnt lgkmcnt(1)
	v_add_f32_e32 v4, v34, v30
	v_add_f32_e32 v5, v35, v31
	;; [unrolled: 1-line block ×4, first 2 shown]
	ds_read2_b64 v[34:37], v3 offset0:5 offset1:6
	s_waitcnt lgkmcnt(1)
	v_add_f32_e32 v3, v4, v38
	v_add_f32_e32 v4, v5, v39
	;; [unrolled: 1-line block ×4, first 2 shown]
	s_waitcnt lgkmcnt(0)
	v_add_f32_e32 v4, v3, v34
	v_add_f32_e32 v5, v5, v35
	v_pk_add_f32 v[4:5], v[4:5], v[36:37]
	v_pk_add_f32 v[18:19], v[4:5], v[32:33]
.LBB186_69:
	s_or_b64 exec, exec, s[10:11]
	s_lshl_b64 s[10:11], s[18:19], 3
	v_mov_b32_e32 v3, s11
	v_subrev_co_u32_e64 v24, s[10:11], s10, v2
	s_and_b64 vcc, exec, s[16:17]
	v_subb_co_u32_e64 v25, s[10:11], v1, v3, s[10:11]
	s_barrier
	s_cbranch_vccnz .LBB186_74
; %bb.70:
	flat_load_dwordx2 v[2:3], v[24:25]
	v_mad_u32_u24 v1, v8, 33, v0
	s_lshl_b64 s[10:11], s[26:27], 6
	v_lshlrev_b32_e32 v13, 3, v1
	v_mov_b32_e32 v7, s11
	v_add_co_u32_e32 v4, vcc, s10, v24
	v_addc_co_u32_e32 v5, vcc, v25, v7, vcc
	s_mul_i32 s12, s27, 0xc0
	v_add_u32_e32 v9, 0x318, v1
	s_waitcnt vmcnt(0) lgkmcnt(0)
	ds_write_b64 v13, v[2:3]
	flat_load_dwordx2 v[2:3], v[4:5]
	v_add_co_u32_e32 v4, vcc, s10, v4
	v_addc_co_u32_e32 v5, vcc, v5, v7, vcc
	v_add_u32_e32 v7, 24, v8
	s_waitcnt vmcnt(0) lgkmcnt(0)
	ds_write_b64 v13, v[2:3] offset:2112
	flat_load_dwordx2 v[2:3], v[4:5]
	v_mov_b32_e32 v4, 0xc0
	v_mad_u64_u32 v[4:5], s[10:11], s26, v4, v[24:25]
	v_add_u32_e32 v5, s12, v5
	s_waitcnt vmcnt(0) lgkmcnt(0)
	ds_write_b64 v13, v[2:3] offset:4224
	flat_load_dwordx2 v[10:11], v[4:5]
	v_add_u32_e32 v4, 8, v8
	v_add_u32_e32 v5, 16, v8
	;; [unrolled: 1-line block ×4, first 2 shown]
	s_waitcnt vmcnt(0) lgkmcnt(0)
	ds_write_b64 v13, v[10:11] offset:6336
	s_cbranch_execz .LBB186_75
	s_branch .LBB186_90
.LBB186_71:
	ds_read_b64 v[4:5], v11
	s_waitcnt lgkmcnt(0)
	ds_write_b64 v12, v[4:5]
	s_or_b64 exec, exec, s[40:41]
	s_and_saveexec_b64 s[8:9], s[10:11]
	s_cbranch_execz .LBB186_64
.LBB186_72:
	ds_read_b64 v[4:5], v10
	s_waitcnt lgkmcnt(0)
	ds_write_b64 v12, v[4:5] offset:8
	s_or_b64 exec, exec, s[8:9]
	s_and_saveexec_b64 s[8:9], s[12:13]
	s_cbranch_execz .LBB186_65
.LBB186_73:
	ds_read_b64 v[4:5], v10 offset:264
	s_waitcnt lgkmcnt(0)
	ds_write_b64 v12, v[4:5] offset:16
	s_or_b64 exec, exec, s[8:9]
	s_and_saveexec_b64 s[8:9], s[14:15]
	s_cbranch_execnz .LBB186_66
	s_branch .LBB186_67
.LBB186_74:
                                        ; implicit-def: $vgpr1
                                        ; implicit-def: $vgpr4
                                        ; implicit-def: $vgpr2
                                        ; implicit-def: $vgpr5
                                        ; implicit-def: $vgpr3
                                        ; implicit-def: $vgpr7
                                        ; implicit-def: $vgpr9
.LBB186_75:
	v_or_b32_e32 v1, 32, v0
	v_lshlrev_b32_e32 v2, 3, v1
	v_sub_co_u32_e32 v2, vcc, v24, v2
	s_ashr_i32 s31, s30, 31
	v_subbrev_co_u32_e32 v3, vcc, 0, v25, vcc
	s_lshl_b64 s[12:13], s[30:31], 3
	v_mov_b32_e32 v4, s13
	v_add_co_u32_e32 v2, vcc, s12, v2
	v_addc_co_u32_e32 v3, vcc, v3, v4, vcc
	v_add_co_u32_e32 v2, vcc, -8, v2
	v_addc_co_u32_e32 v3, vcc, -1, v3, vcc
	v_cmp_gt_i32_e64 s[10:11], s30, v1
	v_mov_b32_e32 v4, 0
	v_cndmask_b32_e64 v3, v3, v25, s[10:11]
	v_cndmask_b32_e64 v2, v2, v24, s[10:11]
	v_cmp_gt_i32_e32 vcc, s30, v8
	v_mov_b32_e32 v5, v4
	s_and_saveexec_b64 s[14:15], vcc
	s_cbranch_execz .LBB186_77
; %bb.76:
	flat_load_dwordx2 v[4:5], v[2:3]
.LBB186_77:
	s_or_b64 exec, exec, s[14:15]
	v_mad_u32_u24 v1, v8, 33, v0
	v_lshlrev_b32_e32 v10, 3, v1
	s_waitcnt vmcnt(0) lgkmcnt(0)
	ds_write_b64 v10, v[4:5]
	v_add_u32_e32 v4, 8, v8
	v_cmp_le_i32_e32 vcc, s30, v4
	s_and_saveexec_b64 s[14:15], vcc
	s_xor_b64 s[14:15], exec, s[14:15]
	s_cbranch_execz .LBB186_79
; %bb.78:
	v_mul_u32_u24_e32 v5, 33, v4
	v_mov_b32_e32 v14, 0
	v_add_lshl_u32 v5, v5, v0, 3
	v_mov_b32_e32 v15, v14
	ds_write_b64 v5, v[14:15]
.LBB186_79:
	s_andn2_saveexec_b64 s[14:15], s[14:15]
	s_cbranch_execz .LBB186_81
; %bb.80:
	s_lshl_b64 s[16:17], s[26:27], 6
	v_mov_b32_e32 v5, s17
	v_add_co_u32_e32 v14, vcc, s16, v2
	v_addc_co_u32_e32 v15, vcc, v3, v5, vcc
	flat_load_dwordx2 v[14:15], v[14:15]
	s_waitcnt vmcnt(0) lgkmcnt(0)
	ds_write_b64 v10, v[14:15] offset:2112
.LBB186_81:
	s_or_b64 exec, exec, s[14:15]
	v_add_u32_e32 v5, 16, v8
	v_cmp_le_i32_e32 vcc, s30, v5
	s_and_saveexec_b64 s[14:15], vcc
	s_xor_b64 s[14:15], exec, s[14:15]
	s_cbranch_execz .LBB186_83
; %bb.82:
	v_mul_u32_u24_e32 v7, 33, v5
	v_mov_b32_e32 v14, 0
	v_add_lshl_u32 v7, v7, v0, 3
	v_mov_b32_e32 v15, v14
	ds_write_b64 v7, v[14:15]
.LBB186_83:
	s_andn2_saveexec_b64 s[14:15], s[14:15]
	s_cbranch_execz .LBB186_85
; %bb.84:
	s_lshl_b64 s[16:17], s[26:27], 7
	v_mov_b32_e32 v7, s17
	v_add_co_u32_e32 v14, vcc, s16, v2
	v_addc_co_u32_e32 v15, vcc, v3, v7, vcc
	flat_load_dwordx2 v[14:15], v[14:15]
	s_waitcnt vmcnt(0) lgkmcnt(0)
	ds_write_b64 v10, v[14:15] offset:4224
.LBB186_85:
	s_or_b64 exec, exec, s[14:15]
	v_add_u32_e32 v7, 24, v8
	v_cmp_le_i32_e32 vcc, s30, v7
                                        ; implicit-def: $vgpr9
	s_and_saveexec_b64 s[14:15], vcc
	s_xor_b64 s[14:15], exec, s[14:15]
	s_cbranch_execz .LBB186_87
; %bb.86:
	v_mov_b32_e32 v14, 0
	v_add_u32_e32 v9, 0x318, v1
	v_mov_b32_e32 v15, v14
	ds_write_b64 v10, v[14:15] offset:6336
                                        ; implicit-def: $vgpr10
.LBB186_87:
	s_andn2_saveexec_b64 s[14:15], s[14:15]
	s_cbranch_execz .LBB186_89
; %bb.88:
	v_mov_b32_e32 v9, 0xc0
	v_mad_u64_u32 v[14:15], s[16:17], s26, v9, v[2:3]
	s_mul_i32 s16, s27, 0xc0
	v_add_u32_e32 v15, s16, v15
	flat_load_dwordx2 v[14:15], v[14:15]
	v_add_u32_e32 v9, 0x318, v1
	s_waitcnt vmcnt(0) lgkmcnt(0)
	ds_write_b64 v10, v[14:15] offset:6336
.LBB186_89:
	s_or_b64 exec, exec, s[14:15]
	v_lshlrev_b32_e32 v0, 3, v0
	v_add_co_u32_e32 v0, vcc, v2, v0
	v_addc_co_u32_e32 v2, vcc, 0, v3, vcc
	v_mov_b32_e32 v3, s13
	v_subrev_co_u32_e32 v0, vcc, s12, v0
	v_subb_co_u32_e32 v2, vcc, v2, v3, vcc
	v_add_co_u32_e32 v0, vcc, 0x108, v0
	v_addc_co_u32_e32 v2, vcc, 0, v2, vcc
	v_cndmask_b32_e64 v25, v2, v25, s[10:11]
	v_cndmask_b32_e64 v24, v0, v24, s[10:11]
	v_add_u32_e32 v2, 0x108, v1
	v_add_u32_e32 v3, 0x210, v1
.LBB186_90:
	v_lshlrev_b32_e32 v0, 3, v1
	s_waitcnt lgkmcnt(0)
	s_barrier
	ds_read_b64 v[30:31], v0
	v_lshlrev_b32_e32 v13, 3, v8
	v_lshlrev_b32_e32 v14, 3, v2
	;; [unrolled: 1-line block ×7, first 2 shown]
	ds_read_b64 v[32:33], v0
	ds_read2_b64 v[8:11], v12 offset1:1
	ds_read2_b64 v[0:3], v12 offset0:2 offset1:3
	ds_read_b64 v[34:35], v4 offset:9088
	ds_read_b64 v[36:37], v14
	ds_read_b64 v[38:39], v13 offset:9088
	ds_read_b128 v[12:15], v6 offset:256
	ds_read_b128 v[4:7], v6 offset:272
	ds_read_b64 v[40:41], v40 offset:9088
	ds_read_b64 v[42:43], v42
	ds_read_b64 v[44:45], v44 offset:9088
	s_waitcnt lgkmcnt(5)
	v_pk_mul_f32 v[46:47], v[38:39], v[30:31] op_sel:[0,1]
	v_pk_fma_f32 v[48:49], v[38:39], v[30:31], v[46:47] op_sel:[0,0,1] op_sel_hi:[1,1,0] neg_lo:[0,0,1] neg_hi:[0,0,1]
	v_pk_fma_f32 v[30:31], v[38:39], v[30:31], v[46:47] op_sel:[0,0,1] op_sel_hi:[1,0,0]
	v_pk_mul_f32 v[38:39], v[34:35], v[36:37] op_sel:[0,1]
	v_pk_fma_f32 v[46:47], v[34:35], v[36:37], v[38:39] op_sel:[0,0,1] op_sel_hi:[1,1,0] neg_lo:[0,0,1] neg_hi:[0,0,1]
	v_pk_fma_f32 v[34:35], v[34:35], v[36:37], v[38:39] op_sel:[0,0,1] op_sel_hi:[1,0,0]
	v_mov_b32_e32 v47, v35
	s_waitcnt lgkmcnt(0)
	v_pk_mul_f32 v[34:35], v[44:45], v[32:33] op_sel:[0,1]
	v_mov_b32_e32 v49, v31
	v_pk_fma_f32 v[36:37], v[44:45], v[32:33], v[34:35] op_sel:[0,0,1] op_sel_hi:[1,1,0] neg_lo:[0,0,1] neg_hi:[0,0,1]
	v_pk_fma_f32 v[32:33], v[44:45], v[32:33], v[34:35] op_sel:[0,0,1] op_sel_hi:[1,0,0]
	v_pk_add_f32 v[30:31], v[48:49], 0 op_sel_hi:[1,0]
	v_mov_b32_e32 v37, v33
	v_pk_mul_f32 v[32:33], v[40:41], v[42:43] op_sel:[0,1]
	v_pk_add_f32 v[30:31], v[30:31], v[46:47]
	v_pk_fma_f32 v[34:35], v[40:41], v[42:43], v[32:33] op_sel:[0,0,1] op_sel_hi:[1,1,0] neg_lo:[0,0,1] neg_hi:[0,0,1]
	v_pk_fma_f32 v[32:33], v[40:41], v[42:43], v[32:33] op_sel:[0,0,1] op_sel_hi:[1,0,0]
	v_pk_add_f32 v[30:31], v[30:31], v[36:37]
	v_mov_b32_e32 v35, v33
	v_pk_add_f32 v[30:31], v[30:31], v[34:35]
	s_barrier
	ds_write_b64 v29, v[30:31]
	s_waitcnt lgkmcnt(0)
	s_barrier
	s_and_saveexec_b64 s[10:11], s[8:9]
	s_cbranch_execz .LBB186_92
; %bb.91:
	v_lshlrev_b32_e32 v42, 3, v28
	ds_read2_b64 v[30:33], v42 offset1:1
	ds_read2_b64 v[34:37], v42 offset0:2 offset1:3
	ds_read2_b64 v[38:41], v42 offset0:4 offset1:5
	s_waitcnt lgkmcnt(2)
	v_pk_add_f32 v[18:19], v[18:19], v[30:31]
	v_pk_add_f32 v[18:19], v[18:19], v[32:33]
	ds_read2_b64 v[30:33], v42 offset0:6 offset1:7
	s_waitcnt lgkmcnt(2)
	v_pk_add_f32 v[18:19], v[18:19], v[34:35]
	v_pk_add_f32 v[18:19], v[18:19], v[36:37]
	s_waitcnt lgkmcnt(1)
	v_pk_add_f32 v[18:19], v[18:19], v[38:39]
	v_pk_add_f32 v[18:19], v[18:19], v[40:41]
	;; [unrolled: 3-line block ×3, first 2 shown]
.LBB186_92:
	s_or_b64 exec, exec, s[10:11]
	v_pk_mul_f32 v[30:31], v[12:13], v[8:9] op_sel:[0,1]
	v_pk_fma_f32 v[32:33], v[12:13], v[8:9], v[30:31] op_sel:[0,0,1] op_sel_hi:[1,1,0] neg_lo:[0,0,1] neg_hi:[0,0,1]
	v_pk_fma_f32 v[8:9], v[12:13], v[8:9], v[30:31] op_sel:[0,0,1] op_sel_hi:[1,0,0]
	v_mov_b32_e32 v12, v11
	v_pk_mul_f32 v[12:13], v[14:15], v[12:13] op_sel_hi:[1,0]
	v_pk_fma_f32 v[30:31], v[14:15], v[10:11], v[12:13] op_sel:[0,0,1] op_sel_hi:[1,1,0] neg_lo:[0,0,1] neg_hi:[0,0,1]
	v_pk_fma_f32 v[10:11], v[14:15], v[10:11], v[12:13] op_sel:[0,0,1] op_sel_hi:[1,0,0]
	v_mov_b32_e32 v33, v9
	v_mov_b32_e32 v31, v11
	v_pk_mul_f32 v[10:11], v[4:5], v[0:1] op_sel:[0,1]
	v_pk_add_f32 v[8:9], v[32:33], 0 op_sel_hi:[1,0]
	v_pk_fma_f32 v[12:13], v[4:5], v[0:1], v[10:11] op_sel:[0,0,1] op_sel_hi:[1,1,0] neg_lo:[0,0,1] neg_hi:[0,0,1]
	v_pk_fma_f32 v[0:1], v[4:5], v[0:1], v[10:11] op_sel:[0,0,1] op_sel_hi:[1,0,0]
	v_mov_b32_e32 v4, v3
	v_pk_add_f32 v[8:9], v[8:9], v[30:31]
	v_mov_b32_e32 v13, v1
	v_pk_mul_f32 v[4:5], v[6:7], v[4:5] op_sel_hi:[1,0]
	v_pk_add_f32 v[0:1], v[8:9], v[12:13]
	v_pk_fma_f32 v[8:9], v[6:7], v[2:3], v[4:5] op_sel:[0,0,1] op_sel_hi:[1,1,0] neg_lo:[0,0,1] neg_hi:[0,0,1]
	v_pk_fma_f32 v[2:3], v[6:7], v[2:3], v[4:5] op_sel:[0,0,1] op_sel_hi:[1,0,0]
	v_mov_b32_e32 v9, v3
	v_pk_add_f32 v[0:1], v[0:1], v[8:9]
	s_barrier
	ds_write_b64 v29, v[0:1]
	s_waitcnt lgkmcnt(0)
	s_barrier
	s_and_saveexec_b64 s[8:9], s[20:21]
	s_cbranch_execz .LBB186_94
; %bb.93:
	v_lshlrev_b32_e32 v14, 3, v28
	ds_read2_b64 v[0:3], v14 offset1:1
	ds_read2_b64 v[4:7], v14 offset0:2 offset1:3
	ds_read2_b64 v[8:11], v14 offset0:4 offset1:5
	s_waitcnt lgkmcnt(2)
	v_pk_add_f32 v[0:1], v[18:19], v[0:1]
	v_pk_add_f32 v[12:13], v[0:1], v[2:3]
	ds_read2_b64 v[0:3], v14 offset0:6 offset1:7
	s_waitcnt lgkmcnt(2)
	v_pk_add_f32 v[4:5], v[12:13], v[4:5]
	v_pk_add_f32 v[4:5], v[4:5], v[6:7]
	s_waitcnt lgkmcnt(1)
	v_pk_add_f32 v[4:5], v[4:5], v[8:9]
	v_pk_add_f32 v[4:5], v[4:5], v[10:11]
	;; [unrolled: 3-line block ×3, first 2 shown]
.LBB186_94:
	s_or_b64 exec, exec, s[8:9]
	s_load_dwordx2 s[4:5], s[4:5], 0x68
	s_mul_hi_u32 s8, s7, s28
	s_mul_i32 s33, s33, s28
	s_add_i32 s8, s8, s33
	s_mul_i32 s10, s7, s28
	s_mul_i32 s8, s8, s29
	s_mul_hi_u32 s9, s10, s29
	s_add_i32 s9, s9, s8
	s_mul_i32 s8, s10, s29
	s_lshl_b64 s[8:9], s[8:9], 3
	s_waitcnt lgkmcnt(0)
	s_add_u32 s8, s4, s8
	s_mul_i32 s4, s6, s7
	s_addc_u32 s9, s5, s9
	s_ashr_i32 s5, s4, 31
	s_lshl_b64 s[4:5], s[4:5], 3
	s_add_u32 s7, s8, s4
	v_cmp_le_i32_e32 vcc, s30, v26
	s_addc_u32 s20, s9, s5
	s_and_b64 vcc, s[38:39], vcc
	s_cmp_lt_i32 s6, 1
	v_lshlrev_b32_e32 v73, 3, v26
	s_barrier
	s_cbranch_scc1 .LBB186_101
; %bb.95:
	s_mul_i32 s4, s34, s23
	s_mul_hi_u32 s5, s34, s22
	s_add_i32 s4, s5, s4
	s_mul_i32 s5, s35, s22
	s_add_i32 s5, s4, s5
	s_mul_i32 s4, s34, s22
	s_lshl_b64 s[4:5], s[4:5], 3
	v_mov_b32_e32 v0, s5
	v_subrev_co_u32_e64 v74, s[4:5], s4, v20
	v_subb_co_u32_e64 v75, s[4:5], v21, v0, s[4:5]
	v_mov_b32_e32 v0, s37
	v_subrev_co_u32_e64 v1, s[4:5], s36, v24
	v_subb_co_u32_e64 v0, s[4:5], v25, v0, s[4:5]
	v_lshlrev_b32_e32 v3, 2, v72
	v_sub_co_u32_e64 v6, s[4:5], v1, v22
	v_subb_co_u32_e64 v7, s[4:5], v0, v23, s[4:5]
	v_mad_u64_u32 v[0:1], s[4:5], v3, s26, 0
	v_mov_b32_e32 v2, v1
	v_mad_u64_u32 v[2:3], s[4:5], v3, s27, v[2:3]
	v_mov_b32_e32 v1, v2
	v_lshlrev_b64 v[0:1], 3, v[0:1]
	v_add_co_u32_e64 v0, s[4:5], v6, v0
	v_addc_co_u32_e64 v1, s[4:5], v7, v1, s[4:5]
	s_movk_i32 s4, 0xff00
	v_add_co_u32_e64 v0, s[4:5], s4, v0
	v_addc_co_u32_e64 v1, s[4:5], -1, v1, s[4:5]
	s_ashr_i32 s31, s30, 31
	s_lshl_b64 s[4:5], s[30:31], 3
	v_mov_b32_e32 v2, s5
	v_add_co_u32_e64 v3, s[4:5], s4, v0
	v_addc_co_u32_e64 v2, s[4:5], v1, v2, s[4:5]
	v_add_co_u32_e64 v3, s[4:5], -8, v3
	v_addc_co_u32_e64 v2, s[4:5], -1, v2, s[4:5]
	v_add_co_u32_e64 v0, s[4:5], v0, v73
	v_addc_co_u32_e64 v1, s[4:5], 0, v1, s[4:5]
	v_cndmask_b32_e32 v14, v0, v3, vcc
	v_and_b32_e32 v0, 48, v26
	v_and_b32_e32 v4, 15, v26
	v_cndmask_b32_e32 v15, v1, v2, vcc
	v_lshlrev_b32_e32 v1, 3, v0
	s_movk_i32 s8, 0x218
	v_lshrrev_b32_e32 v5, 4, v27
	v_mad_u32_u24 v78, v4, s8, v1
	v_or_b32_e32 v1, 0x78, v73
	v_mad_u32_u24 v79, v4, s8, v1
	v_lshlrev_b32_e32 v1, 5, v5
	v_mad_u32_u24 v80, v4, s8, v1
	v_mov_b32_e32 v1, 0x2180
	s_mul_i32 s31, s27, 0x118
	s_mul_hi_u32 s33, s26, 0x118
	v_lshl_add_u32 v81, v72, 5, v1
	s_movk_i32 s9, 0x860
	v_lshlrev_b32_e32 v1, 3, v5
	s_add_i32 s38, s33, s31
	s_mul_i32 s33, s27, 0x180
	s_mul_hi_u32 s34, s26, 0x180
	v_mad_u32_u24 v82, v72, s9, v73
	v_mad_u32_u24 v83, v4, s8, v1
	s_mul_i32 s8, s27, 24
	s_mul_hi_u32 s9, s26, 24
	s_add_i32 s39, s34, s33
	s_mul_i32 s34, s27, 0x190
	s_mul_hi_u32 s35, s26, 0x190
	s_add_i32 s8, s9, s8
	;; [unrolled: 3-line block ×5, first 2 shown]
	s_mul_i32 s36, s27, 0x188
	s_mul_hi_u32 s37, s26, 0x188
	s_lshl_b64 s[10:11], s[26:27], 3
	s_lshl_b64 s[12:13], s[26:27], 4
	;; [unrolled: 1-line block ×4, first 2 shown]
	s_add_i32 s18, s19, s18
	s_mul_i32 s19, s27, 0x110
	s_mul_hi_u32 s30, s26, 0x110
	s_add_i32 s42, s37, s36
	s_mul_i32 s37, s27, 0x108
	s_mul_hi_u32 s43, s26, 0x108
	s_mulk_i32 s27, 0x88
	s_mul_hi_u32 s44, s26, 0x88
	s_add_i32 s19, s30, s19
	s_add_i32 s43, s43, s37
	;; [unrolled: 1-line block ×3, first 2 shown]
	v_mov_b32_e32 v13, 0
	v_add_u32_e32 v76, 0x2180, v73
	v_add_u32_e32 v77, 0x2380, v73
	v_cmp_gt_u32_e64 s[4:5], 64, v27
	s_mul_i32 s21, s26, 24
	s_mul_i32 s28, s26, 0x90
	;; [unrolled: 1-line block ×10, first 2 shown]
	s_mulk_i32 s26, 0x88
	v_or_b32_e32 v84, v0, v4
	s_mov_b32 s27, 0
	v_mov_b32_e32 v85, s11
	v_mov_b32_e32 v86, s13
	;; [unrolled: 1-line block ×15, first 2 shown]
	s_branch .LBB186_97
.LBB186_96:                             ;   in Loop: Header=BB186_97 Depth=1
	s_or_b64 exec, exec, s[18:19]
	v_mul_f32_e32 v12, v29, v21
	v_fma_f32 v12, v28, v20, -v12
	v_add_f32_e32 v12, v18, v12
	v_mul_f32_e32 v18, v43, v23
	v_fma_f32 v18, v42, v22, -v18
	v_add_f32_e32 v12, v12, v18
	v_mul_f32_e32 v18, v41, v25
	v_fma_f32 v18, v40, v24, -v18
	v_mul_f32_e32 v20, v29, v20
	v_add_f32_e32 v12, v12, v18
	v_mul_f32_e32 v18, v39, v27
	v_mul_f32_e32 v22, v43, v22
	v_fma_f32 v18, v38, v26, -v18
	v_fmac_f32_e32 v20, v28, v21
	v_mul_f32_e32 v24, v41, v24
	v_add_f32_e32 v12, v12, v18
	v_add_f32_e32 v18, v19, v20
	v_fmac_f32_e32 v22, v42, v23
	v_mul_f32_e32 v26, v39, v26
	v_add_f32_e32 v18, v18, v22
	v_fmac_f32_e32 v24, v40, v25
	v_add_f32_e32 v18, v18, v24
	v_fmac_f32_e32 v26, v38, v27
	v_add_f32_e32 v19, v18, v26
	v_mul_f32_e32 v18, v51, v35
	v_fma_f32 v18, v50, v34, -v18
	v_add_f32_e32 v12, v12, v18
	v_mul_f32_e32 v18, v59, v33
	v_fma_f32 v18, v58, v32, -v18
	v_mul_f32_e32 v24, v51, v34
	v_add_f32_e32 v18, v12, v18
	v_mul_f32_e32 v12, v55, v31
	v_mul_f32_e32 v25, v59, v32
	v_fma_f32 v20, v54, v30, -v12
	v_mul_f32_e32 v12, v57, v37
	v_fmac_f32_e32 v24, v50, v35
	v_mul_f32_e32 v21, v55, v30
	v_fma_f32 v22, v56, v36, -v12
	v_add_f32_e32 v12, v19, v24
	v_fmac_f32_e32 v25, v58, v33
	v_mul_f32_e32 v23, v57, v36
	v_add_f32_e32 v19, v12, v25
	v_fmac_f32_e32 v21, v54, v31
	v_mov_b32_e32 v12, v53
	v_fmac_f32_e32 v23, v56, v37
	v_pk_add_f32 v[18:19], v[18:19], v[20:21]
	v_pk_mul_f32 v[20:21], v[70:71], v[12:13] op_sel_hi:[1,0]
	v_pk_add_f32 v[18:19], v[18:19], v[22:23]
	v_pk_fma_f32 v[22:23], v[70:71], v[52:53], v[20:21] op_sel:[0,0,1] op_sel_hi:[1,1,0] neg_lo:[0,0,1] neg_hi:[0,0,1]
	v_pk_fma_f32 v[20:21], v[70:71], v[52:53], v[20:21] op_sel:[0,0,1] op_sel_hi:[1,0,0]
	v_mov_b32_e32 v12, v49
	v_mov_b32_e32 v23, v21
	v_pk_mul_f32 v[20:21], v[8:9], v[12:13] op_sel_hi:[1,0]
	v_pk_add_f32 v[18:19], v[18:19], v[22:23]
	v_pk_fma_f32 v[22:23], v[8:9], v[48:49], v[20:21] op_sel:[0,0,1] op_sel_hi:[1,1,0] neg_lo:[0,0,1] neg_hi:[0,0,1]
	v_pk_fma_f32 v[8:9], v[8:9], v[48:49], v[20:21] op_sel:[0,0,1] op_sel_hi:[1,0,0]
	v_mov_b32_e32 v23, v9
	v_mov_b32_e32 v12, v47
	v_pk_add_f32 v[8:9], v[18:19], v[22:23]
	v_pk_mul_f32 v[18:19], v[10:11], v[12:13] op_sel_hi:[1,0]
	v_pk_fma_f32 v[20:21], v[10:11], v[46:47], v[18:19] op_sel:[0,0,1] op_sel_hi:[1,1,0] neg_lo:[0,0,1] neg_hi:[0,0,1]
	v_pk_fma_f32 v[10:11], v[10:11], v[46:47], v[18:19] op_sel:[0,0,1] op_sel_hi:[1,0,0]
	v_mov_b32_e32 v10, v45
	v_mov_b32_e32 v21, v11
	v_pk_mul_f32 v[10:11], v[68:69], v[10:11] op_sel_hi:[1,0]
	v_pk_fma_f32 v[18:19], v[68:69], v[44:45], v[10:11] op_sel:[0,0,1] op_sel_hi:[1,1,0] neg_lo:[0,0,1] neg_hi:[0,0,1]
	v_pk_fma_f32 v[10:11], v[68:69], v[44:45], v[10:11] op_sel:[0,0,1] op_sel_hi:[1,0,0]
	v_mov_b32_e32 v10, v67
	v_pk_add_f32 v[8:9], v[8:9], v[20:21]
	v_mov_b32_e32 v19, v11
	v_pk_mul_f32 v[10:11], v[0:1], v[10:11] op_sel_hi:[1,0]
	v_pk_add_f32 v[8:9], v[8:9], v[18:19]
	v_pk_fma_f32 v[18:19], v[0:1], v[66:67], v[10:11] op_sel:[0,0,1] op_sel_hi:[1,1,0] neg_lo:[0,0,1] neg_hi:[0,0,1]
	v_pk_fma_f32 v[0:1], v[0:1], v[66:67], v[10:11] op_sel:[0,0,1] op_sel_hi:[1,0,0]
	v_mov_b32_e32 v0, v65
	v_mov_b32_e32 v19, v1
	v_pk_mul_f32 v[0:1], v[6:7], v[0:1] op_sel_hi:[1,0]
	v_pk_fma_f32 v[10:11], v[6:7], v[64:65], v[0:1] op_sel:[0,0,1] op_sel_hi:[1,1,0] neg_lo:[0,0,1] neg_hi:[0,0,1]
	v_pk_fma_f32 v[0:1], v[6:7], v[64:65], v[0:1] op_sel:[0,0,1] op_sel_hi:[1,0,0]
	v_mov_b32_e32 v0, v61
	v_mov_b32_e32 v11, v1
	v_pk_mul_f32 v[0:1], v[4:5], v[0:1] op_sel_hi:[1,0]
	;; [unrolled: 5-line block ×3, first 2 shown]
	v_pk_fma_f32 v[4:5], v[2:3], v[62:63], v[0:1] op_sel:[0,0,1] op_sel_hi:[1,1,0] neg_lo:[0,0,1] neg_hi:[0,0,1]
	v_pk_fma_f32 v[0:1], v[2:3], v[62:63], v[0:1] op_sel:[0,0,1] op_sel_hi:[1,0,0]
	v_mov_b32_e32 v5, v1
	v_pk_add_f32 v[0:1], v[8:9], v[18:19]
	v_pk_add_f32 v[0:1], v[0:1], v[10:11]
	;; [unrolled: 1-line block ×4, first 2 shown]
	v_mov_b32_e32 v0, s15
	s_add_i32 s27, s27, 64
	s_add_i32 s6, s6, -1
	v_add_co_u32_e64 v14, s[8:9], s14, v14
	s_cmp_eq_u32 s6, 0
	v_addc_co_u32_e64 v15, s[8:9], v15, v0, s[8:9]
	s_barrier
	s_cbranch_scc1 .LBB186_101
.LBB186_97:                             ; =>This Inner Loop Header: Depth=1
	s_and_saveexec_b64 s[18:19], s[2:3]
	s_cbranch_execz .LBB186_99
; %bb.98:                               ;   in Loop: Header=BB186_97 Depth=1
	s_mul_i32 s8, s27, s23
	s_mul_hi_u32 s9, s27, s22
	s_add_i32 s9, s9, s8
	s_mul_i32 s8, s27, s22
	s_lshl_b64 s[8:9], s[8:9], 3
	v_mov_b32_e32 v1, s9
	v_add_co_u32_e64 v0, s[8:9], s8, v74
	v_addc_co_u32_e64 v1, s[8:9], v75, v1, s[8:9]
	flat_load_dwordx2 v[0:1], v[0:1]
	s_waitcnt vmcnt(0) lgkmcnt(0)
	ds_write_b64 v76, v[0:1]
.LBB186_99:                             ;   in Loop: Header=BB186_97 Depth=1
	s_or_b64 exec, exec, s[18:19]
	v_add_co_u32_e64 v0, s[8:9], s10, v14
	v_addc_co_u32_e64 v1, s[8:9], v15, v85, s[8:9]
	v_add_co_u32_e64 v2, s[8:9], s12, v14
	s_waitcnt lgkmcnt(0)
	s_barrier
	flat_load_dwordx2 v[20:21], v[14:15]
	v_addc_co_u32_e64 v3, s[8:9], v15, v86, s[8:9]
	flat_load_dwordx2 v[22:23], v[0:1]
	flat_load_dwordx2 v[24:25], v[2:3]
	v_add_co_u32_e64 v0, s[8:9], s21, v14
	v_addc_co_u32_e64 v1, s[8:9], v15, v87, s[8:9]
	flat_load_dwordx2 v[26:27], v[0:1]
	ds_read_b64 v[0:1], v77
	ds_read_b64 v[28:29], v81
	v_add_co_u32_e64 v8, s[8:9], s16, v14
	v_addc_co_u32_e64 v9, s[8:9], v15, v88, s[8:9]
	v_add_co_u32_e64 v10, s[8:9], s26, v14
	v_addc_co_u32_e64 v11, s[8:9], v15, v89, s[8:9]
	;; [unrolled: 2-line block ×3, first 2 shown]
	s_waitcnt vmcnt(0) lgkmcnt(0)
	v_mul_f32_e32 v2, v1, v21
	v_mul_f32_e32 v3, v1, v20
	v_fma_f32 v2, v0, v20, -v2
	v_fmac_f32_e32 v3, v0, v21
	v_mul_f32_e32 v4, v1, v23
	v_mul_f32_e32 v5, v1, v22
	;; [unrolled: 1-line block ×4, first 2 shown]
	ds_write_b64 v82, v[2:3]
	v_fma_f32 v4, v0, v22, -v4
	v_fmac_f32_e32 v5, v0, v23
	v_mul_f32_e32 v12, v1, v27
	v_mul_f32_e32 v31, v0, v27
	v_fma_f32 v6, v0, v24, -v6
	v_fmac_f32_e32 v7, v0, v25
	ds_read_b64 v[42:43], v81 offset:8
	ds_write_b64 v82, v[4:5] offset:536
	v_fma_f32 v30, v0, v26, -v12
	v_fmac_f32_e32 v31, v1, v26
	ds_read_b64 v[40:41], v81 offset:16
	ds_write_b64 v82, v[6:7] offset:1072
	ds_read_b64 v[38:39], v81 offset:24
	ds_write_b64 v82, v[30:31] offset:1608
	s_waitcnt lgkmcnt(0)
	s_barrier
	ds_read2_b64 v[4:7], v80 offset1:1
	ds_read2_b64 v[0:3], v80 offset0:2 offset1:3
	s_waitcnt lgkmcnt(0)
	s_barrier
	flat_load_dwordx2 v[34:35], v[8:9]
	flat_load_dwordx2 v[32:33], v[10:11]
	;; [unrolled: 1-line block ×3, first 2 shown]
	v_add_co_u32_e64 v8, s[8:9], s29, v14
	v_addc_co_u32_e64 v9, s[8:9], v15, v91, s[8:9]
	flat_load_dwordx2 v[36:37], v[8:9]
	ds_read_b64 v[44:45], v77
	ds_read_b64 v[50:51], v81 offset:128
	v_add_co_u32_e64 v8, s[8:9], s24, v14
	v_addc_co_u32_e64 v9, s[8:9], v15, v92, s[8:9]
	v_add_co_u32_e64 v10, s[8:9], s37, v14
	v_addc_co_u32_e64 v11, s[8:9], v15, v93, s[8:9]
	;; [unrolled: 2-line block ×3, first 2 shown]
	v_pk_add_f32 v[4:5], v[4:5], 0 op_sel_hi:[1,0]
	v_pk_add_f32 v[4:5], v[4:5], v[6:7]
	v_pk_add_f32 v[0:1], v[4:5], v[0:1]
	s_waitcnt vmcnt(0) lgkmcnt(0)
	v_mul_f32_e32 v12, v45, v35
	v_mul_f32_e32 v47, v45, v34
	;; [unrolled: 1-line block ×4, first 2 shown]
	v_fma_f32 v46, v44, v34, -v12
	v_fmac_f32_e32 v47, v44, v35
	v_mul_f32_e32 v52, v45, v31
	v_mul_f32_e32 v53, v45, v30
	v_fma_f32 v48, v44, v32, -v48
	v_fmac_f32_e32 v49, v44, v33
	ds_write_b64 v82, v[46:47]
	v_mul_f32_e32 v54, v45, v37
	v_mul_f32_e32 v63, v44, v37
	v_fma_f32 v52, v44, v30, -v52
	v_fmac_f32_e32 v53, v44, v31
	ds_read_b64 v[58:59], v81 offset:136
	ds_write_b64 v82, v[48:49] offset:536
	v_fma_f32 v62, v44, v36, -v54
	v_fmac_f32_e32 v63, v45, v36
	ds_read_b64 v[54:55], v81 offset:144
	ds_write_b64 v82, v[52:53] offset:1072
	ds_read_b64 v[56:57], v81 offset:152
	ds_write_b64 v82, v[62:63] offset:1608
	s_waitcnt lgkmcnt(0)
	s_barrier
	ds_read2_b64 v[100:103], v80 offset1:1
	ds_read2_b64 v[104:107], v80 offset0:2 offset1:3
	s_waitcnt lgkmcnt(0)
	s_barrier
	flat_load_dwordx2 v[52:53], v[8:9]
	flat_load_dwordx2 v[48:49], v[10:11]
	;; [unrolled: 1-line block ×3, first 2 shown]
	v_add_co_u32_e64 v8, s[8:9], s31, v14
	v_addc_co_u32_e64 v9, s[8:9], v15, v95, s[8:9]
	flat_load_dwordx2 v[44:45], v[8:9]
	ds_read_b64 v[8:9], v77
	ds_read_b64 v[70:71], v81 offset:256
	v_add_co_u32_e64 v62, s[8:9], s33, v14
	v_addc_co_u32_e64 v63, s[8:9], v15, v96, s[8:9]
	v_add_co_u32_e64 v116, s[8:9], s36, v14
	v_addc_co_u32_e64 v117, s[8:9], v15, v97, s[8:9]
	;; [unrolled: 2-line block ×3, first 2 shown]
	s_waitcnt vmcnt(0) lgkmcnt(0)
	v_mul_f32_e32 v10, v9, v53
	v_mul_f32_e32 v11, v9, v52
	;; [unrolled: 1-line block ×6, first 2 shown]
	v_fma_f32 v10, v8, v52, -v10
	v_mul_f32_e32 v66, v9, v45
	v_mul_f32_e32 v67, v8, v45
	v_fma_f32 v60, v8, v48, -v12
	v_fmac_f32_e32 v11, v8, v53
	v_fmac_f32_e32 v61, v8, v49
	v_fma_f32 v64, v8, v46, -v64
	v_fma_f32 v66, v8, v44, -v66
	v_fmac_f32_e32 v65, v8, v47
	v_fmac_f32_e32 v67, v9, v44
	ds_write2_b64 v82, v[10:11], v[60:61] offset1:67
	ds_write2_b64 v82, v[64:65], v[66:67] offset0:134 offset1:201
	ds_read2_b64 v[8:11], v81 offset0:33 offset1:34
	ds_read_b64 v[68:69], v81 offset:280
	s_waitcnt lgkmcnt(0)
	s_barrier
	ds_read2_b64 v[108:111], v80 offset1:1
	ds_read2_b64 v[112:115], v80 offset0:2 offset1:3
	s_waitcnt lgkmcnt(0)
	s_barrier
	flat_load_dwordx2 v[66:67], v[62:63]
	flat_load_dwordx2 v[64:65], v[116:117]
	;; [unrolled: 1-line block ×3, first 2 shown]
	v_add_co_u32_e64 v62, s[8:9], s35, v14
	v_addc_co_u32_e64 v63, s[8:9], v15, v99, s[8:9]
	flat_load_dwordx2 v[62:63], v[62:63]
	v_pk_add_f32 v[116:117], v[0:1], v[2:3]
	v_pk_add_f32 v[0:1], v[100:101], 0 op_sel_hi:[1,0]
	v_pk_add_f32 v[0:1], v[0:1], v[102:103]
	v_pk_add_f32 v[0:1], v[0:1], v[104:105]
	;; [unrolled: 1-line block ×3, first 2 shown]
	ds_read_b64 v[2:3], v77
	ds_read_b64 v[0:1], v81 offset:384
	v_pk_add_f32 v[4:5], v[108:109], 0 op_sel_hi:[1,0]
	v_pk_add_f32 v[4:5], v[4:5], v[110:111]
	v_pk_add_f32 v[4:5], v[4:5], v[112:113]
	;; [unrolled: 1-line block ×3, first 2 shown]
	s_waitcnt vmcnt(0) lgkmcnt(0)
	v_mul_f32_e32 v4, v3, v67
	v_mul_f32_e32 v5, v3, v66
	;; [unrolled: 1-line block ×4, first 2 shown]
	v_fma_f32 v4, v2, v66, -v4
	v_fmac_f32_e32 v5, v2, v67
	v_mul_f32_e32 v7, v3, v61
	v_mul_f32_e32 v103, v3, v60
	v_fma_f32 v100, v2, v64, -v6
	v_fmac_f32_e32 v101, v2, v65
	ds_write_b64 v82, v[4:5]
	v_mul_f32_e32 v12, v3, v63
	v_mul_f32_e32 v105, v2, v63
	v_fma_f32 v102, v2, v60, -v7
	v_fmac_f32_e32 v103, v2, v61
	ds_read_b64 v[6:7], v81 offset:392
	ds_write_b64 v82, v[100:101] offset:536
	v_fma_f32 v104, v2, v62, -v12
	v_fmac_f32_e32 v105, v3, v62
	ds_read_b64 v[4:5], v81 offset:400
	ds_write_b64 v82, v[102:103] offset:1072
	ds_read_b64 v[2:3], v81 offset:408
	ds_write_b64 v82, v[104:105] offset:1608
	s_waitcnt lgkmcnt(0)
	s_barrier
	ds_read2_b64 v[100:103], v80 offset1:1
	ds_read2_b64 v[104:107], v80 offset0:2 offset1:3
	s_waitcnt lgkmcnt(0)
	s_barrier
	v_pk_add_f32 v[100:101], v[100:101], 0 op_sel_hi:[1,0]
	v_pk_add_f32 v[100:101], v[100:101], v[102:103]
	v_pk_add_f32 v[100:101], v[100:101], v[104:105]
	;; [unrolled: 1-line block ×3, first 2 shown]
	ds_write2_b64 v83, v[116:117], v[118:119] offset1:16
	ds_write2_b64 v83, v[108:109], v[100:101] offset0:32 offset1:48
	s_waitcnt lgkmcnt(0)
	s_barrier
	s_and_saveexec_b64 s[18:19], s[4:5]
	s_cbranch_execz .LBB186_96
; %bb.100:                              ;   in Loop: Header=BB186_97 Depth=1
	ds_read_b64 v[108:109], v78
	ds_read2_b64 v[100:103], v78 offset0:1 offset1:2
	ds_read2_b64 v[104:107], v78 offset0:3 offset1:4
	s_waitcnt lgkmcnt(1)
	v_add_f32_e32 v12, v100, v108
	v_add_f32_e32 v100, v101, v109
	;; [unrolled: 1-line block ×4, first 2 shown]
	ds_read2_b64 v[100:103], v78 offset0:5 offset1:6
	s_waitcnt lgkmcnt(1)
	v_add_f32_e32 v12, v12, v104
	v_add_f32_e32 v104, v108, v105
	;; [unrolled: 1-line block ×4, first 2 shown]
	v_add_u32_e32 v12, s27, v84
	ds_read2_b64 v[104:107], v78 offset0:7 offset1:8
	v_lshlrev_b64 v[110:111], 3, v[12:13]
	v_mov_b32_e32 v12, s20
	v_add_co_u32_e64 v112, s[8:9], s7, v110
	v_addc_co_u32_e64 v113, s[8:9], v12, v111, s[8:9]
	s_waitcnt lgkmcnt(1)
	v_pk_add_f32 v[100:101], v[108:109], v[100:101]
	ds_read2_b64 v[108:111], v78 offset0:9 offset1:10
	v_pk_add_f32 v[100:101], v[100:101], v[102:103]
	s_waitcnt lgkmcnt(1)
	v_pk_add_f32 v[100:101], v[100:101], v[104:105]
	v_pk_add_f32 v[104:105], v[100:101], v[106:107]
	ds_read2_b64 v[100:103], v78 offset0:11 offset1:12
	s_waitcnt lgkmcnt(1)
	v_pk_add_f32 v[108:109], v[104:105], v[108:109]
	ds_read2_b64 v[104:107], v78 offset0:13 offset1:14
	v_pk_add_f32 v[108:109], v[108:109], v[110:111]
	ds_read_b64 v[110:111], v79
	s_waitcnt lgkmcnt(2)
	v_pk_add_f32 v[100:101], v[108:109], v[100:101]
	v_pk_add_f32 v[100:101], v[100:101], v[102:103]
	s_waitcnt lgkmcnt(1)
	v_pk_add_f32 v[100:101], v[100:101], v[104:105]
	v_pk_add_f32 v[100:101], v[100:101], v[106:107]
	s_waitcnt lgkmcnt(0)
	v_pk_add_f32 v[100:101], v[100:101], v[110:111]
	global_store_dwordx2 v[112:113], v[100:101], off
	s_branch .LBB186_96
.LBB186_101:
	s_movk_i32 s2, 0x218
	s_or_b64 s[0:1], s[0:1], vcc
	v_mad_u32_u24 v0, v72, s2, v73
	s_xor_b64 s[0:1], s[0:1], -1
	ds_write_b64 v0, v[18:19]
	s_waitcnt lgkmcnt(0)
	s_barrier
	s_and_saveexec_b64 s[2:3], s[0:1]
	s_cbranch_execz .LBB186_103
; %bb.102:
	ds_read2_b64 v[0:3], v73 offset1:67
	ds_read2_b64 v[4:7], v73 offset0:134 offset1:201
	v_lshlrev_b64 v[8:9], 3, v[16:17]
	v_mov_b32_e32 v10, s20
	v_add_co_u32_e32 v8, vcc, s7, v8
	s_waitcnt lgkmcnt(1)
	v_pk_add_f32 v[0:1], v[2:3], v[0:1]
	s_waitcnt lgkmcnt(0)
	v_pk_add_f32 v[0:1], v[0:1], v[4:5]
	v_addc_co_u32_e32 v9, vcc, v10, v9, vcc
	v_pk_add_f32 v[0:1], v[0:1], v[6:7]
	global_store_dwordx2 v[8:9], v[0:1], off
.LBB186_103:
	s_endpgm
	.section	.rodata,"a",@progbits
	.p2align	6, 0x0
	.amdhsa_kernel _ZL26rocblas_hemvn_kernel_lowerILb0ELi64ELi4ELi33ELi32ELi16El19rocblas_complex_numIfEPKPKS1_PS1_EviT6_lT7_lT5_lS8_lS9_lS7_lT8_i
		.amdhsa_group_segment_fixed_size 9600
		.amdhsa_private_segment_fixed_size 0
		.amdhsa_kernarg_size 376
		.amdhsa_user_sgpr_count 6
		.amdhsa_user_sgpr_private_segment_buffer 1
		.amdhsa_user_sgpr_dispatch_ptr 0
		.amdhsa_user_sgpr_queue_ptr 0
		.amdhsa_user_sgpr_kernarg_segment_ptr 1
		.amdhsa_user_sgpr_dispatch_id 0
		.amdhsa_user_sgpr_flat_scratch_init 0
		.amdhsa_user_sgpr_kernarg_preload_length 0
		.amdhsa_user_sgpr_kernarg_preload_offset 0
		.amdhsa_user_sgpr_private_segment_size 0
		.amdhsa_uses_dynamic_stack 0
		.amdhsa_system_sgpr_private_segment_wavefront_offset 0
		.amdhsa_system_sgpr_workgroup_id_x 1
		.amdhsa_system_sgpr_workgroup_id_y 0
		.amdhsa_system_sgpr_workgroup_id_z 1
		.amdhsa_system_sgpr_workgroup_info 0
		.amdhsa_system_vgpr_workitem_id 1
		.amdhsa_next_free_vgpr 120
		.amdhsa_next_free_sgpr 46
		.amdhsa_accum_offset 120
		.amdhsa_reserve_vcc 1
		.amdhsa_reserve_flat_scratch 0
		.amdhsa_float_round_mode_32 0
		.amdhsa_float_round_mode_16_64 0
		.amdhsa_float_denorm_mode_32 3
		.amdhsa_float_denorm_mode_16_64 3
		.amdhsa_dx10_clamp 1
		.amdhsa_ieee_mode 1
		.amdhsa_fp16_overflow 0
		.amdhsa_tg_split 0
		.amdhsa_exception_fp_ieee_invalid_op 0
		.amdhsa_exception_fp_denorm_src 0
		.amdhsa_exception_fp_ieee_div_zero 0
		.amdhsa_exception_fp_ieee_overflow 0
		.amdhsa_exception_fp_ieee_underflow 0
		.amdhsa_exception_fp_ieee_inexact 0
		.amdhsa_exception_int_div_zero 0
	.end_amdhsa_kernel
	.section	.text._ZL26rocblas_hemvn_kernel_lowerILb0ELi64ELi4ELi33ELi32ELi16El19rocblas_complex_numIfEPKPKS1_PS1_EviT6_lT7_lT5_lS8_lS9_lS7_lT8_i,"axG",@progbits,_ZL26rocblas_hemvn_kernel_lowerILb0ELi64ELi4ELi33ELi32ELi16El19rocblas_complex_numIfEPKPKS1_PS1_EviT6_lT7_lT5_lS8_lS9_lS7_lT8_i,comdat
.Lfunc_end186:
	.size	_ZL26rocblas_hemvn_kernel_lowerILb0ELi64ELi4ELi33ELi32ELi16El19rocblas_complex_numIfEPKPKS1_PS1_EviT6_lT7_lT5_lS8_lS9_lS7_lT8_i, .Lfunc_end186-_ZL26rocblas_hemvn_kernel_lowerILb0ELi64ELi4ELi33ELi32ELi16El19rocblas_complex_numIfEPKPKS1_PS1_EviT6_lT7_lT5_lS8_lS9_lS7_lT8_i
                                        ; -- End function
	.section	.AMDGPU.csdata,"",@progbits
; Kernel info:
; codeLenInByte = 7808
; NumSgprs: 50
; NumVgprs: 120
; NumAgprs: 0
; TotalNumVgprs: 120
; ScratchSize: 0
; MemoryBound: 1
; FloatMode: 240
; IeeeMode: 1
; LDSByteSize: 9600 bytes/workgroup (compile time only)
; SGPRBlocks: 6
; VGPRBlocks: 14
; NumSGPRsForWavesPerEU: 50
; NumVGPRsForWavesPerEU: 120
; AccumOffset: 120
; Occupancy: 4
; WaveLimiterHint : 0
; COMPUTE_PGM_RSRC2:SCRATCH_EN: 0
; COMPUTE_PGM_RSRC2:USER_SGPR: 6
; COMPUTE_PGM_RSRC2:TRAP_HANDLER: 0
; COMPUTE_PGM_RSRC2:TGID_X_EN: 1
; COMPUTE_PGM_RSRC2:TGID_Y_EN: 0
; COMPUTE_PGM_RSRC2:TGID_Z_EN: 1
; COMPUTE_PGM_RSRC2:TIDIG_COMP_CNT: 1
; COMPUTE_PGM_RSRC3_GFX90A:ACCUM_OFFSET: 29
; COMPUTE_PGM_RSRC3_GFX90A:TG_SPLIT: 0
	.section	.text._ZL26rocblas_hemvn_kernel_lowerILb0ELi64ELi4ELi33ELi32ELi16Ei19rocblas_complex_numIfEPKPKS1_PS1_EviT6_lT7_lT5_lS8_lS9_lS7_lT8_i,"axG",@progbits,_ZL26rocblas_hemvn_kernel_lowerILb0ELi64ELi4ELi33ELi32ELi16Ei19rocblas_complex_numIfEPKPKS1_PS1_EviT6_lT7_lT5_lS8_lS9_lS7_lT8_i,comdat
	.globl	_ZL26rocblas_hemvn_kernel_lowerILb0ELi64ELi4ELi33ELi32ELi16Ei19rocblas_complex_numIfEPKPKS1_PS1_EviT6_lT7_lT5_lS8_lS9_lS7_lT8_i ; -- Begin function _ZL26rocblas_hemvn_kernel_lowerILb0ELi64ELi4ELi33ELi32ELi16Ei19rocblas_complex_numIfEPKPKS1_PS1_EviT6_lT7_lT5_lS8_lS9_lS7_lT8_i
	.p2align	8
	.type	_ZL26rocblas_hemvn_kernel_lowerILb0ELi64ELi4ELi33ELi32ELi16Ei19rocblas_complex_numIfEPKPKS1_PS1_EviT6_lT7_lT5_lS8_lS9_lS7_lT8_i,@function
_ZL26rocblas_hemvn_kernel_lowerILb0ELi64ELi4ELi33ELi32ELi16Ei19rocblas_complex_numIfEPKPKS1_PS1_EviT6_lT7_lT5_lS8_lS9_lS7_lT8_i: ; @_ZL26rocblas_hemvn_kernel_lowerILb0ELi64ELi4ELi33ELi32ELi16Ei19rocblas_complex_numIfEPKPKS1_PS1_EviT6_lT7_lT5_lS8_lS9_lS7_lT8_i
; %bb.0:
	s_load_dwordx2 s[0:1], s[4:5], 0x84
	s_add_u32 s2, s4, 0x78
	s_mov_b32 s22, s7
	s_addc_u32 s3, s5, 0
	s_waitcnt lgkmcnt(0)
	s_lshr_b32 s7, s0, 16
	s_and_b32 s0, s0, 0xffff
	s_and_b32 s1, s1, 0xffff
	s_mul_i32 s0, s7, s0
	s_mul_i32 s0, s0, s1
	s_cmpk_lg_i32 s0, 0x100
	s_cbranch_scc1 .LBB187_103
; %bb.1:
	s_load_dwordx2 s[0:1], s[4:5], 0x4
	s_waitcnt lgkmcnt(0)
	s_or_b32 s0, s0, s1
	s_bitset0_b32 s0, 31
	s_cmp_lg_u32 s0, 0
	s_cselect_b64 s[10:11], -1, 0
	s_and_b64 vcc, exec, s[10:11]
	s_cbranch_vccnz .LBB187_4
; %bb.2:
	s_load_dwordx2 s[0:1], s[4:5], 0x58
	s_mov_b64 s[12:13], 0
	s_waitcnt lgkmcnt(0)
	v_cmp_eq_f32_e64 s[8:9], s0, 1.0
	v_cmp_eq_f32_e64 s[0:1], s1, 0
	s_and_b64 s[0:1], s[8:9], s[0:1]
	s_andn2_b64 vcc, exec, s[0:1]
	s_mov_b64 s[0:1], 0
                                        ; implicit-def: $sgpr8_sgpr9
	s_cbranch_vccz .LBB187_5
; %bb.3:
	s_mov_b64 s[0:1], -1
	s_mov_b64 s[8:9], 0
	s_branch .LBB187_5
.LBB187_4:
	s_mov_b64 s[12:13], -1
	s_mov_b64 s[0:1], 0
                                        ; implicit-def: $sgpr8_sgpr9
.LBB187_5:
	s_and_b64 vcc, exec, s[12:13]
	s_cbranch_vccz .LBB187_7
; %bb.6:
	s_load_dwordx4 s[12:15], s[4:5], 0x18
	s_mov_b32 s23, 0
	s_lshl_b64 s[0:1], s[22:23], 3
	s_waitcnt lgkmcnt(0)
	s_add_u32 s0, s12, s0
	s_addc_u32 s1, s13, s1
	s_load_dwordx2 s[0:1], s[0:1], 0x0
	s_lshl_b64 s[8:9], s[14:15], 3
	s_waitcnt lgkmcnt(0)
	s_add_u32 s8, s0, s8
	s_addc_u32 s9, s1, s9
	s_mov_b64 s[0:1], -1
.LBB187_7:
	s_andn2_b64 vcc, exec, s[0:1]
	s_cbranch_vccnz .LBB187_103
; %bb.8:
	v_cndmask_b32_e64 v1, 0, 1, s[10:11]
	v_cmp_ne_u32_e64 s[0:1], 1, v1
	s_andn2_b64 vcc, exec, s[10:11]
	s_mov_b64 s[10:11], 0
	s_cbranch_vccnz .LBB187_10
; %bb.9:
	s_load_dwordx4 s[12:15], s[4:5], 0x38
	s_mov_b32 s23, 0
	s_lshl_b64 s[10:11], s[22:23], 3
	s_waitcnt lgkmcnt(0)
	s_add_u32 s10, s12, s10
	s_addc_u32 s11, s13, s11
	s_load_dwordx2 s[10:11], s[10:11], 0x0
	s_lshl_b64 s[12:13], s[14:15], 3
	s_waitcnt lgkmcnt(0)
	s_add_u32 s10, s10, s12
	s_addc_u32 s11, s11, s13
.LBB187_10:
	s_and_b64 vcc, exec, s[0:1]
	s_cbranch_vccnz .LBB187_103
; %bb.11:
	s_load_dword s33, s[2:3], 0x0
	s_load_dword s23, s[4:5], 0x0
	;; [unrolled: 1-line block ×3, first 2 shown]
	v_and_b32_e32 v26, 0x3ff, v0
	s_lshl_b32 s28, s6, 6
	v_add_u32_e32 v16, s28, v26
	s_waitcnt lgkmcnt(0)
	s_ashr_i32 s42, s23, 31
	s_lshr_b32 s1, s42, 26
	v_bfe_u32 v17, v0, 10, 10
	s_add_i32 s1, s23, s1
	v_mul_lo_u32 v0, v16, s7
	s_andn2_b32 s1, s1, 63
	v_ashrrev_i32_e32 v1, 31, v0
	s_add_i32 s0, s33, -1
	s_sub_i32 s1, s23, s1
	v_lshlrev_b64 v[0:1], 3, v[0:1]
	s_cmp_eq_u32 s6, s0
	v_mov_b32_e32 v2, s11
	v_add_co_u32_e32 v20, vcc, s10, v0
	s_cselect_b32 s26, s1, 0
	v_addc_co_u32_e32 v21, vcc, v2, v1, vcc
	v_cmp_ne_u32_e64 s[0:1], 0, v17
	v_cmp_eq_u32_e64 s[2:3], 0, v17
	s_and_saveexec_b64 s[10:11], s[2:3]
	s_cbranch_execz .LBB187_16
; %bb.12:
	s_cmp_lg_u32 s26, 0
	s_cselect_b64 s[12:13], -1, 0
	v_cmp_le_i32_e32 vcc, s26, v26
	v_mov_b32_e32 v0, 0x2380
	s_and_b64 s[12:13], s[12:13], vcc
	v_lshl_add_u32 v0, v26, 3, v0
	s_and_saveexec_b64 s[14:15], s[12:13]
	s_xor_b64 s[12:13], exec, s[14:15]
	s_cbranch_execz .LBB187_14
; %bb.13:
	v_mov_b32_e32 v2, 0
	v_mov_b32_e32 v3, v2
	ds_write_b64 v0, v[2:3]
                                        ; implicit-def: $vgpr0
.LBB187_14:
	s_andn2_saveexec_b64 s[12:13], s[12:13]
	s_cbranch_execz .LBB187_16
; %bb.15:
	flat_load_dwordx2 v[2:3], v[20:21]
	s_waitcnt vmcnt(0) lgkmcnt(0)
	ds_write_b64 v0, v[2:3]
.LBB187_16:
	s_or_b64 exec, exec, s[10:11]
	s_load_dword s24, s[4:5], 0x28
	s_ashr_i32 s29, s28, 31
	v_lshl_add_u32 v27, v17, 6, v26
	s_lshl_b64 s[10:11], s[28:29], 3
	v_and_b32_e32 v0, 31, v26
	v_lshrrev_b32_e32 v8, 5, v27
	s_add_u32 s10, s8, s10
	s_addc_u32 s11, s9, s11
	s_waitcnt lgkmcnt(0)
	v_mad_u64_u32 v[2:3], s[8:9], v8, s24, v[0:1]
	s_mul_i32 s8, s28, s24
	s_ashr_i32 s9, s8, 31
	s_lshl_b64 s[30:31], s[8:9], 3
	v_ashrrev_i32_e32 v3, 31, v2
	s_add_u32 s8, s30, s10
	v_lshlrev_b64 v[22:23], 3, v[2:3]
	s_addc_u32 s9, s31, s11
	v_mov_b32_e32 v1, s9
	v_add_co_u32_e32 v2, vcc, s8, v22
	s_cmp_lg_u32 s26, 0
	v_addc_co_u32_e32 v3, vcc, v1, v23, vcc
	s_cselect_b64 s[34:35], -1, 0
	s_cmp_eq_u32 s26, 0
	s_cselect_b64 s[36:37], -1, 0
	s_and_b64 vcc, exec, s[34:35]
	s_cbranch_vccnz .LBB187_18
; %bb.17:
	flat_load_dwordx2 v[4:5], v[2:3]
	s_lshl_b32 s8, s24, 3
	s_ashr_i32 s9, s8, 31
	v_mul_u32_u24_e32 v1, 33, v8
	s_lshl_b64 s[8:9], s[8:9], 3
	v_add_lshl_u32 v1, v1, v0, 3
	v_mov_b32_e32 v7, s9
	v_add_co_u32_e32 v6, vcc, s8, v2
	v_addc_co_u32_e32 v7, vcc, v3, v7, vcc
	s_ashr_i32 s25, s24, 31
	s_lshl_b64 s[8:9], s[24:25], 6
	v_mov_b32_e32 v9, s9
	s_waitcnt vmcnt(0) lgkmcnt(0)
	ds_write_b64 v1, v[4:5]
	flat_load_dwordx2 v[4:5], v[6:7]
	v_add_co_u32_e32 v6, vcc, s8, v6
	v_addc_co_u32_e32 v7, vcc, v7, v9, vcc
	s_waitcnt vmcnt(0) lgkmcnt(0)
	ds_write_b64 v1, v[4:5] offset:2112
	flat_load_dwordx2 v[4:5], v[6:7]
	v_add_co_u32_e32 v6, vcc, s8, v6
	v_addc_co_u32_e32 v7, vcc, v7, v9, vcc
	s_waitcnt vmcnt(0) lgkmcnt(0)
	ds_write_b64 v1, v[4:5] offset:4224
	flat_load_dwordx2 v[4:5], v[6:7]
	s_waitcnt vmcnt(0) lgkmcnt(0)
	ds_write_b64 v1, v[4:5] offset:6336
	s_cbranch_execz .LBB187_19
	s_branch .LBB187_34
.LBB187_18:
.LBB187_19:
	v_lshlrev_b32_e32 v1, 3, v0
	v_sub_co_u32_e32 v4, vcc, v2, v1
	s_ashr_i32 s27, s26, 31
	v_subbrev_co_u32_e32 v5, vcc, 0, v3, vcc
	s_lshl_b64 s[10:11], s[26:27], 3
	v_mov_b32_e32 v6, s11
	v_add_co_u32_e32 v4, vcc, s10, v4
	v_addc_co_u32_e32 v5, vcc, v5, v6, vcc
	v_add_co_u32_e32 v4, vcc, -8, v4
	v_addc_co_u32_e32 v5, vcc, -1, v5, vcc
	v_cmp_gt_i32_e32 vcc, s26, v0
	v_mov_b32_e32 v6, 0
	v_cndmask_b32_e32 v5, v5, v3, vcc
	v_cndmask_b32_e32 v4, v4, v2, vcc
	v_cmp_gt_i32_e64 s[8:9], s26, v8
	v_mov_b32_e32 v7, v6
	s_and_saveexec_b64 s[12:13], s[8:9]
	s_cbranch_execz .LBB187_21
; %bb.20:
	flat_load_dwordx2 v[6:7], v[4:5]
.LBB187_21:
	s_or_b64 exec, exec, s[12:13]
	v_mul_u32_u24_e32 v9, 33, v8
	v_add_lshl_u32 v9, v9, v0, 3
	s_waitcnt vmcnt(0) lgkmcnt(0)
	ds_write_b64 v9, v[6:7]
	v_add_u32_e32 v6, 8, v8
	v_cmp_le_i32_e64 s[8:9], s26, v6
	s_and_saveexec_b64 s[12:13], s[8:9]
	s_xor_b64 s[8:9], exec, s[12:13]
	s_cbranch_execz .LBB187_23
; %bb.22:
	v_mul_u32_u24_e32 v6, 33, v6
	v_add_lshl_u32 v10, v6, v0, 3
	v_mov_b32_e32 v6, 0
	v_mov_b32_e32 v7, v6
	ds_write_b64 v10, v[6:7]
.LBB187_23:
	s_andn2_saveexec_b64 s[12:13], s[8:9]
	s_cbranch_execz .LBB187_25
; %bb.24:
	s_lshl_b32 s8, s24, 3
	s_ashr_i32 s9, s8, 31
	s_lshl_b64 s[8:9], s[8:9], 3
	v_mov_b32_e32 v7, s9
	v_add_co_u32_e64 v6, s[8:9], s8, v4
	v_addc_co_u32_e64 v7, s[8:9], v5, v7, s[8:9]
	flat_load_dwordx2 v[6:7], v[6:7]
	s_waitcnt vmcnt(0) lgkmcnt(0)
	ds_write_b64 v9, v[6:7] offset:2112
.LBB187_25:
	s_or_b64 exec, exec, s[12:13]
	v_add_u32_e32 v6, 16, v8
	v_cmp_le_i32_e64 s[8:9], s26, v6
	s_and_saveexec_b64 s[12:13], s[8:9]
	s_xor_b64 s[8:9], exec, s[12:13]
	s_cbranch_execz .LBB187_27
; %bb.26:
	v_mov_b32_e32 v6, 0
	v_mov_b32_e32 v7, v6
	ds_write_b64 v9, v[6:7] offset:4224
.LBB187_27:
	s_andn2_saveexec_b64 s[12:13], s[8:9]
	s_cbranch_execz .LBB187_29
; %bb.28:
	s_lshl_b32 s8, s24, 4
	s_ashr_i32 s9, s8, 31
	s_lshl_b64 s[8:9], s[8:9], 3
	v_mov_b32_e32 v7, s9
	v_add_co_u32_e64 v6, s[8:9], s8, v4
	v_addc_co_u32_e64 v7, s[8:9], v5, v7, s[8:9]
	flat_load_dwordx2 v[6:7], v[6:7]
	s_waitcnt vmcnt(0) lgkmcnt(0)
	ds_write_b64 v9, v[6:7] offset:4224
.LBB187_29:
	s_or_b64 exec, exec, s[12:13]
	v_add_u32_e32 v6, 24, v8
	v_cmp_le_i32_e64 s[8:9], s26, v6
	s_and_saveexec_b64 s[12:13], s[8:9]
	s_xor_b64 s[8:9], exec, s[12:13]
	s_cbranch_execz .LBB187_31
; %bb.30:
	v_mov_b32_e32 v6, 0
	v_mov_b32_e32 v7, v6
	ds_write_b64 v9, v[6:7] offset:6336
                                        ; implicit-def: $vgpr9
.LBB187_31:
	s_andn2_saveexec_b64 s[12:13], s[8:9]
	s_cbranch_execz .LBB187_33
; %bb.32:
	s_mul_i32 s8, s24, 24
	s_ashr_i32 s9, s8, 31
	s_lshl_b64 s[8:9], s[8:9], 3
	v_mov_b32_e32 v7, s9
	v_add_co_u32_e64 v6, s[8:9], s8, v4
	v_addc_co_u32_e64 v7, s[8:9], v5, v7, s[8:9]
	flat_load_dwordx2 v[6:7], v[6:7]
	s_waitcnt vmcnt(0) lgkmcnt(0)
	ds_write_b64 v9, v[6:7] offset:6336
.LBB187_33:
	s_or_b64 exec, exec, s[12:13]
	v_add_co_u32_e64 v1, s[8:9], v4, v1
	v_addc_co_u32_e64 v4, s[8:9], 0, v5, s[8:9]
	v_mov_b32_e32 v5, s11
	v_subrev_co_u32_e64 v1, s[8:9], s10, v1
	v_subb_co_u32_e64 v4, s[8:9], v4, v5, s[8:9]
	v_add_co_u32_e64 v1, s[8:9], 8, v1
	v_addc_co_u32_e64 v4, s[8:9], 0, v4, s[8:9]
	v_cndmask_b32_e32 v3, v4, v3, vcc
	v_cndmask_b32_e32 v2, v1, v2, vcc
.LBB187_34:
	v_lshlrev_b32_e32 v1, 2, v8
	v_mul_u32_u24_e32 v28, 33, v0
	v_cmp_lt_u32_e64 s[8:9], v1, v0
	v_add_lshl_u32 v12, v1, v28, 3
	s_waitcnt lgkmcnt(0)
	s_barrier
	s_and_saveexec_b64 s[10:11], s[8:9]
	s_cbranch_execz .LBB187_36
; %bb.35:
	v_mul_u32_u24_e32 v4, 0x84, v8
	v_add_lshl_u32 v4, v4, v0, 3
	ds_read_b64 v[4:5], v4
	s_waitcnt lgkmcnt(0)
	ds_write_b64 v12, v[4:5]
.LBB187_36:
	s_or_b64 exec, exec, s[10:11]
	v_or_b32_e32 v4, 1, v1
	v_cmp_lt_u32_e64 s[10:11], v4, v0
	s_and_saveexec_b64 s[12:13], s[10:11]
	s_cbranch_execz .LBB187_38
; %bb.37:
	v_mul_u32_u24_e32 v4, 33, v4
	v_add_lshl_u32 v4, v4, v0, 3
	ds_read_b64 v[4:5], v4
	s_waitcnt lgkmcnt(0)
	ds_write_b64 v12, v[4:5] offset:8
.LBB187_38:
	s_or_b64 exec, exec, s[12:13]
	v_or_b32_e32 v4, 2, v1
	v_cmp_lt_u32_e64 s[12:13], v4, v0
	s_and_saveexec_b64 s[14:15], s[12:13]
	s_cbranch_execz .LBB187_40
; %bb.39:
	v_mul_u32_u24_e32 v4, 33, v4
	v_add_lshl_u32 v4, v4, v0, 3
	ds_read_b64 v[4:5], v4
	s_waitcnt lgkmcnt(0)
	ds_write_b64 v12, v[4:5] offset:16
.LBB187_40:
	s_or_b64 exec, exec, s[14:15]
	v_or_b32_e32 v4, 3, v1
	v_cmp_lt_u32_e64 s[14:15], v4, v0
	v_mad_u32_u24 v4, v4, 33, v0
	v_lshlrev_b32_e32 v9, 3, v4
	s_and_saveexec_b64 s[16:17], s[14:15]
	s_cbranch_execz .LBB187_42
; %bb.41:
	ds_read_b64 v[4:5], v9
	s_waitcnt lgkmcnt(0)
	ds_write_b64 v12, v[4:5] offset:24
.LBB187_42:
	s_or_b64 exec, exec, s[16:17]
	v_mul_u32_u24_e32 v4, 0x84, v8
	v_add_lshl_u32 v11, v4, v0, 3
	s_waitcnt lgkmcnt(0)
	s_barrier
	v_lshlrev_b32_e32 v13, 3, v1
	v_add_u32_e32 v10, 0xfffffdf0, v9
	ds_read_b64 v[14:15], v11
	ds_read_b128 v[4:7], v13 offset:9088
	ds_read2_b64 v[30:33], v10 offset1:33
	ds_read_b64 v[18:19], v9
	ds_read_b128 v[34:37], v13 offset:9104
	s_mov_b32 s16, 0
	s_mov_b32 s17, s16
	s_waitcnt lgkmcnt(3)
	v_pk_mul_f32 v[24:25], v[4:5], v[14:15] op_sel:[0,1]
	v_pk_fma_f32 v[38:39], v[4:5], v[14:15], v[24:25] op_sel:[0,0,1] op_sel_hi:[1,1,0] neg_lo:[0,0,1] neg_hi:[0,0,1]
	v_pk_fma_f32 v[4:5], v[4:5], v[14:15], v[24:25] op_sel:[0,0,1] op_sel_hi:[1,0,0]
	s_waitcnt lgkmcnt(2)
	v_pk_mul_f32 v[14:15], v[6:7], v[30:31] op_sel:[0,1]
	v_pk_fma_f32 v[24:25], v[6:7], v[30:31], v[14:15] op_sel:[0,0,1] op_sel_hi:[1,1,0] neg_lo:[0,0,1] neg_hi:[0,0,1]
	v_pk_fma_f32 v[6:7], v[6:7], v[30:31], v[14:15] op_sel:[0,0,1] op_sel_hi:[1,0,0]
	v_mov_b32_e32 v39, v5
	v_mov_b32_e32 v25, v7
	s_waitcnt lgkmcnt(0)
	v_pk_mul_f32 v[6:7], v[34:35], v[32:33] op_sel:[0,1]
	v_pk_add_f32 v[4:5], v[38:39], 0 op_sel_hi:[1,0]
	v_pk_fma_f32 v[14:15], v[34:35], v[32:33], v[6:7] op_sel:[0,0,1] op_sel_hi:[1,1,0] neg_lo:[0,0,1] neg_hi:[0,0,1]
	v_pk_fma_f32 v[6:7], v[34:35], v[32:33], v[6:7] op_sel:[0,0,1] op_sel_hi:[1,0,0]
	v_pk_add_f32 v[4:5], v[4:5], v[24:25]
	v_mov_b32_e32 v15, v7
	v_pk_mul_f32 v[6:7], v[36:37], v[18:19] op_sel:[0,1]
	v_pk_add_f32 v[4:5], v[4:5], v[14:15]
	v_pk_fma_f32 v[14:15], v[36:37], v[18:19], v[6:7] op_sel:[0,0,1] op_sel_hi:[1,1,0] neg_lo:[0,0,1] neg_hi:[0,0,1]
	v_pk_fma_f32 v[6:7], v[36:37], v[18:19], v[6:7] op_sel:[0,0,1] op_sel_hi:[1,0,0]
	v_mov_b32_e32 v15, v7
	v_add_lshl_u32 v29, v8, v28, 3
	v_pk_add_f32 v[4:5], v[4:5], v[14:15]
	v_cmp_gt_u32_e64 s[20:21], 32, v27
	v_pk_mov_b32 v[18:19], s[16:17], s[16:17] op_sel:[0,1]
	s_barrier
	ds_write_b64 v29, v[4:5]
	s_waitcnt lgkmcnt(0)
	s_barrier
	s_and_saveexec_b64 s[16:17], s[20:21]
	s_cbranch_execz .LBB187_44
; %bb.43:
	v_lshlrev_b32_e32 v1, 3, v28
	ds_read2_b64 v[4:7], v1 offset1:7
	ds_read2_b64 v[30:33], v1 offset0:1 offset1:2
	ds_read2_b64 v[34:37], v1 offset0:3 offset1:4
	s_waitcnt lgkmcnt(1)
	v_add_f32_e32 v4, v30, v4
	v_add_f32_e32 v5, v31, v5
	;; [unrolled: 1-line block ×4, first 2 shown]
	ds_read2_b64 v[30:33], v1 offset0:5 offset1:6
	s_waitcnt lgkmcnt(1)
	v_add_f32_e32 v1, v4, v34
	v_add_f32_e32 v4, v5, v35
	;; [unrolled: 1-line block ×4, first 2 shown]
	s_waitcnt lgkmcnt(0)
	v_add_f32_e32 v1, v1, v30
	v_add_f32_e32 v5, v4, v31
	;; [unrolled: 1-line block ×4, first 2 shown]
	v_pk_add_f32 v[18:19], v[4:5], v[6:7]
.LBB187_44:
	s_or_b64 exec, exec, s[16:17]
	s_lshl_b32 s16, s24, 5
	s_ashr_i32 s17, s16, 31
	s_lshl_b64 s[38:39], s[16:17], 3
	v_mov_b32_e32 v1, s39
	v_add_co_u32_e32 v4, vcc, s38, v2
	v_addc_co_u32_e32 v5, vcc, v3, v1, vcc
	v_add_co_u32_e32 v2, vcc, 0x100, v4
	v_cndmask_b32_e64 v1, 0, 1, s[36:37]
	s_mov_b64 s[18:19], vcc
	v_cmp_ne_u32_e64 s[16:17], 1, v1
	s_andn2_b64 vcc, exec, s[36:37]
	v_addc_co_u32_e64 v1, s[18:19], 0, v5, s[18:19]
	s_barrier
	s_cbranch_vccnz .LBB187_46
; %bb.45:
	flat_load_dwordx2 v[6:7], v[4:5] offset:256
	s_lshl_b32 s18, s24, 3
	s_ashr_i32 s19, s18, 31
	v_mul_u32_u24_e32 v3, 33, v8
	s_lshl_b64 s[18:19], s[18:19], 3
	v_add_lshl_u32 v3, v3, v0, 3
	v_mov_b32_e32 v14, s19
	v_add_co_u32_e32 v4, vcc, s18, v4
	v_addc_co_u32_e32 v5, vcc, v5, v14, vcc
	s_ashr_i32 s25, s24, 31
	s_lshl_b64 s[18:19], s[24:25], 6
	v_mov_b32_e32 v14, s19
	s_waitcnt vmcnt(0) lgkmcnt(0)
	ds_write_b64 v3, v[6:7]
	flat_load_dwordx2 v[6:7], v[4:5] offset:256
	v_add_co_u32_e32 v4, vcc, s18, v4
	v_addc_co_u32_e32 v5, vcc, v5, v14, vcc
	s_waitcnt vmcnt(0) lgkmcnt(0)
	ds_write_b64 v3, v[6:7] offset:2112
	flat_load_dwordx2 v[6:7], v[4:5] offset:256
	v_add_co_u32_e32 v4, vcc, s18, v4
	v_addc_co_u32_e32 v5, vcc, v5, v14, vcc
	s_waitcnt vmcnt(0) lgkmcnt(0)
	ds_write_b64 v3, v[6:7] offset:4224
	flat_load_dwordx2 v[4:5], v[4:5] offset:256
	s_waitcnt vmcnt(0) lgkmcnt(0)
	ds_write_b64 v3, v[4:5] offset:6336
	s_cbranch_execz .LBB187_47
	s_branch .LBB187_62
.LBB187_46:
.LBB187_47:
	v_or_b32_e32 v3, 32, v0
	v_lshlrev_b32_e32 v4, 3, v3
	v_sub_co_u32_e32 v4, vcc, v2, v4
	s_ashr_i32 s27, s26, 31
	v_subbrev_co_u32_e32 v5, vcc, 0, v1, vcc
	s_lshl_b64 s[36:37], s[26:27], 3
	v_mov_b32_e32 v6, s37
	v_add_co_u32_e32 v4, vcc, s36, v4
	v_addc_co_u32_e32 v5, vcc, v5, v6, vcc
	v_add_co_u32_e32 v4, vcc, -8, v4
	v_addc_co_u32_e32 v5, vcc, -1, v5, vcc
	v_cmp_gt_i32_e64 s[18:19], s26, v3
	s_sub_i32 s25, s26, 32
	v_mov_b32_e32 v6, 0
	v_cndmask_b32_e64 v5, v5, v1, s[18:19]
	v_cndmask_b32_e64 v4, v4, v2, s[18:19]
	v_cmp_gt_i32_e32 vcc, s25, v8
	v_mov_b32_e32 v7, v6
	s_and_saveexec_b64 s[40:41], vcc
	s_cbranch_execz .LBB187_49
; %bb.48:
	flat_load_dwordx2 v[6:7], v[4:5]
.LBB187_49:
	s_or_b64 exec, exec, s[40:41]
	v_mul_u32_u24_e32 v3, 33, v8
	v_add_lshl_u32 v3, v3, v0, 3
	s_waitcnt vmcnt(0) lgkmcnt(0)
	ds_write_b64 v3, v[6:7]
	v_add_u32_e32 v6, 8, v8
	v_cmp_le_i32_e32 vcc, s25, v6
	s_and_saveexec_b64 s[40:41], vcc
	s_xor_b64 s[40:41], exec, s[40:41]
	s_cbranch_execz .LBB187_51
; %bb.50:
	v_mul_u32_u24_e32 v6, 33, v6
	v_add_lshl_u32 v14, v6, v0, 3
	v_mov_b32_e32 v6, 0
	v_mov_b32_e32 v7, v6
	ds_write_b64 v14, v[6:7]
.LBB187_51:
	s_andn2_saveexec_b64 s[40:41], s[40:41]
	s_cbranch_execz .LBB187_53
; %bb.52:
	s_lshl_b32 s44, s24, 3
	s_ashr_i32 s45, s44, 31
	s_lshl_b64 s[44:45], s[44:45], 3
	v_mov_b32_e32 v7, s45
	v_add_co_u32_e32 v6, vcc, s44, v4
	v_addc_co_u32_e32 v7, vcc, v5, v7, vcc
	flat_load_dwordx2 v[6:7], v[6:7]
	s_waitcnt vmcnt(0) lgkmcnt(0)
	ds_write_b64 v3, v[6:7] offset:2112
.LBB187_53:
	s_or_b64 exec, exec, s[40:41]
	v_add_u32_e32 v6, 16, v8
	v_cmp_le_i32_e32 vcc, s25, v6
	s_and_saveexec_b64 s[40:41], vcc
	s_xor_b64 s[40:41], exec, s[40:41]
	s_cbranch_execz .LBB187_55
; %bb.54:
	v_mul_u32_u24_e32 v6, 33, v6
	v_add_lshl_u32 v14, v6, v0, 3
	v_mov_b32_e32 v6, 0
	v_mov_b32_e32 v7, v6
	ds_write_b64 v14, v[6:7]
.LBB187_55:
	s_andn2_saveexec_b64 s[40:41], s[40:41]
	s_cbranch_execz .LBB187_57
; %bb.56:
	s_lshl_b32 s44, s24, 4
	s_ashr_i32 s45, s44, 31
	s_lshl_b64 s[44:45], s[44:45], 3
	v_mov_b32_e32 v7, s45
	v_add_co_u32_e32 v6, vcc, s44, v4
	v_addc_co_u32_e32 v7, vcc, v5, v7, vcc
	flat_load_dwordx2 v[6:7], v[6:7]
	s_waitcnt vmcnt(0) lgkmcnt(0)
	ds_write_b64 v3, v[6:7] offset:4224
.LBB187_57:
	s_or_b64 exec, exec, s[40:41]
	v_add_u32_e32 v6, 24, v8
	v_cmp_le_i32_e32 vcc, s25, v6
	s_and_saveexec_b64 s[40:41], vcc
	s_xor_b64 s[40:41], exec, s[40:41]
	s_cbranch_execz .LBB187_59
; %bb.58:
	v_mov_b32_e32 v6, 0
	v_mov_b32_e32 v7, v6
	ds_write_b64 v3, v[6:7] offset:6336
                                        ; implicit-def: $vgpr3
.LBB187_59:
	s_andn2_saveexec_b64 s[40:41], s[40:41]
	s_cbranch_execz .LBB187_61
; %bb.60:
	s_mul_i32 s44, s24, 24
	s_ashr_i32 s45, s44, 31
	s_lshl_b64 s[44:45], s[44:45], 3
	v_mov_b32_e32 v7, s45
	v_add_co_u32_e32 v6, vcc, s44, v4
	v_addc_co_u32_e32 v7, vcc, v5, v7, vcc
	flat_load_dwordx2 v[6:7], v[6:7]
	s_waitcnt vmcnt(0) lgkmcnt(0)
	ds_write_b64 v3, v[6:7] offset:6336
.LBB187_61:
	s_or_b64 exec, exec, s[40:41]
	v_lshlrev_b32_e32 v3, 3, v0
	v_add_co_u32_e32 v3, vcc, v4, v3
	v_addc_co_u32_e32 v4, vcc, 0, v5, vcc
	v_mov_b32_e32 v5, s37
	v_subrev_co_u32_e32 v3, vcc, s36, v3
	v_subb_co_u32_e32 v4, vcc, v4, v5, vcc
	v_add_co_u32_e32 v3, vcc, 0x108, v3
	v_addc_co_u32_e32 v4, vcc, 0, v4, vcc
	v_cndmask_b32_e64 v1, v4, v1, s[18:19]
	v_cndmask_b32_e64 v2, v3, v2, s[18:19]
.LBB187_62:
	v_add_u32_e32 v6, 0x2380, v13
	s_waitcnt lgkmcnt(0)
	s_barrier
	s_and_saveexec_b64 s[18:19], s[8:9]
	s_cbranch_execnz .LBB187_71
; %bb.63:
	s_or_b64 exec, exec, s[18:19]
	s_and_saveexec_b64 s[8:9], s[10:11]
	s_cbranch_execnz .LBB187_72
.LBB187_64:
	s_or_b64 exec, exec, s[8:9]
	s_and_saveexec_b64 s[8:9], s[12:13]
	s_cbranch_execnz .LBB187_73
.LBB187_65:
	s_or_b64 exec, exec, s[8:9]
	s_and_saveexec_b64 s[8:9], s[14:15]
	s_cbranch_execz .LBB187_67
.LBB187_66:
	ds_read_b64 v[4:5], v9
	s_waitcnt lgkmcnt(0)
	ds_write_b64 v12, v[4:5] offset:24
.LBB187_67:
	s_or_b64 exec, exec, s[8:9]
	s_waitcnt lgkmcnt(0)
	s_barrier
	ds_read_b64 v[4:5], v11
	ds_read_b128 v[30:33], v6 offset:256
	ds_read2_b64 v[34:37], v10 offset1:33
	ds_read_b64 v[10:11], v9
	ds_read_b128 v[38:41], v6 offset:272
	v_cmp_eq_u32_e64 s[8:9], 1, v8
	s_waitcnt lgkmcnt(3)
	v_pk_mul_f32 v[14:15], v[30:31], v[4:5] op_sel:[0,1]
	v_pk_fma_f32 v[24:25], v[30:31], v[4:5], v[14:15] op_sel:[0,0,1] op_sel_hi:[1,1,0] neg_lo:[0,0,1] neg_hi:[0,0,1]
	v_pk_fma_f32 v[4:5], v[30:31], v[4:5], v[14:15] op_sel:[0,0,1] op_sel_hi:[1,0,0]
	v_mov_b32_e32 v25, v5
	s_waitcnt lgkmcnt(2)
	v_pk_mul_f32 v[14:15], v[32:33], v[34:35] op_sel:[0,1]
	v_pk_add_f32 v[4:5], v[24:25], 0 op_sel_hi:[1,0]
	v_pk_fma_f32 v[24:25], v[32:33], v[34:35], v[14:15] op_sel:[0,0,1] op_sel_hi:[1,1,0] neg_lo:[0,0,1] neg_hi:[0,0,1]
	v_pk_fma_f32 v[14:15], v[32:33], v[34:35], v[14:15] op_sel:[0,0,1] op_sel_hi:[1,0,0]
	v_mov_b32_e32 v25, v15
	s_waitcnt lgkmcnt(0)
	v_pk_mul_f32 v[14:15], v[38:39], v[36:37] op_sel:[0,1]
	v_pk_add_f32 v[4:5], v[4:5], v[24:25]
	v_pk_fma_f32 v[24:25], v[38:39], v[36:37], v[14:15] op_sel:[0,0,1] op_sel_hi:[1,1,0] neg_lo:[0,0,1] neg_hi:[0,0,1]
	v_pk_fma_f32 v[14:15], v[38:39], v[36:37], v[14:15] op_sel:[0,0,1] op_sel_hi:[1,0,0]
	v_mov_b32_e32 v25, v15
	v_pk_mul_f32 v[14:15], v[40:41], v[10:11] op_sel:[0,1]
	v_pk_add_f32 v[4:5], v[4:5], v[24:25]
	v_pk_fma_f32 v[24:25], v[40:41], v[10:11], v[14:15] op_sel:[0,0,1] op_sel_hi:[1,1,0] neg_lo:[0,0,1] neg_hi:[0,0,1]
	v_pk_fma_f32 v[10:11], v[40:41], v[10:11], v[14:15] op_sel:[0,0,1] op_sel_hi:[1,0,0]
	v_mov_b32_e32 v25, v11
	v_pk_add_f32 v[4:5], v[4:5], v[24:25]
	s_barrier
	ds_write_b64 v29, v[4:5]
	s_waitcnt lgkmcnt(0)
	s_barrier
	s_and_saveexec_b64 s[10:11], s[8:9]
	s_cbranch_execz .LBB187_69
; %bb.68:
	v_lshlrev_b32_e32 v3, 3, v28
	ds_read2_b64 v[30:33], v3 offset1:7
	ds_read2_b64 v[34:37], v3 offset0:1 offset1:2
	ds_read2_b64 v[38:41], v3 offset0:3 offset1:4
	s_waitcnt lgkmcnt(1)
	v_add_f32_e32 v4, v34, v30
	v_add_f32_e32 v5, v35, v31
	;; [unrolled: 1-line block ×4, first 2 shown]
	ds_read2_b64 v[34:37], v3 offset0:5 offset1:6
	s_waitcnt lgkmcnt(1)
	v_add_f32_e32 v3, v4, v38
	v_add_f32_e32 v4, v5, v39
	v_add_f32_e32 v3, v3, v40
	v_add_f32_e32 v5, v4, v41
	s_waitcnt lgkmcnt(0)
	v_add_f32_e32 v4, v3, v34
	v_add_f32_e32 v5, v5, v35
	v_pk_add_f32 v[4:5], v[4:5], v[36:37]
	v_pk_add_f32 v[18:19], v[4:5], v[32:33]
.LBB187_69:
	s_or_b64 exec, exec, s[10:11]
	v_mov_b32_e32 v3, s39
	v_subrev_co_u32_e64 v24, s[10:11], s38, v2
	s_and_b64 vcc, exec, s[16:17]
	v_subb_co_u32_e64 v25, s[10:11], v1, v3, s[10:11]
	s_barrier
	s_cbranch_vccnz .LBB187_74
; %bb.70:
	flat_load_dwordx2 v[2:3], v[24:25]
	s_lshl_b32 s10, s24, 3
	s_ashr_i32 s11, s10, 31
	v_mad_u32_u24 v1, v8, 33, v0
	s_lshl_b64 s[10:11], s[10:11], 3
	v_lshlrev_b32_e32 v13, 3, v1
	v_mov_b32_e32 v5, s11
	v_add_co_u32_e32 v4, vcc, s10, v24
	v_addc_co_u32_e32 v5, vcc, v25, v5, vcc
	s_ashr_i32 s25, s24, 31
	s_lshl_b64 s[10:11], s[24:25], 6
	v_mov_b32_e32 v7, s11
	v_add_u32_e32 v9, 0x318, v1
	s_waitcnt vmcnt(0) lgkmcnt(0)
	ds_write_b64 v13, v[2:3]
	flat_load_dwordx2 v[2:3], v[4:5]
	v_add_co_u32_e32 v4, vcc, s10, v4
	v_addc_co_u32_e32 v5, vcc, v5, v7, vcc
	s_waitcnt vmcnt(0) lgkmcnt(0)
	ds_write_b64 v13, v[2:3] offset:2112
	flat_load_dwordx2 v[2:3], v[4:5]
	v_add_co_u32_e32 v4, vcc, s10, v4
	v_addc_co_u32_e32 v5, vcc, v5, v7, vcc
	v_add_u32_e32 v7, 24, v8
	s_waitcnt vmcnt(0) lgkmcnt(0)
	ds_write_b64 v13, v[2:3] offset:4224
	flat_load_dwordx2 v[10:11], v[4:5]
	v_add_u32_e32 v4, 8, v8
	v_add_u32_e32 v5, 16, v8
	;; [unrolled: 1-line block ×4, first 2 shown]
	s_waitcnt vmcnt(0) lgkmcnt(0)
	ds_write_b64 v13, v[10:11] offset:6336
	s_cbranch_execz .LBB187_75
	s_branch .LBB187_90
.LBB187_71:
	ds_read_b64 v[4:5], v11
	s_waitcnt lgkmcnt(0)
	ds_write_b64 v12, v[4:5]
	s_or_b64 exec, exec, s[18:19]
	s_and_saveexec_b64 s[8:9], s[10:11]
	s_cbranch_execz .LBB187_64
.LBB187_72:
	ds_read_b64 v[4:5], v10
	s_waitcnt lgkmcnt(0)
	ds_write_b64 v12, v[4:5] offset:8
	s_or_b64 exec, exec, s[8:9]
	s_and_saveexec_b64 s[8:9], s[12:13]
	s_cbranch_execz .LBB187_65
.LBB187_73:
	ds_read_b64 v[4:5], v10 offset:264
	s_waitcnt lgkmcnt(0)
	ds_write_b64 v12, v[4:5] offset:16
	s_or_b64 exec, exec, s[8:9]
	s_and_saveexec_b64 s[8:9], s[14:15]
	s_cbranch_execnz .LBB187_66
	s_branch .LBB187_67
.LBB187_74:
                                        ; implicit-def: $vgpr1
                                        ; implicit-def: $vgpr4
                                        ; implicit-def: $vgpr2
                                        ; implicit-def: $vgpr5
                                        ; implicit-def: $vgpr3
                                        ; implicit-def: $vgpr7
                                        ; implicit-def: $vgpr9
.LBB187_75:
	v_or_b32_e32 v1, 32, v0
	v_lshlrev_b32_e32 v2, 3, v1
	v_sub_co_u32_e32 v2, vcc, v24, v2
	s_ashr_i32 s27, s26, 31
	v_subbrev_co_u32_e32 v3, vcc, 0, v25, vcc
	s_lshl_b64 s[12:13], s[26:27], 3
	v_mov_b32_e32 v4, s13
	v_add_co_u32_e32 v2, vcc, s12, v2
	v_addc_co_u32_e32 v3, vcc, v3, v4, vcc
	v_add_co_u32_e32 v2, vcc, -8, v2
	v_addc_co_u32_e32 v3, vcc, -1, v3, vcc
	v_cmp_gt_i32_e64 s[10:11], s26, v1
	v_mov_b32_e32 v4, 0
	v_cndmask_b32_e64 v3, v3, v25, s[10:11]
	v_cndmask_b32_e64 v2, v2, v24, s[10:11]
	v_cmp_gt_i32_e32 vcc, s26, v8
	v_mov_b32_e32 v5, v4
	s_and_saveexec_b64 s[14:15], vcc
	s_cbranch_execz .LBB187_77
; %bb.76:
	flat_load_dwordx2 v[4:5], v[2:3]
.LBB187_77:
	s_or_b64 exec, exec, s[14:15]
	v_mad_u32_u24 v1, v8, 33, v0
	v_lshlrev_b32_e32 v10, 3, v1
	s_waitcnt vmcnt(0) lgkmcnt(0)
	ds_write_b64 v10, v[4:5]
	v_add_u32_e32 v4, 8, v8
	v_cmp_le_i32_e32 vcc, s26, v4
	s_and_saveexec_b64 s[14:15], vcc
	s_xor_b64 s[14:15], exec, s[14:15]
	s_cbranch_execz .LBB187_79
; %bb.78:
	v_mul_u32_u24_e32 v5, 33, v4
	v_mov_b32_e32 v14, 0
	v_add_lshl_u32 v5, v5, v0, 3
	v_mov_b32_e32 v15, v14
	ds_write_b64 v5, v[14:15]
.LBB187_79:
	s_andn2_saveexec_b64 s[14:15], s[14:15]
	s_cbranch_execz .LBB187_81
; %bb.80:
	s_lshl_b32 s16, s24, 3
	s_ashr_i32 s17, s16, 31
	s_lshl_b64 s[16:17], s[16:17], 3
	v_mov_b32_e32 v5, s17
	v_add_co_u32_e32 v14, vcc, s16, v2
	v_addc_co_u32_e32 v15, vcc, v3, v5, vcc
	flat_load_dwordx2 v[14:15], v[14:15]
	s_waitcnt vmcnt(0) lgkmcnt(0)
	ds_write_b64 v10, v[14:15] offset:2112
.LBB187_81:
	s_or_b64 exec, exec, s[14:15]
	v_add_u32_e32 v5, 16, v8
	v_cmp_le_i32_e32 vcc, s26, v5
	s_and_saveexec_b64 s[14:15], vcc
	s_xor_b64 s[14:15], exec, s[14:15]
	s_cbranch_execz .LBB187_83
; %bb.82:
	v_mul_u32_u24_e32 v7, 33, v5
	v_mov_b32_e32 v14, 0
	v_add_lshl_u32 v7, v7, v0, 3
	v_mov_b32_e32 v15, v14
	ds_write_b64 v7, v[14:15]
.LBB187_83:
	s_andn2_saveexec_b64 s[14:15], s[14:15]
	s_cbranch_execz .LBB187_85
; %bb.84:
	s_lshl_b32 s16, s24, 4
	s_ashr_i32 s17, s16, 31
	s_lshl_b64 s[16:17], s[16:17], 3
	v_mov_b32_e32 v7, s17
	v_add_co_u32_e32 v14, vcc, s16, v2
	v_addc_co_u32_e32 v15, vcc, v3, v7, vcc
	flat_load_dwordx2 v[14:15], v[14:15]
	s_waitcnt vmcnt(0) lgkmcnt(0)
	ds_write_b64 v10, v[14:15] offset:4224
.LBB187_85:
	s_or_b64 exec, exec, s[14:15]
	v_add_u32_e32 v7, 24, v8
	v_cmp_le_i32_e32 vcc, s26, v7
                                        ; implicit-def: $vgpr9
	s_and_saveexec_b64 s[14:15], vcc
	s_xor_b64 s[14:15], exec, s[14:15]
	s_cbranch_execz .LBB187_87
; %bb.86:
	v_mad_u32_u24 v9, v7, 33, v0
	v_mov_b32_e32 v10, 0
	v_lshlrev_b32_e32 v13, 3, v9
	v_mov_b32_e32 v11, v10
	ds_write_b64 v13, v[10:11]
                                        ; implicit-def: $vgpr10
.LBB187_87:
	s_andn2_saveexec_b64 s[14:15], s[14:15]
	s_cbranch_execz .LBB187_89
; %bb.88:
	s_mul_i32 s16, s24, 24
	s_ashr_i32 s17, s16, 31
	s_lshl_b64 s[16:17], s[16:17], 3
	v_mov_b32_e32 v9, s17
	v_add_co_u32_e32 v14, vcc, s16, v2
	v_addc_co_u32_e32 v15, vcc, v3, v9, vcc
	flat_load_dwordx2 v[14:15], v[14:15]
	v_add_u32_e32 v9, 0x318, v1
	s_waitcnt vmcnt(0) lgkmcnt(0)
	ds_write_b64 v10, v[14:15] offset:6336
.LBB187_89:
	s_or_b64 exec, exec, s[14:15]
	v_lshlrev_b32_e32 v0, 3, v0
	v_add_co_u32_e32 v0, vcc, v2, v0
	v_addc_co_u32_e32 v2, vcc, 0, v3, vcc
	v_mov_b32_e32 v3, s13
	v_subrev_co_u32_e32 v0, vcc, s12, v0
	v_subb_co_u32_e32 v2, vcc, v2, v3, vcc
	v_add_co_u32_e32 v0, vcc, 0x108, v0
	v_addc_co_u32_e32 v2, vcc, 0, v2, vcc
	v_cndmask_b32_e64 v25, v2, v25, s[10:11]
	v_cndmask_b32_e64 v24, v0, v24, s[10:11]
	v_add_u32_e32 v2, 0x108, v1
	v_add_u32_e32 v3, 0x210, v1
.LBB187_90:
	v_lshlrev_b32_e32 v0, 3, v1
	s_waitcnt lgkmcnt(0)
	s_barrier
	ds_read_b64 v[30:31], v0
	v_lshlrev_b32_e32 v13, 3, v8
	v_lshlrev_b32_e32 v14, 3, v2
	;; [unrolled: 1-line block ×7, first 2 shown]
	ds_read_b64 v[32:33], v0
	ds_read2_b64 v[8:11], v12 offset1:1
	ds_read2_b64 v[0:3], v12 offset0:2 offset1:3
	ds_read_b64 v[34:35], v4 offset:9088
	ds_read_b64 v[36:37], v14
	ds_read_b64 v[38:39], v13 offset:9088
	ds_read_b128 v[12:15], v6 offset:256
	ds_read_b128 v[4:7], v6 offset:272
	ds_read_b64 v[40:41], v40 offset:9088
	ds_read_b64 v[42:43], v42
	ds_read_b64 v[44:45], v44 offset:9088
	s_waitcnt lgkmcnt(5)
	v_pk_mul_f32 v[46:47], v[38:39], v[30:31] op_sel:[0,1]
	v_pk_fma_f32 v[48:49], v[38:39], v[30:31], v[46:47] op_sel:[0,0,1] op_sel_hi:[1,1,0] neg_lo:[0,0,1] neg_hi:[0,0,1]
	v_pk_fma_f32 v[30:31], v[38:39], v[30:31], v[46:47] op_sel:[0,0,1] op_sel_hi:[1,0,0]
	v_pk_mul_f32 v[38:39], v[34:35], v[36:37] op_sel:[0,1]
	v_pk_fma_f32 v[46:47], v[34:35], v[36:37], v[38:39] op_sel:[0,0,1] op_sel_hi:[1,1,0] neg_lo:[0,0,1] neg_hi:[0,0,1]
	v_pk_fma_f32 v[34:35], v[34:35], v[36:37], v[38:39] op_sel:[0,0,1] op_sel_hi:[1,0,0]
	v_mov_b32_e32 v47, v35
	s_waitcnt lgkmcnt(0)
	v_pk_mul_f32 v[34:35], v[44:45], v[32:33] op_sel:[0,1]
	v_mov_b32_e32 v49, v31
	v_pk_fma_f32 v[36:37], v[44:45], v[32:33], v[34:35] op_sel:[0,0,1] op_sel_hi:[1,1,0] neg_lo:[0,0,1] neg_hi:[0,0,1]
	v_pk_fma_f32 v[32:33], v[44:45], v[32:33], v[34:35] op_sel:[0,0,1] op_sel_hi:[1,0,0]
	v_pk_add_f32 v[30:31], v[48:49], 0 op_sel_hi:[1,0]
	v_mov_b32_e32 v37, v33
	v_pk_mul_f32 v[32:33], v[40:41], v[42:43] op_sel:[0,1]
	v_pk_add_f32 v[30:31], v[30:31], v[46:47]
	v_pk_fma_f32 v[34:35], v[40:41], v[42:43], v[32:33] op_sel:[0,0,1] op_sel_hi:[1,1,0] neg_lo:[0,0,1] neg_hi:[0,0,1]
	v_pk_fma_f32 v[32:33], v[40:41], v[42:43], v[32:33] op_sel:[0,0,1] op_sel_hi:[1,0,0]
	v_pk_add_f32 v[30:31], v[30:31], v[36:37]
	v_mov_b32_e32 v35, v33
	v_pk_add_f32 v[30:31], v[30:31], v[34:35]
	s_barrier
	ds_write_b64 v29, v[30:31]
	s_waitcnt lgkmcnt(0)
	s_barrier
	s_and_saveexec_b64 s[10:11], s[8:9]
	s_cbranch_execz .LBB187_92
; %bb.91:
	v_lshlrev_b32_e32 v42, 3, v28
	ds_read2_b64 v[30:33], v42 offset1:1
	ds_read2_b64 v[34:37], v42 offset0:2 offset1:3
	ds_read2_b64 v[38:41], v42 offset0:4 offset1:5
	s_waitcnt lgkmcnt(2)
	v_pk_add_f32 v[18:19], v[18:19], v[30:31]
	v_pk_add_f32 v[18:19], v[18:19], v[32:33]
	ds_read2_b64 v[30:33], v42 offset0:6 offset1:7
	s_waitcnt lgkmcnt(2)
	v_pk_add_f32 v[18:19], v[18:19], v[34:35]
	v_pk_add_f32 v[18:19], v[18:19], v[36:37]
	s_waitcnt lgkmcnt(1)
	v_pk_add_f32 v[18:19], v[18:19], v[38:39]
	v_pk_add_f32 v[18:19], v[18:19], v[40:41]
	s_waitcnt lgkmcnt(0)
	v_pk_add_f32 v[18:19], v[18:19], v[30:31]
	v_pk_add_f32 v[18:19], v[18:19], v[32:33]
.LBB187_92:
	s_or_b64 exec, exec, s[10:11]
	v_pk_mul_f32 v[30:31], v[12:13], v[8:9] op_sel:[0,1]
	v_pk_fma_f32 v[32:33], v[12:13], v[8:9], v[30:31] op_sel:[0,0,1] op_sel_hi:[1,1,0] neg_lo:[0,0,1] neg_hi:[0,0,1]
	v_pk_fma_f32 v[8:9], v[12:13], v[8:9], v[30:31] op_sel:[0,0,1] op_sel_hi:[1,0,0]
	v_mov_b32_e32 v12, v11
	v_pk_mul_f32 v[12:13], v[14:15], v[12:13] op_sel_hi:[1,0]
	v_pk_fma_f32 v[30:31], v[14:15], v[10:11], v[12:13] op_sel:[0,0,1] op_sel_hi:[1,1,0] neg_lo:[0,0,1] neg_hi:[0,0,1]
	v_pk_fma_f32 v[10:11], v[14:15], v[10:11], v[12:13] op_sel:[0,0,1] op_sel_hi:[1,0,0]
	v_mov_b32_e32 v33, v9
	v_mov_b32_e32 v31, v11
	v_pk_mul_f32 v[10:11], v[4:5], v[0:1] op_sel:[0,1]
	v_pk_add_f32 v[8:9], v[32:33], 0 op_sel_hi:[1,0]
	v_pk_fma_f32 v[12:13], v[4:5], v[0:1], v[10:11] op_sel:[0,0,1] op_sel_hi:[1,1,0] neg_lo:[0,0,1] neg_hi:[0,0,1]
	v_pk_fma_f32 v[0:1], v[4:5], v[0:1], v[10:11] op_sel:[0,0,1] op_sel_hi:[1,0,0]
	v_mov_b32_e32 v4, v3
	v_pk_add_f32 v[8:9], v[8:9], v[30:31]
	v_mov_b32_e32 v13, v1
	v_pk_mul_f32 v[4:5], v[6:7], v[4:5] op_sel_hi:[1,0]
	v_pk_add_f32 v[0:1], v[8:9], v[12:13]
	v_pk_fma_f32 v[8:9], v[6:7], v[2:3], v[4:5] op_sel:[0,0,1] op_sel_hi:[1,1,0] neg_lo:[0,0,1] neg_hi:[0,0,1]
	v_pk_fma_f32 v[2:3], v[6:7], v[2:3], v[4:5] op_sel:[0,0,1] op_sel_hi:[1,0,0]
	v_mov_b32_e32 v9, v3
	v_pk_add_f32 v[0:1], v[0:1], v[8:9]
	s_barrier
	ds_write_b64 v29, v[0:1]
	s_waitcnt lgkmcnt(0)
	s_barrier
	s_and_saveexec_b64 s[8:9], s[20:21]
	s_cbranch_execz .LBB187_94
; %bb.93:
	v_lshlrev_b32_e32 v14, 3, v28
	ds_read2_b64 v[0:3], v14 offset1:1
	ds_read2_b64 v[4:7], v14 offset0:2 offset1:3
	ds_read2_b64 v[8:11], v14 offset0:4 offset1:5
	s_waitcnt lgkmcnt(2)
	v_pk_add_f32 v[0:1], v[18:19], v[0:1]
	v_pk_add_f32 v[12:13], v[0:1], v[2:3]
	ds_read2_b64 v[0:3], v14 offset0:6 offset1:7
	s_waitcnt lgkmcnt(2)
	v_pk_add_f32 v[4:5], v[12:13], v[4:5]
	v_pk_add_f32 v[4:5], v[4:5], v[6:7]
	s_waitcnt lgkmcnt(1)
	v_pk_add_f32 v[4:5], v[4:5], v[8:9]
	v_pk_add_f32 v[4:5], v[4:5], v[10:11]
	;; [unrolled: 3-line block ×3, first 2 shown]
.LBB187_94:
	s_or_b64 exec, exec, s[8:9]
	s_load_dwordx2 s[4:5], s[4:5], 0x68
	s_mul_hi_u32 s8, s23, s22
	s_mul_i32 s42, s42, s22
	s_add_i32 s8, s8, s42
	s_mul_i32 s10, s23, s22
	s_mul_i32 s8, s8, s33
	s_mul_hi_u32 s9, s10, s33
	s_add_i32 s9, s9, s8
	s_mul_i32 s8, s10, s33
	s_lshl_b64 s[8:9], s[8:9], 3
	s_waitcnt lgkmcnt(0)
	s_add_u32 s8, s4, s8
	s_mul_i32 s4, s6, s23
	s_addc_u32 s9, s5, s9
	s_ashr_i32 s5, s4, 31
	s_lshl_b64 s[4:5], s[4:5], 3
	s_add_u32 s29, s8, s4
	v_cmp_le_i32_e32 vcc, s26, v26
	s_addc_u32 s33, s9, s5
	s_and_b64 vcc, s[34:35], vcc
	s_cmp_lt_i32 s6, 1
	v_lshlrev_b32_e32 v72, 3, v26
	s_barrier
	s_cbranch_scc1 .LBB187_101
; %bb.95:
	s_mul_i32 s4, s28, s7
	s_ashr_i32 s5, s4, 31
	s_lshl_b64 s[4:5], s[4:5], 3
	v_mov_b32_e32 v0, s5
	v_subrev_co_u32_e64 v73, s[4:5], s4, v20
	v_subb_co_u32_e64 v74, s[4:5], v21, v0, s[4:5]
	v_mov_b32_e32 v0, s31
	v_subrev_co_u32_e64 v1, s[4:5], s30, v24
	v_subb_co_u32_e64 v0, s[4:5], v25, v0, s[4:5]
	v_sub_co_u32_e64 v4, s[4:5], v1, v22
	v_subb_co_u32_e64 v5, s[4:5], v0, v23, s[4:5]
	v_mul_lo_u32 v0, v17, s24
	v_lshl_add_u32 v0, v0, 2, v26
	v_ashrrev_i32_e32 v1, 31, v0
	v_lshlrev_b64 v[0:1], 3, v[0:1]
	v_add_co_u32_e64 v0, s[4:5], v4, v0
	v_addc_co_u32_e64 v1, s[4:5], v5, v1, s[4:5]
	s_movk_i32 s4, 0xff00
	v_add_co_u32_e64 v0, s[4:5], s4, v0
	v_addc_co_u32_e64 v1, s[4:5], -1, v1, s[4:5]
	v_sub_co_u32_e64 v4, s[4:5], v0, v72
	v_subbrev_co_u32_e64 v5, s[4:5], 0, v1, s[4:5]
	s_ashr_i32 s27, s26, 31
	s_lshl_b64 s[4:5], s[26:27], 3
	v_mov_b32_e32 v6, s5
	v_add_co_u32_e64 v4, s[4:5], s4, v4
	v_addc_co_u32_e64 v5, s[4:5], v5, v6, s[4:5]
	v_add_co_u32_e64 v4, s[4:5], -8, v4
	v_addc_co_u32_e64 v5, s[4:5], -1, v5, s[4:5]
	v_cndmask_b32_e32 v14, v0, v4, vcc
	v_and_b32_e32 v0, 48, v26
	v_and_b32_e32 v2, 15, v26
	v_cndmask_b32_e32 v15, v1, v5, vcc
	v_lshlrev_b32_e32 v1, 3, v0
	s_movk_i32 s8, 0x218
	v_lshrrev_b32_e32 v3, 4, v27
	v_mad_u32_u24 v77, v2, s8, v1
	v_or_b32_e32 v1, 0x78, v72
	v_mad_u32_u24 v78, v2, s8, v1
	v_lshlrev_b32_e32 v1, 5, v3
	v_mad_u32_u24 v79, v2, s8, v1
	v_mov_b32_e32 v1, 0x2180
	s_ashr_i32 s25, s24, 31
	v_lshl_add_u32 v80, v17, 5, v1
	s_movk_i32 s9, 0x860
	v_lshlrev_b32_e32 v1, 3, v3
	v_mad_u32_u24 v81, v17, s9, v72
	v_mad_u32_u24 v82, v2, s8, v1
	s_lshl_b64 s[10:11], s[24:25], 3
	s_lshl_b64 s[12:13], s[24:25], 4
	s_mul_hi_i32 s8, s24, 24
	s_lshl_b64 s[16:17], s[24:25], 7
	s_mul_hi_i32 s9, s24, 0x90
	s_mul_hi_i32 s21, s24, 0x98
	s_lshl_b64 s[18:19], s[24:25], 8
	s_mul_hi_i32 s22, s24, 0x110
	s_mul_hi_i32 s23, s24, 0x118
	;; [unrolled: 1-line block ×8, first 2 shown]
	v_mov_b32_e32 v13, 0
	s_lshl_b32 s7, s7, 6
	v_add_u32_e32 v75, 0x2180, v72
	v_add_u32_e32 v76, 0x2380, v72
	v_cmp_gt_u32_e64 s[4:5], 64, v27
	s_lshl_b64 s[14:15], s[24:25], 9
	s_mul_i32 s26, s24, 24
	s_mul_i32 s27, s24, 0x90
	;; [unrolled: 1-line block ×10, first 2 shown]
	s_mulk_i32 s24, 0x88
	v_or_b32_e32 v12, v0, v2
	s_mov_b32 s20, 0
	v_mov_b32_e32 v83, s11
	v_mov_b32_e32 v84, s13
	;; [unrolled: 1-line block ×15, first 2 shown]
	s_branch .LBB187_97
.LBB187_96:                             ;   in Loop: Header=BB187_97 Depth=1
	s_or_b64 exec, exec, s[22:23]
	v_mul_f32_e32 v98, v29, v21
	v_fma_f32 v98, v28, v20, -v98
	v_mul_f32_e32 v20, v29, v20
	v_mul_f32_e32 v29, v43, v23
	v_add_f32_e32 v18, v18, v98
	v_fma_f32 v29, v42, v22, -v29
	v_add_f32_e32 v18, v18, v29
	v_mul_f32_e32 v29, v41, v25
	v_fma_f32 v29, v40, v24, -v29
	v_mul_f32_e32 v22, v43, v22
	v_add_f32_e32 v18, v18, v29
	v_mul_f32_e32 v29, v39, v27
	v_fmac_f32_e32 v20, v28, v21
	v_mul_f32_e32 v24, v41, v24
	v_fma_f32 v29, v38, v26, -v29
	v_add_f32_e32 v19, v19, v20
	v_fmac_f32_e32 v22, v42, v23
	v_mul_f32_e32 v20, v51, v35
	v_mul_f32_e32 v26, v39, v26
	v_add_f32_e32 v18, v18, v29
	v_add_f32_e32 v19, v19, v22
	v_fmac_f32_e32 v24, v40, v25
	v_fma_f32 v20, v50, v34, -v20
	v_add_f32_e32 v19, v19, v24
	v_fmac_f32_e32 v26, v38, v27
	v_mul_f32_e32 v24, v51, v34
	v_add_f32_e32 v18, v18, v20
	v_mul_f32_e32 v20, v59, v33
	v_add_f32_e32 v19, v19, v26
	v_fma_f32 v20, v58, v32, -v20
	v_mul_f32_e32 v25, v59, v32
	v_fmac_f32_e32 v24, v50, v35
	v_add_f32_e32 v18, v18, v20
	v_mul_f32_e32 v20, v55, v31
	v_mul_f32_e32 v21, v55, v30
	v_add_f32_e32 v19, v19, v24
	v_fmac_f32_e32 v25, v58, v33
	v_fma_f32 v20, v54, v30, -v20
	v_add_f32_e32 v19, v19, v25
	v_fmac_f32_e32 v21, v54, v31
	v_mul_f32_e32 v22, v57, v37
	v_mul_f32_e32 v23, v57, v36
	v_pk_add_f32 v[18:19], v[18:19], v[20:21]
	v_mov_b32_e32 v20, v53
	v_fma_f32 v22, v56, v36, -v22
	v_fmac_f32_e32 v23, v56, v37
	v_pk_mul_f32 v[20:21], v[70:71], v[20:21] op_sel_hi:[1,0]
	v_pk_add_f32 v[18:19], v[18:19], v[22:23]
	v_pk_fma_f32 v[22:23], v[70:71], v[52:53], v[20:21] op_sel:[0,0,1] op_sel_hi:[1,1,0] neg_lo:[0,0,1] neg_hi:[0,0,1]
	v_pk_fma_f32 v[20:21], v[70:71], v[52:53], v[20:21] op_sel:[0,0,1] op_sel_hi:[1,0,0]
	v_mov_b32_e32 v20, v49
	v_mov_b32_e32 v23, v21
	v_pk_mul_f32 v[20:21], v[8:9], v[20:21] op_sel_hi:[1,0]
	v_pk_add_f32 v[18:19], v[18:19], v[22:23]
	v_pk_fma_f32 v[22:23], v[8:9], v[48:49], v[20:21] op_sel:[0,0,1] op_sel_hi:[1,1,0] neg_lo:[0,0,1] neg_hi:[0,0,1]
	v_pk_fma_f32 v[8:9], v[8:9], v[48:49], v[20:21] op_sel:[0,0,1] op_sel_hi:[1,0,0]
	v_mov_b32_e32 v23, v9
	v_pk_add_f32 v[8:9], v[18:19], v[22:23]
	v_mov_b32_e32 v18, v47
	v_pk_mul_f32 v[18:19], v[10:11], v[18:19] op_sel_hi:[1,0]
	v_pk_fma_f32 v[20:21], v[10:11], v[46:47], v[18:19] op_sel:[0,0,1] op_sel_hi:[1,1,0] neg_lo:[0,0,1] neg_hi:[0,0,1]
	v_pk_fma_f32 v[10:11], v[10:11], v[46:47], v[18:19] op_sel:[0,0,1] op_sel_hi:[1,0,0]
	v_mov_b32_e32 v10, v45
	v_mov_b32_e32 v21, v11
	v_pk_mul_f32 v[10:11], v[68:69], v[10:11] op_sel_hi:[1,0]
	v_pk_fma_f32 v[18:19], v[68:69], v[44:45], v[10:11] op_sel:[0,0,1] op_sel_hi:[1,1,0] neg_lo:[0,0,1] neg_hi:[0,0,1]
	v_pk_fma_f32 v[10:11], v[68:69], v[44:45], v[10:11] op_sel:[0,0,1] op_sel_hi:[1,0,0]
	v_mov_b32_e32 v10, v67
	v_pk_add_f32 v[8:9], v[8:9], v[20:21]
	v_mov_b32_e32 v19, v11
	v_pk_mul_f32 v[10:11], v[0:1], v[10:11] op_sel_hi:[1,0]
	v_pk_add_f32 v[8:9], v[8:9], v[18:19]
	v_pk_fma_f32 v[18:19], v[0:1], v[66:67], v[10:11] op_sel:[0,0,1] op_sel_hi:[1,1,0] neg_lo:[0,0,1] neg_hi:[0,0,1]
	v_pk_fma_f32 v[0:1], v[0:1], v[66:67], v[10:11] op_sel:[0,0,1] op_sel_hi:[1,0,0]
	v_mov_b32_e32 v0, v65
	v_mov_b32_e32 v19, v1
	v_pk_mul_f32 v[0:1], v[6:7], v[0:1] op_sel_hi:[1,0]
	v_pk_fma_f32 v[10:11], v[6:7], v[64:65], v[0:1] op_sel:[0,0,1] op_sel_hi:[1,1,0] neg_lo:[0,0,1] neg_hi:[0,0,1]
	v_pk_fma_f32 v[0:1], v[6:7], v[64:65], v[0:1] op_sel:[0,0,1] op_sel_hi:[1,0,0]
	v_mov_b32_e32 v0, v61
	v_mov_b32_e32 v11, v1
	v_pk_mul_f32 v[0:1], v[4:5], v[0:1] op_sel_hi:[1,0]
	;; [unrolled: 5-line block ×3, first 2 shown]
	v_pk_fma_f32 v[4:5], v[2:3], v[62:63], v[0:1] op_sel:[0,0,1] op_sel_hi:[1,1,0] neg_lo:[0,0,1] neg_hi:[0,0,1]
	v_pk_fma_f32 v[0:1], v[2:3], v[62:63], v[0:1] op_sel:[0,0,1] op_sel_hi:[1,0,0]
	v_mov_b32_e32 v5, v1
	v_pk_add_f32 v[0:1], v[8:9], v[18:19]
	v_pk_add_f32 v[0:1], v[0:1], v[10:11]
	;; [unrolled: 1-line block ×4, first 2 shown]
	v_mov_b32_e32 v0, s15
	v_add_co_u32_e64 v14, s[8:9], s14, v14
	s_add_i32 s6, s6, -1
	s_add_i32 s20, s20, s7
	v_addc_co_u32_e64 v15, s[8:9], v15, v0, s[8:9]
	s_cmp_eq_u32 s6, 0
	v_add_u32_e32 v12, 64, v12
	s_barrier
	s_cbranch_scc1 .LBB187_101
.LBB187_97:                             ; =>This Inner Loop Header: Depth=1
	s_and_saveexec_b64 s[22:23], s[2:3]
	s_cbranch_execz .LBB187_99
; %bb.98:                               ;   in Loop: Header=BB187_97 Depth=1
	s_ashr_i32 s21, s20, 31
	s_lshl_b64 s[8:9], s[20:21], 3
	v_mov_b32_e32 v1, s9
	v_add_co_u32_e64 v0, s[8:9], s8, v73
	v_addc_co_u32_e64 v1, s[8:9], v74, v1, s[8:9]
	flat_load_dwordx2 v[0:1], v[0:1]
	s_waitcnt vmcnt(0) lgkmcnt(0)
	ds_write_b64 v75, v[0:1]
.LBB187_99:                             ;   in Loop: Header=BB187_97 Depth=1
	s_or_b64 exec, exec, s[22:23]
	v_add_co_u32_e64 v0, s[8:9], s10, v14
	v_addc_co_u32_e64 v1, s[8:9], v15, v83, s[8:9]
	v_add_co_u32_e64 v2, s[8:9], s12, v14
	s_waitcnt lgkmcnt(0)
	s_barrier
	flat_load_dwordx2 v[20:21], v[14:15]
	v_addc_co_u32_e64 v3, s[8:9], v15, v84, s[8:9]
	flat_load_dwordx2 v[22:23], v[0:1]
	flat_load_dwordx2 v[24:25], v[2:3]
	v_add_co_u32_e64 v0, s[8:9], s26, v14
	v_addc_co_u32_e64 v1, s[8:9], v15, v85, s[8:9]
	flat_load_dwordx2 v[26:27], v[0:1]
	ds_read_b64 v[0:1], v76
	ds_read_b64 v[28:29], v80
	v_add_co_u32_e64 v8, s[8:9], s16, v14
	v_addc_co_u32_e64 v9, s[8:9], v15, v86, s[8:9]
	v_add_co_u32_e64 v10, s[8:9], s24, v14
	v_addc_co_u32_e64 v11, s[8:9], v15, v87, s[8:9]
	;; [unrolled: 2-line block ×3, first 2 shown]
	s_waitcnt vmcnt(0) lgkmcnt(0)
	v_mul_f32_e32 v2, v1, v21
	v_mul_f32_e32 v3, v1, v20
	v_fma_f32 v2, v0, v20, -v2
	v_fmac_f32_e32 v3, v0, v21
	v_mul_f32_e32 v4, v1, v23
	v_mul_f32_e32 v5, v1, v22
	;; [unrolled: 1-line block ×4, first 2 shown]
	ds_write_b64 v81, v[2:3]
	v_fma_f32 v4, v0, v22, -v4
	v_fmac_f32_e32 v5, v0, v23
	v_mul_f32_e32 v30, v1, v27
	v_mul_f32_e32 v31, v0, v27
	v_fma_f32 v6, v0, v24, -v6
	v_fmac_f32_e32 v7, v0, v25
	ds_read_b64 v[42:43], v80 offset:8
	ds_write_b64 v81, v[4:5] offset:536
	v_fma_f32 v30, v0, v26, -v30
	v_fmac_f32_e32 v31, v1, v26
	ds_read_b64 v[40:41], v80 offset:16
	ds_write_b64 v81, v[6:7] offset:1072
	ds_read_b64 v[38:39], v80 offset:24
	ds_write_b64 v81, v[30:31] offset:1608
	s_waitcnt lgkmcnt(0)
	s_barrier
	ds_read2_b64 v[4:7], v79 offset1:1
	ds_read2_b64 v[0:3], v79 offset0:2 offset1:3
	s_waitcnt lgkmcnt(0)
	s_barrier
	flat_load_dwordx2 v[34:35], v[8:9]
	flat_load_dwordx2 v[32:33], v[10:11]
	flat_load_dwordx2 v[30:31], v[36:37]
	v_add_co_u32_e64 v8, s[8:9], s28, v14
	v_addc_co_u32_e64 v9, s[8:9], v15, v89, s[8:9]
	flat_load_dwordx2 v[36:37], v[8:9]
	ds_read_b64 v[44:45], v76
	ds_read_b64 v[50:51], v80 offset:128
	v_add_co_u32_e64 v8, s[8:9], s18, v14
	v_addc_co_u32_e64 v9, s[8:9], v15, v90, s[8:9]
	v_add_co_u32_e64 v10, s[8:9], s37, v14
	v_addc_co_u32_e64 v11, s[8:9], v15, v91, s[8:9]
	v_add_co_u32_e64 v60, s[8:9], s25, v14
	v_addc_co_u32_e64 v61, s[8:9], v15, v92, s[8:9]
	v_pk_add_f32 v[4:5], v[4:5], 0 op_sel_hi:[1,0]
	v_pk_add_f32 v[4:5], v[4:5], v[6:7]
	v_pk_add_f32 v[0:1], v[4:5], v[0:1]
	s_waitcnt vmcnt(0) lgkmcnt(0)
	v_mul_f32_e32 v46, v45, v35
	v_mul_f32_e32 v47, v45, v34
	;; [unrolled: 1-line block ×4, first 2 shown]
	v_fma_f32 v46, v44, v34, -v46
	v_fmac_f32_e32 v47, v44, v35
	v_mul_f32_e32 v52, v45, v31
	v_mul_f32_e32 v53, v45, v30
	v_fma_f32 v48, v44, v32, -v48
	v_fmac_f32_e32 v49, v44, v33
	ds_write_b64 v81, v[46:47]
	v_mul_f32_e32 v54, v45, v37
	v_mul_f32_e32 v63, v44, v37
	v_fma_f32 v52, v44, v30, -v52
	v_fmac_f32_e32 v53, v44, v31
	ds_read_b64 v[58:59], v80 offset:136
	ds_write_b64 v81, v[48:49] offset:536
	v_fma_f32 v62, v44, v36, -v54
	v_fmac_f32_e32 v63, v45, v36
	ds_read_b64 v[54:55], v80 offset:144
	ds_write_b64 v81, v[52:53] offset:1072
	ds_read_b64 v[56:57], v80 offset:152
	ds_write_b64 v81, v[62:63] offset:1608
	s_waitcnt lgkmcnt(0)
	s_barrier
	ds_read2_b64 v[98:101], v79 offset1:1
	ds_read2_b64 v[102:105], v79 offset0:2 offset1:3
	s_waitcnt lgkmcnt(0)
	s_barrier
	flat_load_dwordx2 v[52:53], v[8:9]
	flat_load_dwordx2 v[48:49], v[10:11]
	;; [unrolled: 1-line block ×3, first 2 shown]
	v_add_co_u32_e64 v8, s[8:9], s30, v14
	v_addc_co_u32_e64 v9, s[8:9], v15, v93, s[8:9]
	flat_load_dwordx2 v[44:45], v[8:9]
	ds_read_b64 v[8:9], v76
	ds_read_b64 v[70:71], v80 offset:256
	v_add_co_u32_e64 v62, s[8:9], s31, v14
	v_addc_co_u32_e64 v63, s[8:9], v15, v94, s[8:9]
	v_add_co_u32_e64 v114, s[8:9], s36, v14
	v_addc_co_u32_e64 v115, s[8:9], v15, v95, s[8:9]
	;; [unrolled: 2-line block ×3, first 2 shown]
	s_waitcnt vmcnt(0) lgkmcnt(0)
	v_mul_f32_e32 v10, v9, v53
	v_mul_f32_e32 v11, v9, v52
	;; [unrolled: 1-line block ×6, first 2 shown]
	v_fma_f32 v10, v8, v52, -v10
	v_mul_f32_e32 v66, v9, v45
	v_mul_f32_e32 v67, v8, v45
	v_fma_f32 v60, v8, v48, -v60
	v_fmac_f32_e32 v11, v8, v53
	v_fmac_f32_e32 v61, v8, v49
	v_fma_f32 v64, v8, v46, -v64
	v_fma_f32 v66, v8, v44, -v66
	v_fmac_f32_e32 v65, v8, v47
	v_fmac_f32_e32 v67, v9, v44
	ds_write2_b64 v81, v[10:11], v[60:61] offset1:67
	ds_write2_b64 v81, v[64:65], v[66:67] offset0:134 offset1:201
	ds_read2_b64 v[8:11], v80 offset0:33 offset1:34
	ds_read_b64 v[68:69], v80 offset:280
	s_waitcnt lgkmcnt(0)
	s_barrier
	ds_read2_b64 v[106:109], v79 offset1:1
	ds_read2_b64 v[110:113], v79 offset0:2 offset1:3
	s_waitcnt lgkmcnt(0)
	s_barrier
	flat_load_dwordx2 v[66:67], v[62:63]
	flat_load_dwordx2 v[64:65], v[114:115]
	;; [unrolled: 1-line block ×3, first 2 shown]
	v_add_co_u32_e64 v62, s[8:9], s35, v14
	v_addc_co_u32_e64 v63, s[8:9], v15, v97, s[8:9]
	flat_load_dwordx2 v[62:63], v[62:63]
	v_pk_add_f32 v[114:115], v[0:1], v[2:3]
	v_pk_add_f32 v[0:1], v[98:99], 0 op_sel_hi:[1,0]
	v_pk_add_f32 v[0:1], v[0:1], v[100:101]
	v_pk_add_f32 v[0:1], v[0:1], v[102:103]
	;; [unrolled: 1-line block ×3, first 2 shown]
	ds_read_b64 v[2:3], v76
	ds_read_b64 v[0:1], v80 offset:384
	v_pk_add_f32 v[4:5], v[106:107], 0 op_sel_hi:[1,0]
	v_pk_add_f32 v[4:5], v[4:5], v[108:109]
	v_pk_add_f32 v[4:5], v[4:5], v[110:111]
	;; [unrolled: 1-line block ×3, first 2 shown]
	s_waitcnt vmcnt(0) lgkmcnt(0)
	v_mul_f32_e32 v4, v3, v67
	v_mul_f32_e32 v5, v3, v66
	;; [unrolled: 1-line block ×4, first 2 shown]
	v_fma_f32 v4, v2, v66, -v4
	v_fmac_f32_e32 v5, v2, v67
	v_mul_f32_e32 v7, v3, v61
	v_mul_f32_e32 v101, v3, v60
	v_fma_f32 v98, v2, v64, -v6
	v_fmac_f32_e32 v99, v2, v65
	ds_write_b64 v81, v[4:5]
	v_mul_f32_e32 v102, v3, v63
	v_mul_f32_e32 v103, v2, v63
	v_fma_f32 v100, v2, v60, -v7
	v_fmac_f32_e32 v101, v2, v61
	ds_read_b64 v[6:7], v80 offset:392
	ds_write_b64 v81, v[98:99] offset:536
	v_fma_f32 v102, v2, v62, -v102
	v_fmac_f32_e32 v103, v3, v62
	ds_read_b64 v[4:5], v80 offset:400
	ds_write_b64 v81, v[100:101] offset:1072
	ds_read_b64 v[2:3], v80 offset:408
	ds_write_b64 v81, v[102:103] offset:1608
	s_waitcnt lgkmcnt(0)
	s_barrier
	ds_read2_b64 v[98:101], v79 offset1:1
	ds_read2_b64 v[102:105], v79 offset0:2 offset1:3
	s_waitcnt lgkmcnt(0)
	s_barrier
	v_pk_add_f32 v[98:99], v[98:99], 0 op_sel_hi:[1,0]
	v_pk_add_f32 v[98:99], v[98:99], v[100:101]
	v_pk_add_f32 v[98:99], v[98:99], v[102:103]
	;; [unrolled: 1-line block ×3, first 2 shown]
	ds_write2_b64 v82, v[114:115], v[116:117] offset1:16
	ds_write2_b64 v82, v[106:107], v[98:99] offset0:32 offset1:48
	s_waitcnt lgkmcnt(0)
	s_barrier
	s_and_saveexec_b64 s[22:23], s[4:5]
	s_cbranch_execz .LBB187_96
; %bb.100:                              ;   in Loop: Header=BB187_97 Depth=1
	ds_read_b64 v[106:107], v77
	ds_read2_b64 v[98:101], v77 offset0:1 offset1:2
	ds_read2_b64 v[102:105], v77 offset0:3 offset1:4
	v_lshlrev_b64 v[108:109], 3, v[12:13]
	v_mov_b32_e32 v111, s33
	v_add_co_u32_e64 v110, s[8:9], s29, v108
	s_waitcnt lgkmcnt(1)
	v_add_f32_e32 v98, v98, v106
	v_add_f32_e32 v99, v99, v107
	;; [unrolled: 1-line block ×4, first 2 shown]
	ds_read2_b64 v[98:101], v77 offset0:5 offset1:6
	s_waitcnt lgkmcnt(1)
	v_add_f32_e32 v102, v106, v102
	v_add_f32_e32 v103, v107, v103
	;; [unrolled: 1-line block ×4, first 2 shown]
	ds_read2_b64 v[102:105], v77 offset0:7 offset1:8
	v_addc_co_u32_e64 v111, s[8:9], v111, v109, s[8:9]
	s_waitcnt lgkmcnt(1)
	v_pk_add_f32 v[98:99], v[106:107], v[98:99]
	ds_read2_b64 v[106:109], v77 offset0:9 offset1:10
	v_pk_add_f32 v[98:99], v[98:99], v[100:101]
	s_waitcnt lgkmcnt(1)
	v_pk_add_f32 v[98:99], v[98:99], v[102:103]
	v_pk_add_f32 v[102:103], v[98:99], v[104:105]
	ds_read2_b64 v[98:101], v77 offset0:11 offset1:12
	s_waitcnt lgkmcnt(1)
	v_pk_add_f32 v[106:107], v[102:103], v[106:107]
	ds_read2_b64 v[102:105], v77 offset0:13 offset1:14
	v_pk_add_f32 v[106:107], v[106:107], v[108:109]
	ds_read_b64 v[108:109], v78
	s_waitcnt lgkmcnt(2)
	v_pk_add_f32 v[98:99], v[106:107], v[98:99]
	v_pk_add_f32 v[98:99], v[98:99], v[100:101]
	s_waitcnt lgkmcnt(1)
	v_pk_add_f32 v[98:99], v[98:99], v[102:103]
	v_pk_add_f32 v[98:99], v[98:99], v[104:105]
	s_waitcnt lgkmcnt(0)
	v_pk_add_f32 v[98:99], v[98:99], v[108:109]
	global_store_dwordx2 v[110:111], v[98:99], off
	s_branch .LBB187_96
.LBB187_101:
	s_movk_i32 s2, 0x218
	s_or_b64 s[0:1], s[0:1], vcc
	v_mad_u32_u24 v0, v17, s2, v72
	s_xor_b64 s[0:1], s[0:1], -1
	ds_write_b64 v0, v[18:19]
	s_waitcnt lgkmcnt(0)
	s_barrier
	s_and_saveexec_b64 s[2:3], s[0:1]
	s_cbranch_execz .LBB187_103
; %bb.102:
	ds_read2_b64 v[0:3], v72 offset1:67
	ds_read2_b64 v[4:7], v72 offset0:134 offset1:201
	v_ashrrev_i32_e32 v17, 31, v16
	v_lshlrev_b64 v[8:9], 3, v[16:17]
	v_mov_b32_e32 v10, s33
	s_waitcnt lgkmcnt(1)
	v_pk_add_f32 v[0:1], v[2:3], v[0:1]
	v_add_co_u32_e32 v8, vcc, s29, v8
	s_waitcnt lgkmcnt(0)
	v_pk_add_f32 v[0:1], v[0:1], v[4:5]
	v_addc_co_u32_e32 v9, vcc, v10, v9, vcc
	v_pk_add_f32 v[0:1], v[0:1], v[6:7]
	global_store_dwordx2 v[8:9], v[0:1], off
.LBB187_103:
	s_endpgm
	.section	.rodata,"a",@progbits
	.p2align	6, 0x0
	.amdhsa_kernel _ZL26rocblas_hemvn_kernel_lowerILb0ELi64ELi4ELi33ELi32ELi16Ei19rocblas_complex_numIfEPKPKS1_PS1_EviT6_lT7_lT5_lS8_lS9_lS7_lT8_i
		.amdhsa_group_segment_fixed_size 9600
		.amdhsa_private_segment_fixed_size 0
		.amdhsa_kernarg_size 376
		.amdhsa_user_sgpr_count 6
		.amdhsa_user_sgpr_private_segment_buffer 1
		.amdhsa_user_sgpr_dispatch_ptr 0
		.amdhsa_user_sgpr_queue_ptr 0
		.amdhsa_user_sgpr_kernarg_segment_ptr 1
		.amdhsa_user_sgpr_dispatch_id 0
		.amdhsa_user_sgpr_flat_scratch_init 0
		.amdhsa_user_sgpr_kernarg_preload_length 0
		.amdhsa_user_sgpr_kernarg_preload_offset 0
		.amdhsa_user_sgpr_private_segment_size 0
		.amdhsa_uses_dynamic_stack 0
		.amdhsa_system_sgpr_private_segment_wavefront_offset 0
		.amdhsa_system_sgpr_workgroup_id_x 1
		.amdhsa_system_sgpr_workgroup_id_y 0
		.amdhsa_system_sgpr_workgroup_id_z 1
		.amdhsa_system_sgpr_workgroup_info 0
		.amdhsa_system_vgpr_workitem_id 1
		.amdhsa_next_free_vgpr 118
		.amdhsa_next_free_sgpr 46
		.amdhsa_accum_offset 120
		.amdhsa_reserve_vcc 1
		.amdhsa_reserve_flat_scratch 0
		.amdhsa_float_round_mode_32 0
		.amdhsa_float_round_mode_16_64 0
		.amdhsa_float_denorm_mode_32 3
		.amdhsa_float_denorm_mode_16_64 3
		.amdhsa_dx10_clamp 1
		.amdhsa_ieee_mode 1
		.amdhsa_fp16_overflow 0
		.amdhsa_tg_split 0
		.amdhsa_exception_fp_ieee_invalid_op 0
		.amdhsa_exception_fp_denorm_src 0
		.amdhsa_exception_fp_ieee_div_zero 0
		.amdhsa_exception_fp_ieee_overflow 0
		.amdhsa_exception_fp_ieee_underflow 0
		.amdhsa_exception_fp_ieee_inexact 0
		.amdhsa_exception_int_div_zero 0
	.end_amdhsa_kernel
	.section	.text._ZL26rocblas_hemvn_kernel_lowerILb0ELi64ELi4ELi33ELi32ELi16Ei19rocblas_complex_numIfEPKPKS1_PS1_EviT6_lT7_lT5_lS8_lS9_lS7_lT8_i,"axG",@progbits,_ZL26rocblas_hemvn_kernel_lowerILb0ELi64ELi4ELi33ELi32ELi16Ei19rocblas_complex_numIfEPKPKS1_PS1_EviT6_lT7_lT5_lS8_lS9_lS7_lT8_i,comdat
.Lfunc_end187:
	.size	_ZL26rocblas_hemvn_kernel_lowerILb0ELi64ELi4ELi33ELi32ELi16Ei19rocblas_complex_numIfEPKPKS1_PS1_EviT6_lT7_lT5_lS8_lS9_lS7_lT8_i, .Lfunc_end187-_ZL26rocblas_hemvn_kernel_lowerILb0ELi64ELi4ELi33ELi32ELi16Ei19rocblas_complex_numIfEPKPKS1_PS1_EviT6_lT7_lT5_lS8_lS9_lS7_lT8_i
                                        ; -- End function
	.section	.AMDGPU.csdata,"",@progbits
; Kernel info:
; codeLenInByte = 7676
; NumSgprs: 50
; NumVgprs: 118
; NumAgprs: 0
; TotalNumVgprs: 118
; ScratchSize: 0
; MemoryBound: 1
; FloatMode: 240
; IeeeMode: 1
; LDSByteSize: 9600 bytes/workgroup (compile time only)
; SGPRBlocks: 6
; VGPRBlocks: 14
; NumSGPRsForWavesPerEU: 50
; NumVGPRsForWavesPerEU: 118
; AccumOffset: 120
; Occupancy: 4
; WaveLimiterHint : 1
; COMPUTE_PGM_RSRC2:SCRATCH_EN: 0
; COMPUTE_PGM_RSRC2:USER_SGPR: 6
; COMPUTE_PGM_RSRC2:TRAP_HANDLER: 0
; COMPUTE_PGM_RSRC2:TGID_X_EN: 1
; COMPUTE_PGM_RSRC2:TGID_Y_EN: 0
; COMPUTE_PGM_RSRC2:TGID_Z_EN: 1
; COMPUTE_PGM_RSRC2:TIDIG_COMP_CNT: 1
; COMPUTE_PGM_RSRC3_GFX90A:ACCUM_OFFSET: 29
; COMPUTE_PGM_RSRC3_GFX90A:TG_SPLIT: 0
	.section	.text._ZL26rocblas_hemvn_kernel_upperILb0ELi64ELi4ELi33ELi32ELi16ElPK19rocblas_complex_numIdEPKS3_PS1_EviT6_lT7_lT5_lS8_lS9_lS7_lT8_i,"axG",@progbits,_ZL26rocblas_hemvn_kernel_upperILb0ELi64ELi4ELi33ELi32ELi16ElPK19rocblas_complex_numIdEPKS3_PS1_EviT6_lT7_lT5_lS8_lS9_lS7_lT8_i,comdat
	.globl	_ZL26rocblas_hemvn_kernel_upperILb0ELi64ELi4ELi33ELi32ELi16ElPK19rocblas_complex_numIdEPKS3_PS1_EviT6_lT7_lT5_lS8_lS9_lS7_lT8_i ; -- Begin function _ZL26rocblas_hemvn_kernel_upperILb0ELi64ELi4ELi33ELi32ELi16ElPK19rocblas_complex_numIdEPKS3_PS1_EviT6_lT7_lT5_lS8_lS9_lS7_lT8_i
	.p2align	8
	.type	_ZL26rocblas_hemvn_kernel_upperILb0ELi64ELi4ELi33ELi32ELi16ElPK19rocblas_complex_numIdEPKS3_PS1_EviT6_lT7_lT5_lS8_lS9_lS7_lT8_i,@function
_ZL26rocblas_hemvn_kernel_upperILb0ELi64ELi4ELi33ELi32ELi16ElPK19rocblas_complex_numIdEPKS3_PS1_EviT6_lT7_lT5_lS8_lS9_lS7_lT8_i: ; @_ZL26rocblas_hemvn_kernel_upperILb0ELi64ELi4ELi33ELi32ELi16ElPK19rocblas_complex_numIdEPKS3_PS1_EviT6_lT7_lT5_lS8_lS9_lS7_lT8_i
; %bb.0:
	s_load_dwordx2 s[0:1], s[4:5], 0x84
	s_add_u32 s18, s4, 0x78
	s_addc_u32 s19, s5, 0
	s_waitcnt lgkmcnt(0)
	s_lshr_b32 s2, s0, 16
	s_and_b32 s0, s0, 0xffff
	s_and_b32 s1, s1, 0xffff
	s_mul_i32 s0, s2, s0
	s_mul_i32 s0, s0, s1
	s_cmpk_lg_i32 s0, 0x100
	s_cbranch_scc1 .LBB188_158
; %bb.1:
	s_load_dwordx8 s[8:15], s[4:5], 0x8
	s_load_dwordx2 s[26:27], s[4:5], 0x68
	s_mov_b32 s24, s7
	s_mov_b32 s25, 0
	s_waitcnt lgkmcnt(0)
	s_mul_i32 s1, s7, s11
	s_mul_hi_u32 s2, s7, s10
	s_mul_i32 s0, s7, s10
	s_add_i32 s1, s2, s1
	s_lshl_b64 s[0:1], s[0:1], 4
	s_add_u32 s8, s8, s0
	s_addc_u32 s9, s9, s1
	s_load_dwordx4 s[28:31], s[8:9], 0x0
	s_load_dwordx2 s[22:23], s[4:5], 0x28
	s_load_dwordx4 s[0:3], s[4:5], 0x58
	s_mov_b64 s[8:9], 0
	s_waitcnt lgkmcnt(0)
	v_cmp_neq_f64_e64 s[10:11], s[28:29], 0
	v_cmp_neq_f64_e64 s[16:17], s[30:31], 0
	s_or_b64 s[20:21], s[10:11], s[16:17]
	s_and_b64 vcc, exec, s[20:21]
	s_cbranch_vccnz .LBB188_3
; %bb.2:
	s_mul_i32 s3, s24, s3
	s_mul_hi_u32 s7, s24, s2
	s_add_i32 s3, s7, s3
	s_mul_i32 s2, s24, s2
	s_lshl_b64 s[2:3], s[2:3], 4
	s_add_u32 s0, s0, s2
	s_addc_u32 s1, s1, s3
	s_load_dwordx4 s[8:11], s[0:1], 0x0
	s_mov_b64 s[2:3], 0
	s_waitcnt lgkmcnt(0)
	v_cmp_neq_f64_e64 s[0:1], s[8:9], 1.0
	v_cmp_neq_f64_e64 s[8:9], s[10:11], 0
	s_or_b64 s[8:9], s[0:1], s[8:9]
	s_cbranch_execz .LBB188_4
	s_branch .LBB188_5
.LBB188_3:
	s_mov_b64 s[2:3], -1
.LBB188_4:
	s_lshl_b64 s[0:1], s[24:25], 3
	s_add_u32 s0, s12, s0
	s_addc_u32 s1, s13, s1
	s_load_dwordx2 s[0:1], s[0:1], 0x0
	s_lshl_b64 s[2:3], s[14:15], 4
	s_mov_b64 s[8:9], -1
	s_waitcnt lgkmcnt(0)
	s_add_u32 s2, s0, s2
	s_addc_u32 s3, s1, s3
.LBB188_5:
	s_andn2_b64 vcc, exec, s[8:9]
	s_cbranch_vccnz .LBB188_158
; %bb.6:
	s_load_dwordx4 s[8:11], s[4:5], 0x38
	s_load_dwordx2 s[16:17], s[4:5], 0x48
	v_cndmask_b32_e64 v1, 0, 1, s[20:21]
	v_cmp_ne_u32_e64 s[0:1], 1, v1
	s_andn2_b64 vcc, exec, s[20:21]
	s_mov_b64 s[12:13], 0
	s_cbranch_vccnz .LBB188_8
; %bb.7:
	s_lshl_b64 s[12:13], s[24:25], 3
	s_waitcnt lgkmcnt(0)
	s_add_u32 s8, s8, s12
	s_addc_u32 s9, s9, s13
	s_load_dwordx2 s[8:9], s[8:9], 0x0
	s_lshl_b64 s[10:11], s[10:11], 4
	s_waitcnt lgkmcnt(0)
	s_add_u32 s12, s8, s10
	s_addc_u32 s13, s9, s11
.LBB188_8:
	s_and_b64 vcc, exec, s[0:1]
	s_cbranch_vccnz .LBB188_158
; %bb.9:
	s_load_dword s7, s[18:19], 0x0
	s_load_dword s33, s[4:5], 0x0
	v_and_b32_e32 v201, 0x3ff, v0
	s_lshl_b32 s28, s6, 6
	v_add_u32_e32 v166, s28, v201
	s_waitcnt lgkmcnt(0)
	s_add_i32 s0, s7, -1
	s_ashr_i32 s38, s33, 31
	s_lshr_b32 s1, s38, 26
	s_add_i32 s1, s33, s1
	s_andn2_b32 s1, s1, 63
	s_sub_i32 s25, s33, s1
	v_ashrrev_i32_e32 v167, 31, v166
	v_bfe_u32 v202, v0, 10, 10
	s_cmp_eq_u32 s6, s0
	v_mul_lo_u32 v2, v167, s16
	v_mul_lo_u32 v3, v166, s17
	v_mad_u64_u32 v[0:1], s[0:1], v166, s16, 0
	v_add3_u32 v1, v1, v3, v2
	v_lshlrev_b64 v[0:1], 4, v[0:1]
	v_mov_b32_e32 v2, s13
	v_add_co_u32_e32 v38, vcc, s12, v0
	s_cselect_b32 s18, s25, 0
	v_addc_co_u32_e32 v39, vcc, v2, v1, vcc
	v_cmp_eq_u32_e64 s[0:1], 0, v202
	s_and_saveexec_b64 s[4:5], s[0:1]
	s_cbranch_execz .LBB188_14
; %bb.10:
	s_cmp_lg_u32 s18, 0
	s_cselect_b64 s[8:9], -1, 0
	v_cmp_le_i32_e32 vcc, s18, v201
	v_mov_b32_e32 v0, 0x4700
	s_and_b64 s[8:9], s[8:9], vcc
	v_lshl_add_u32 v0, v201, 4, v0
	s_and_saveexec_b64 s[10:11], s[8:9]
	s_xor_b64 s[8:9], exec, s[10:11]
	s_cbranch_execz .LBB188_12
; %bb.11:
	v_mov_b32_e32 v2, 0
	v_mov_b32_e32 v3, v2
	;; [unrolled: 1-line block ×4, first 2 shown]
	ds_write_b128 v0, v[2:5]
                                        ; implicit-def: $vgpr0
.LBB188_12:
	s_andn2_saveexec_b64 s[8:9], s[8:9]
	s_cbranch_execz .LBB188_14
; %bb.13:
	flat_load_dwordx4 v[2:5], v[38:39]
	s_waitcnt vmcnt(0) lgkmcnt(0)
	ds_write2_b64 v0, v[2:3], v[4:5] offset1:1
.LBB188_14:
	s_or_b64 exec, exec, s[4:5]
	s_ashr_i32 s29, s28, 31
	v_lshl_add_u32 v42, v202, 6, v201
	s_lshl_b64 s[4:5], s[28:29], 4
	v_and_b32_e32 v4, 31, v201
	v_lshrrev_b32_e32 v12, 5, v42
	s_add_u32 s4, s2, s4
	v_mov_b32_e32 v5, 0
	s_addc_u32 s5, s3, s5
	v_mad_u64_u32 v[0:1], s[2:3], v12, s22, v[4:5]
	v_mov_b32_e32 v2, v1
	v_mad_u64_u32 v[2:3], s[2:3], v12, s23, v[2:3]
	s_mul_i32 s2, s28, s23
	s_mul_hi_u32 s3, s28, s22
	s_add_i32 s2, s3, s2
	s_mul_i32 s3, s29, s22
	s_add_i32 s3, s2, s3
	s_mul_i32 s2, s28, s22
	s_lshl_b64 s[2:3], s[2:3], 4
	s_add_u32 s2, s2, s4
	v_mov_b32_e32 v1, v2
	s_addc_u32 s3, s3, s5
	v_lshlrev_b64 v[36:37], 4, v[0:1]
	s_cmp_eq_u32 s18, 0
	v_mov_b32_e32 v1, s3
	v_add_co_u32_e32 v0, vcc, s2, v36
	s_cselect_b64 s[20:21], -1, 0
	s_cmp_lg_u32 s18, 0
	v_addc_co_u32_e32 v1, vcc, v1, v37, vcc
	s_cselect_b64 s[30:31], -1, 0
	s_and_b64 vcc, exec, s[30:31]
	v_cmp_gt_i32_e64 s[2:3], s18, v4
	v_lshlrev_b32_e32 v13, 4, v4
	v_mul_u32_u24_e32 v5, 33, v12
	s_mul_i32 s39, s23, 0x180
	s_cbranch_vccz .LBB188_32
; %bb.15:
	v_sub_co_u32_e32 v2, vcc, v0, v13
	s_ashr_i32 s19, s18, 31
	v_subbrev_co_u32_e32 v3, vcc, 0, v1, vcc
	s_lshl_b64 s[4:5], s[18:19], 4
	v_mov_b32_e32 v6, s5
	v_add_co_u32_e32 v2, vcc, s4, v2
	v_addc_co_u32_e32 v3, vcc, v3, v6, vcc
	v_add_co_u32_e32 v2, vcc, -16, v2
	v_addc_co_u32_e32 v3, vcc, -1, v3, vcc
	v_cndmask_b32_e64 v3, v3, v1, s[2:3]
	v_cndmask_b32_e64 v2, v2, v0, s[2:3]
	v_cmp_le_i32_e32 vcc, s18, v12
	v_add_lshl_u32 v6, v5, v4, 4
	s_and_saveexec_b64 s[8:9], vcc
	s_xor_b64 s[8:9], exec, s[8:9]
	s_cbranch_execz .LBB188_17
; %bb.16:
	v_mov_b32_e32 v8, 0
	v_mov_b32_e32 v9, v8
	;; [unrolled: 1-line block ×4, first 2 shown]
	ds_write_b128 v6, v[8:11]
.LBB188_17:
	s_andn2_saveexec_b64 s[8:9], s[8:9]
	s_cbranch_execz .LBB188_19
; %bb.18:
	flat_load_dwordx4 v[8:11], v[2:3]
	s_waitcnt vmcnt(0) lgkmcnt(0)
	ds_write2_b64 v6, v[8:9], v[10:11] offset1:1
.LBB188_19:
	s_or_b64 exec, exec, s[8:9]
	v_add_u32_e32 v7, 8, v12
	v_cmp_le_i32_e32 vcc, s18, v7
	s_and_saveexec_b64 s[8:9], vcc
	s_xor_b64 s[8:9], exec, s[8:9]
	s_cbranch_execz .LBB188_21
; %bb.20:
	v_mul_u32_u24_e32 v7, 33, v7
	v_mov_b32_e32 v8, 0
	v_add_lshl_u32 v7, v7, v4, 4
	v_mov_b32_e32 v9, v8
	v_mov_b32_e32 v10, v8
	v_mov_b32_e32 v11, v8
	ds_write_b128 v7, v[8:11]
.LBB188_21:
	s_andn2_saveexec_b64 s[8:9], s[8:9]
	s_cbranch_execz .LBB188_23
; %bb.22:
	s_lshl_b64 s[10:11], s[22:23], 7
	v_mov_b32_e32 v7, s11
	v_add_co_u32_e32 v8, vcc, s10, v2
	v_addc_co_u32_e32 v9, vcc, v3, v7, vcc
	flat_load_dwordx4 v[8:11], v[8:9]
	v_add_u32_e32 v7, 0x1080, v6
	s_waitcnt vmcnt(0) lgkmcnt(0)
	ds_write2_b64 v7, v[8:9], v[10:11] offset1:1
.LBB188_23:
	s_or_b64 exec, exec, s[8:9]
	v_add_u32_e32 v7, 16, v12
	v_cmp_le_i32_e32 vcc, s18, v7
	s_and_saveexec_b64 s[8:9], vcc
	s_xor_b64 s[8:9], exec, s[8:9]
	s_cbranch_execz .LBB188_25
; %bb.24:
	v_mov_b32_e32 v8, 0
	v_mov_b32_e32 v9, v8
	;; [unrolled: 1-line block ×4, first 2 shown]
	ds_write_b128 v6, v[8:11] offset:8448
.LBB188_25:
	s_andn2_saveexec_b64 s[8:9], s[8:9]
	s_cbranch_execz .LBB188_27
; %bb.26:
	s_lshl_b64 s[10:11], s[22:23], 8
	v_mov_b32_e32 v7, s11
	v_add_co_u32_e32 v8, vcc, s10, v2
	v_addc_co_u32_e32 v9, vcc, v3, v7, vcc
	flat_load_dwordx4 v[8:11], v[8:9]
	v_add_u32_e32 v7, 0x2100, v6
	s_waitcnt vmcnt(0) lgkmcnt(0)
	ds_write2_b64 v7, v[8:9], v[10:11] offset1:1
.LBB188_27:
	s_or_b64 exec, exec, s[8:9]
	v_add_u32_e32 v7, 24, v12
	v_cmp_le_i32_e32 vcc, s18, v7
	s_and_saveexec_b64 s[8:9], vcc
	s_xor_b64 s[8:9], exec, s[8:9]
	s_cbranch_execz .LBB188_29
; %bb.28:
	v_mov_b32_e32 v8, 0
	v_mov_b32_e32 v9, v8
	;; [unrolled: 1-line block ×4, first 2 shown]
	ds_write_b128 v6, v[8:11] offset:12672
                                        ; implicit-def: $vgpr6
.LBB188_29:
	s_andn2_saveexec_b64 s[8:9], s[8:9]
	s_cbranch_execz .LBB188_31
; %bb.30:
	v_mov_b32_e32 v7, 0x180
	v_mad_u64_u32 v[8:9], s[10:11], s22, v7, v[2:3]
	v_add_u32_e32 v9, s39, v9
	flat_load_dwordx4 v[8:11], v[8:9]
	v_add_u32_e32 v6, 0x3180, v6
	s_waitcnt vmcnt(0) lgkmcnt(0)
	ds_write2_b64 v6, v[8:9], v[10:11] offset1:1
.LBB188_31:
	s_or_b64 exec, exec, s[8:9]
	v_add_co_u32_e32 v2, vcc, v2, v13
	v_addc_co_u32_e32 v3, vcc, 0, v3, vcc
	v_mov_b32_e32 v6, s5
	v_subrev_co_u32_e32 v2, vcc, s4, v2
	v_subb_co_u32_e32 v3, vcc, v3, v6, vcc
	v_add_co_u32_e32 v2, vcc, 16, v2
	v_addc_co_u32_e32 v3, vcc, 0, v3, vcc
	v_cndmask_b32_e64 v7, v3, v1, s[2:3]
	v_cndmask_b32_e64 v6, v2, v0, s[2:3]
	s_branch .LBB188_34
.LBB188_32:
                                        ; implicit-def: $vgpr6_vgpr7
	s_cbranch_execz .LBB188_34
; %bb.33:
	flat_load_dwordx4 v[6:9], v[0:1]
	s_lshl_b64 s[2:3], s[22:23], 7
	v_add_lshl_u32 v10, v5, v4, 4
	v_mov_b32_e32 v11, s3
	v_add_co_u32_e32 v2, vcc, s2, v0
	v_addc_co_u32_e32 v3, vcc, v1, v11, vcc
	v_add_u32_e32 v14, 0x1080, v10
	s_waitcnt vmcnt(0) lgkmcnt(0)
	ds_write2_b64 v10, v[6:7], v[8:9] offset1:1
	flat_load_dwordx4 v[6:9], v[2:3]
	v_add_co_u32_e32 v2, vcc, s2, v2
	v_addc_co_u32_e32 v3, vcc, v3, v11, vcc
	v_add_u32_e32 v11, 0x2100, v10
	s_waitcnt vmcnt(0) lgkmcnt(0)
	ds_write2_b64 v14, v[6:7], v[8:9] offset1:1
	flat_load_dwordx4 v[6:9], v[2:3]
	v_mov_b32_e32 v2, 0x180
	v_mad_u64_u32 v[2:3], s[2:3], s22, v2, v[0:1]
	v_add_u32_e32 v3, s39, v3
	s_waitcnt vmcnt(0) lgkmcnt(0)
	ds_write2_b64 v11, v[6:7], v[8:9] offset1:1
	flat_load_dwordx4 v[6:9], v[2:3]
	v_add_u32_e32 v2, 0x3180, v10
	s_waitcnt vmcnt(0) lgkmcnt(0)
	ds_write2_b64 v2, v[6:7], v[8:9] offset1:1
	v_pk_mov_b32 v[6:7], v[0:1], v[0:1] op_sel:[0,1]
.LBB188_34:
	v_lshlrev_b32_e32 v0, 2, v12
	v_mul_u32_u24_e32 v14, 33, v4
	v_cmp_gt_u32_e64 s[4:5], v0, v4
	v_add_lshl_u32 v16, v0, v14, 4
	s_waitcnt lgkmcnt(0)
	s_barrier
	s_and_saveexec_b64 s[2:3], s[4:5]
	s_cbranch_execz .LBB188_36
; %bb.35:
	v_mul_u32_u24_e32 v1, 0x84, v12
	v_add_lshl_u32 v1, v1, v4, 4
	ds_read_b128 v[8:11], v1
	s_waitcnt lgkmcnt(0)
	ds_write_b128 v16, v[8:11]
.LBB188_36:
	s_or_b64 exec, exec, s[2:3]
	v_cmp_ge_u32_e64 s[14:15], v0, v4
	s_and_saveexec_b64 s[2:3], s[14:15]
	s_cbranch_execz .LBB188_38
; %bb.37:
	v_or_b32_e32 v1, 1, v0
	v_mul_u32_u24_e32 v1, 33, v1
	v_add_lshl_u32 v1, v1, v4, 4
	ds_read_b128 v[8:11], v1
	s_waitcnt lgkmcnt(0)
	ds_write_b128 v16, v[8:11] offset:16
.LBB188_38:
	s_or_b64 exec, exec, s[2:3]
	v_or_b32_e32 v1, 2, v0
	v_cmp_gt_u32_e64 s[8:9], v1, v4
	s_and_saveexec_b64 s[2:3], s[8:9]
	s_cbranch_execz .LBB188_40
; %bb.39:
	v_mul_u32_u24_e32 v1, 33, v1
	v_add_lshl_u32 v1, v1, v4, 4
	ds_read_b128 v[8:11], v1
	s_waitcnt lgkmcnt(0)
	ds_write_b128 v16, v[8:11] offset:32
.LBB188_40:
	s_or_b64 exec, exec, s[2:3]
	v_or_b32_e32 v1, 3, v0
	v_cmp_gt_u32_e64 s[10:11], v1, v4
	v_mad_u32_u24 v1, v1, 33, v4
	v_lshlrev_b32_e32 v15, 4, v1
	s_and_saveexec_b64 s[2:3], s[10:11]
	s_cbranch_execz .LBB188_42
; %bb.41:
	ds_read_b128 v[8:11], v15
	s_waitcnt lgkmcnt(0)
	ds_write_b128 v16, v[8:11] offset:48
.LBB188_42:
	s_or_b64 exec, exec, s[2:3]
	v_mul_u32_u24_e32 v1, 0x84, v12
	v_lshlrev_b32_e32 v17, 4, v0
	s_waitcnt lgkmcnt(0)
	s_barrier
	v_add_lshl_u32 v24, v1, v4, 4
	ds_read_b128 v[0:3], v17 offset:18176
	ds_read_b128 v[8:11], v24
	ds_read_b128 v[18:21], v17 offset:18192
	ds_read_b128 v[26:29], v17 offset:18208
	v_add_u32_e32 v25, 0xfffffbe0, v15
	ds_read_b128 v[30:33], v25
	ds_read_b128 v[44:47], v25 offset:528
	s_waitcnt lgkmcnt(4)
	v_mul_f64 v[22:23], v[2:3], v[10:11]
	v_fma_f64 v[22:23], v[0:1], v[8:9], -v[22:23]
	v_mul_f64 v[0:1], v[0:1], v[10:11]
	v_fmac_f64_e32 v[0:1], v[2:3], v[8:9]
	s_waitcnt lgkmcnt(1)
	v_mul_f64 v[10:11], v[18:19], v[32:33]
	v_add_f64 v[0:1], v[0:1], 0
	v_mul_f64 v[8:9], v[20:21], v[32:33]
	v_fmac_f64_e32 v[10:11], v[20:21], v[30:31]
	v_add_f64 v[2:3], v[22:23], 0
	v_fma_f64 v[8:9], v[18:19], v[30:31], -v[8:9]
	v_add_f64 v[20:21], v[0:1], v[10:11]
	s_waitcnt lgkmcnt(0)
	v_mul_f64 v[0:1], v[28:29], v[46:47]
	v_add_f64 v[18:19], v[2:3], v[8:9]
	v_fma_f64 v[22:23], v[26:27], v[44:45], -v[0:1]
	ds_read_b128 v[0:3], v17 offset:18224
	ds_read_b128 v[8:11], v15
	v_mul_f64 v[26:27], v[26:27], v[46:47]
	v_fmac_f64_e32 v[26:27], v[28:29], v[44:45]
	v_add_f64 v[18:19], v[18:19], v[22:23]
	v_add_f64 v[20:21], v[20:21], v[26:27]
	s_waitcnt lgkmcnt(0)
	v_mul_f64 v[22:23], v[2:3], v[10:11]
	v_mul_f64 v[10:11], v[0:1], v[10:11]
	v_fma_f64 v[22:23], v[0:1], v[8:9], -v[22:23]
	v_fmac_f64_e32 v[10:11], v[2:3], v[8:9]
	v_add_f64 v[0:1], v[18:19], v[22:23]
	v_add_f64 v[2:3], v[20:21], v[10:11]
	v_add_lshl_u32 v44, v12, v14, 4
	s_barrier
	ds_write_b128 v44, v[0:3]
	v_pk_mov_b32 v[0:1], 0, 0
	v_cmp_gt_u32_e64 s[2:3], 32, v42
	v_lshlrev_b32_e32 v43, 4, v14
	v_pk_mov_b32 v[2:3], v[0:1], v[0:1] op_sel:[0,1]
	s_waitcnt lgkmcnt(0)
	s_barrier
	s_and_saveexec_b64 s[12:13], s[2:3]
	s_cbranch_execz .LBB188_44
; %bb.43:
	ds_read_b128 v[0:3], v43
	ds_read_b128 v[8:11], v43 offset:16
	ds_read_b128 v[18:21], v43 offset:32
	;; [unrolled: 1-line block ×3, first 2 shown]
	s_waitcnt lgkmcnt(2)
	v_add_f64 v[0:1], v[8:9], v[0:1]
	v_add_f64 v[8:9], v[10:11], v[2:3]
	s_waitcnt lgkmcnt(1)
	v_add_f64 v[10:11], v[0:1], v[18:19]
	ds_read_b128 v[0:3], v43 offset:64
	v_add_f64 v[8:9], v[8:9], v[20:21]
	s_waitcnt lgkmcnt(1)
	v_add_f64 v[18:19], v[10:11], v[26:27]
	v_add_f64 v[22:23], v[8:9], v[28:29]
	ds_read_b128 v[8:11], v43 offset:80
	s_waitcnt lgkmcnt(1)
	v_add_f64 v[26:27], v[18:19], v[0:1]
	ds_read_b128 v[18:21], v43 offset:96
	v_add_f64 v[22:23], v[22:23], v[2:3]
	ds_read_b128 v[0:3], v43 offset:112
	s_waitcnt lgkmcnt(2)
	v_add_f64 v[8:9], v[26:27], v[8:9]
	v_add_f64 v[10:11], v[22:23], v[10:11]
	s_waitcnt lgkmcnt(1)
	v_add_f64 v[8:9], v[8:9], v[18:19]
	v_add_f64 v[10:11], v[10:11], v[20:21]
	;; [unrolled: 3-line block ×3, first 2 shown]
.LBB188_44:
	s_or_b64 exec, exec, s[12:13]
	s_lshl_b64 s[12:13], s[22:23], 9
	v_mov_b32_e32 v8, s13
	v_add_co_u32_e32 v10, vcc, s12, v6
	v_addc_co_u32_e32 v11, vcc, v7, v8, vcc
	v_add_co_u32_e32 v8, vcc, 0x200, v10
	v_addc_co_u32_e32 v9, vcc, 0, v11, vcc
	s_and_b64 vcc, exec, s[30:31]
	s_barrier
	s_cbranch_vccz .LBB188_62
; %bb.45:
	v_or_b32_e32 v6, 32, v4
	v_lshlrev_b32_e32 v7, 4, v6
	v_sub_co_u32_e32 v7, vcc, v8, v7
	s_ashr_i32 s19, s18, 31
	v_subbrev_co_u32_e32 v18, vcc, 0, v9, vcc
	s_lshl_b64 s[34:35], s[18:19], 4
	v_mov_b32_e32 v19, s35
	v_add_co_u32_e32 v7, vcc, s34, v7
	v_addc_co_u32_e32 v18, vcc, v18, v19, vcc
	v_add_co_u32_e32 v19, vcc, -16, v7
	v_addc_co_u32_e32 v7, vcc, -1, v18, vcc
	v_cmp_gt_i32_e64 s[12:13], s18, v6
	s_sub_i32 s19, s18, 32
	v_cndmask_b32_e64 v7, v7, v9, s[12:13]
	v_cndmask_b32_e64 v6, v19, v8, s[12:13]
	v_cmp_le_i32_e32 vcc, s19, v12
	v_add_lshl_u32 v18, v5, v4, 4
	s_and_saveexec_b64 s[36:37], vcc
	s_xor_b64 s[36:37], exec, s[36:37]
	s_cbranch_execz .LBB188_47
; %bb.46:
	v_mov_b32_e32 v20, 0
	v_mov_b32_e32 v21, v20
	;; [unrolled: 1-line block ×4, first 2 shown]
	ds_write_b128 v18, v[20:23]
.LBB188_47:
	s_andn2_saveexec_b64 s[36:37], s[36:37]
	s_cbranch_execz .LBB188_49
; %bb.48:
	flat_load_dwordx4 v[20:23], v[6:7]
	s_waitcnt vmcnt(0) lgkmcnt(0)
	ds_write2_b64 v18, v[20:21], v[22:23] offset1:1
.LBB188_49:
	s_or_b64 exec, exec, s[36:37]
	v_add_u32_e32 v19, 8, v12
	v_cmp_le_i32_e32 vcc, s19, v19
	s_and_saveexec_b64 s[36:37], vcc
	s_xor_b64 s[36:37], exec, s[36:37]
	s_cbranch_execz .LBB188_51
; %bb.50:
	v_mul_u32_u24_e32 v19, 33, v19
	v_mov_b32_e32 v20, 0
	v_add_lshl_u32 v19, v19, v4, 4
	v_mov_b32_e32 v21, v20
	v_mov_b32_e32 v22, v20
	;; [unrolled: 1-line block ×3, first 2 shown]
	ds_write_b128 v19, v[20:23]
.LBB188_51:
	s_andn2_saveexec_b64 s[36:37], s[36:37]
	s_cbranch_execz .LBB188_53
; %bb.52:
	s_lshl_b64 s[40:41], s[22:23], 7
	v_mov_b32_e32 v19, s41
	v_add_co_u32_e32 v20, vcc, s40, v6
	v_addc_co_u32_e32 v21, vcc, v7, v19, vcc
	flat_load_dwordx4 v[20:23], v[20:21]
	v_add_u32_e32 v19, 0x1080, v18
	s_waitcnt vmcnt(0) lgkmcnt(0)
	ds_write2_b64 v19, v[20:21], v[22:23] offset1:1
.LBB188_53:
	s_or_b64 exec, exec, s[36:37]
	v_add_u32_e32 v19, 16, v12
	v_cmp_le_i32_e32 vcc, s19, v19
	s_and_saveexec_b64 s[36:37], vcc
	s_xor_b64 s[36:37], exec, s[36:37]
	s_cbranch_execz .LBB188_55
; %bb.54:
	v_mov_b32_e32 v20, 0
	v_mov_b32_e32 v21, v20
	;; [unrolled: 1-line block ×4, first 2 shown]
	ds_write_b128 v18, v[20:23] offset:8448
.LBB188_55:
	s_andn2_saveexec_b64 s[36:37], s[36:37]
	s_cbranch_execz .LBB188_57
; %bb.56:
	s_lshl_b64 s[40:41], s[22:23], 8
	v_mov_b32_e32 v19, s41
	v_add_co_u32_e32 v20, vcc, s40, v6
	v_addc_co_u32_e32 v21, vcc, v7, v19, vcc
	flat_load_dwordx4 v[20:23], v[20:21]
	v_add_u32_e32 v19, 0x2100, v18
	s_waitcnt vmcnt(0) lgkmcnt(0)
	ds_write2_b64 v19, v[20:21], v[22:23] offset1:1
.LBB188_57:
	s_or_b64 exec, exec, s[36:37]
	v_add_u32_e32 v19, 24, v12
	v_cmp_le_i32_e32 vcc, s19, v19
	s_and_saveexec_b64 s[36:37], vcc
	s_xor_b64 s[36:37], exec, s[36:37]
	s_cbranch_execz .LBB188_59
; %bb.58:
	v_mov_b32_e32 v20, 0
	v_mov_b32_e32 v21, v20
	;; [unrolled: 1-line block ×4, first 2 shown]
	ds_write_b128 v18, v[20:23] offset:12672
                                        ; implicit-def: $vgpr18
.LBB188_59:
	s_andn2_saveexec_b64 s[36:37], s[36:37]
	s_cbranch_execz .LBB188_61
; %bb.60:
	v_mov_b32_e32 v19, 0x180
	v_mad_u64_u32 v[20:21], s[40:41], s22, v19, v[6:7]
	v_add_u32_e32 v21, s39, v21
	flat_load_dwordx4 v[20:23], v[20:21]
	v_add_u32_e32 v18, 0x3180, v18
	s_waitcnt vmcnt(0) lgkmcnt(0)
	ds_write2_b64 v18, v[20:21], v[22:23] offset1:1
.LBB188_61:
	s_or_b64 exec, exec, s[36:37]
	v_add_co_u32_e32 v6, vcc, v6, v13
	v_addc_co_u32_e32 v7, vcc, 0, v7, vcc
	v_mov_b32_e32 v18, s35
	v_subrev_co_u32_e32 v6, vcc, s34, v6
	v_subb_co_u32_e32 v7, vcc, v7, v18, vcc
	v_add_co_u32_e32 v6, vcc, 0x210, v6
	v_addc_co_u32_e32 v7, vcc, 0, v7, vcc
	v_cndmask_b32_e64 v7, v7, v9, s[12:13]
	v_cndmask_b32_e64 v6, v6, v8, s[12:13]
	s_branch .LBB188_64
.LBB188_62:
                                        ; implicit-def: $vgpr6_vgpr7
	s_cbranch_execz .LBB188_64
; %bb.63:
	flat_load_dwordx4 v[18:21], v[8:9]
	s_lshl_b64 s[12:13], s[22:23], 7
	v_add_lshl_u32 v22, v5, v4, 4
	v_mov_b32_e32 v23, s13
	v_add_co_u32_e32 v6, vcc, s12, v10
	v_addc_co_u32_e32 v7, vcc, v11, v23, vcc
	v_add_u32_e32 v26, 0x1080, v22
	s_waitcnt vmcnt(0) lgkmcnt(0)
	ds_write2_b64 v22, v[18:19], v[20:21] offset1:1
	flat_load_dwordx4 v[18:21], v[6:7] offset:512
	v_add_co_u32_e32 v6, vcc, s12, v6
	v_addc_co_u32_e32 v7, vcc, v7, v23, vcc
	v_add_u32_e32 v23, 0x2100, v22
	s_waitcnt vmcnt(0) lgkmcnt(0)
	ds_write2_b64 v26, v[18:19], v[20:21] offset1:1
	flat_load_dwordx4 v[18:21], v[6:7] offset:512
	v_mov_b32_e32 v6, 0x180
	v_mad_u64_u32 v[6:7], s[12:13], s22, v6, v[10:11]
	v_add_u32_e32 v7, s39, v7
	s_waitcnt vmcnt(0) lgkmcnt(0)
	ds_write2_b64 v23, v[18:19], v[20:21] offset1:1
	flat_load_dwordx4 v[18:21], v[6:7] offset:512
	v_add_u32_e32 v6, 0x3180, v22
	s_waitcnt vmcnt(0) lgkmcnt(0)
	ds_write2_b64 v6, v[18:19], v[20:21] offset1:1
	v_pk_mov_b32 v[6:7], v[8:9], v[8:9] op_sel:[0,1]
.LBB188_64:
	s_waitcnt lgkmcnt(0)
	s_barrier
	s_and_saveexec_b64 s[12:13], s[4:5]
	s_cbranch_execnz .LBB188_89
; %bb.65:
	s_or_b64 exec, exec, s[12:13]
	s_and_saveexec_b64 s[4:5], s[14:15]
	s_cbranch_execnz .LBB188_90
.LBB188_66:
	s_or_b64 exec, exec, s[4:5]
	s_and_saveexec_b64 s[4:5], s[8:9]
	s_cbranch_execnz .LBB188_91
.LBB188_67:
	s_or_b64 exec, exec, s[4:5]
	v_add_u32_e32 v26, 0x4700, v17
	s_and_saveexec_b64 s[4:5], s[10:11]
	s_cbranch_execz .LBB188_69
.LBB188_68:
	ds_read_b128 v[8:11], v15
	s_waitcnt lgkmcnt(0)
	ds_write_b128 v16, v[8:11] offset:48
.LBB188_69:
	s_or_b64 exec, exec, s[4:5]
	s_waitcnt lgkmcnt(0)
	s_barrier
	ds_read_b128 v[8:11], v26 offset:512
	ds_read_b128 v[16:19], v24
	ds_read_b128 v[20:23], v26 offset:528
	ds_read_b128 v[28:31], v26 offset:544
	v_cmp_eq_u32_e64 s[4:5], 1, v12
	s_waitcnt lgkmcnt(2)
	v_mul_f64 v[32:33], v[10:11], v[18:19]
	v_fma_f64 v[40:41], v[8:9], v[16:17], -v[32:33]
	ds_read_b128 v[32:35], v26 offset:560
	ds_read_b128 v[46:49], v25
	v_mul_f64 v[8:9], v[8:9], v[18:19]
	v_fmac_f64_e32 v[8:9], v[10:11], v[16:17]
	v_add_f64 v[18:19], v[8:9], 0
	v_add_f64 v[16:17], v[40:41], 0
	s_waitcnt lgkmcnt(0)
	v_mul_f64 v[8:9], v[22:23], v[48:49]
	v_fma_f64 v[40:41], v[20:21], v[46:47], -v[8:9]
	v_mul_f64 v[20:21], v[20:21], v[48:49]
	ds_read_b128 v[8:11], v25 offset:528
	v_fmac_f64_e32 v[20:21], v[22:23], v[46:47]
	v_add_f64 v[22:23], v[16:17], v[40:41]
	v_add_f64 v[20:21], v[18:19], v[20:21]
	ds_read_b128 v[16:19], v15
	s_waitcnt lgkmcnt(1)
	v_mul_f64 v[40:41], v[30:31], v[10:11]
	v_mul_f64 v[10:11], v[28:29], v[10:11]
	v_fmac_f64_e32 v[10:11], v[30:31], v[8:9]
	v_fma_f64 v[40:41], v[28:29], v[8:9], -v[40:41]
	v_add_f64 v[10:11], v[20:21], v[10:11]
	s_waitcnt lgkmcnt(0)
	v_mul_f64 v[20:21], v[34:35], v[18:19]
	v_mul_f64 v[18:19], v[32:33], v[18:19]
	v_add_f64 v[8:9], v[22:23], v[40:41]
	v_fma_f64 v[20:21], v[32:33], v[16:17], -v[20:21]
	v_fmac_f64_e32 v[18:19], v[34:35], v[16:17]
	v_add_f64 v[8:9], v[8:9], v[20:21]
	v_add_f64 v[10:11], v[10:11], v[18:19]
	s_barrier
	ds_write_b128 v44, v[8:11]
	s_waitcnt lgkmcnt(0)
	s_barrier
	s_and_saveexec_b64 s[8:9], s[4:5]
	s_cbranch_execz .LBB188_71
; %bb.70:
	ds_read_b128 v[0:3], v43
	ds_read_b128 v[8:11], v43 offset:16
	ds_read_b128 v[16:19], v43 offset:32
	;; [unrolled: 1-line block ×3, first 2 shown]
	s_waitcnt lgkmcnt(2)
	v_add_f64 v[0:1], v[8:9], v[0:1]
	v_add_f64 v[8:9], v[10:11], v[2:3]
	s_waitcnt lgkmcnt(1)
	v_add_f64 v[10:11], v[0:1], v[16:17]
	ds_read_b128 v[0:3], v43 offset:64
	v_add_f64 v[8:9], v[8:9], v[18:19]
	s_waitcnt lgkmcnt(1)
	v_add_f64 v[16:17], v[10:11], v[20:21]
	v_add_f64 v[20:21], v[8:9], v[22:23]
	ds_read_b128 v[8:11], v43 offset:80
	s_waitcnt lgkmcnt(1)
	v_add_f64 v[22:23], v[16:17], v[0:1]
	ds_read_b128 v[16:19], v43 offset:96
	v_add_f64 v[20:21], v[20:21], v[2:3]
	ds_read_b128 v[0:3], v43 offset:112
	s_waitcnt lgkmcnt(2)
	v_add_f64 v[8:9], v[22:23], v[8:9]
	v_add_f64 v[10:11], v[20:21], v[10:11]
	s_waitcnt lgkmcnt(1)
	v_add_f64 v[8:9], v[8:9], v[16:17]
	v_add_f64 v[10:11], v[10:11], v[18:19]
	;; [unrolled: 3-line block ×3, first 2 shown]
.LBB188_71:
	s_or_b64 exec, exec, s[8:9]
	v_add_co_u32_e32 v6, vcc, 0xfffffe00, v6
	v_addc_co_u32_e32 v7, vcc, -1, v7, vcc
	s_and_b64 vcc, exec, s[30:31]
	s_barrier
	s_cbranch_vccz .LBB188_92
; %bb.72:
	v_sub_co_u32_e32 v8, vcc, v6, v13
	s_ashr_i32 s19, s18, 31
	v_subbrev_co_u32_e32 v9, vcc, 0, v7, vcc
	s_lshl_b64 s[10:11], s[18:19], 4
	v_mov_b32_e32 v10, s11
	v_add_co_u32_e32 v8, vcc, s10, v8
	v_addc_co_u32_e32 v9, vcc, v9, v10, vcc
	v_add_co_u32_e32 v8, vcc, -16, v8
	v_addc_co_u32_e32 v9, vcc, -1, v9, vcc
	v_cmp_gt_i32_e32 vcc, s18, v4
	s_sub_i32 s14, s18, 32
	v_cndmask_b32_e32 v9, v9, v7, vcc
	v_cndmask_b32_e32 v8, v8, v6, vcc
	v_cmp_le_i32_e64 s[8:9], s14, v12
	v_add_lshl_u32 v17, v5, v4, 4
	s_and_saveexec_b64 s[12:13], s[8:9]
	s_xor_b64 s[8:9], exec, s[12:13]
	s_cbranch_execz .LBB188_74
; %bb.73:
	v_mov_b32_e32 v18, 0
	v_mov_b32_e32 v19, v18
	;; [unrolled: 1-line block ×4, first 2 shown]
	ds_write_b128 v17, v[18:21]
.LBB188_74:
	s_andn2_saveexec_b64 s[8:9], s[8:9]
	s_cbranch_execz .LBB188_76
; %bb.75:
	flat_load_dwordx4 v[18:21], v[8:9]
	s_waitcnt vmcnt(0) lgkmcnt(0)
	ds_write2_b64 v17, v[18:19], v[20:21] offset1:1
.LBB188_76:
	s_or_b64 exec, exec, s[8:9]
	v_add_u32_e32 v10, 8, v12
	v_cmp_le_i32_e64 s[8:9], s14, v10
	s_and_saveexec_b64 s[12:13], s[8:9]
	s_xor_b64 s[8:9], exec, s[12:13]
	s_cbranch_execz .LBB188_78
; %bb.77:
	v_mul_u32_u24_e32 v11, 33, v10
	v_mov_b32_e32 v18, 0
	v_add_lshl_u32 v11, v11, v4, 4
	v_mov_b32_e32 v19, v18
	v_mov_b32_e32 v20, v18
	;; [unrolled: 1-line block ×3, first 2 shown]
	ds_write_b128 v11, v[18:21]
.LBB188_78:
	s_andn2_saveexec_b64 s[12:13], s[8:9]
	s_cbranch_execz .LBB188_80
; %bb.79:
	s_lshl_b64 s[8:9], s[22:23], 7
	v_mov_b32_e32 v11, s9
	v_add_co_u32_e64 v18, s[8:9], s8, v8
	v_addc_co_u32_e64 v19, s[8:9], v9, v11, s[8:9]
	flat_load_dwordx4 v[18:21], v[18:19]
	v_add_u32_e32 v11, 0x1080, v17
	s_waitcnt vmcnt(0) lgkmcnt(0)
	ds_write2_b64 v11, v[18:19], v[20:21] offset1:1
.LBB188_80:
	s_or_b64 exec, exec, s[12:13]
	v_add_u32_e32 v11, 16, v12
	v_cmp_le_i32_e64 s[8:9], s14, v11
	s_and_saveexec_b64 s[12:13], s[8:9]
	s_xor_b64 s[8:9], exec, s[12:13]
	s_cbranch_execz .LBB188_82
; %bb.81:
	v_mov_b32_e32 v18, 0
	v_mov_b32_e32 v19, v18
	;; [unrolled: 1-line block ×4, first 2 shown]
	ds_write_b128 v17, v[18:21] offset:8448
.LBB188_82:
	s_andn2_saveexec_b64 s[12:13], s[8:9]
	s_cbranch_execz .LBB188_84
; %bb.83:
	s_lshl_b64 s[8:9], s[22:23], 8
	v_mov_b32_e32 v16, s9
	v_add_co_u32_e64 v18, s[8:9], s8, v8
	v_addc_co_u32_e64 v19, s[8:9], v9, v16, s[8:9]
	flat_load_dwordx4 v[18:21], v[18:19]
	v_add_u32_e32 v16, 0x2100, v17
	s_waitcnt vmcnt(0) lgkmcnt(0)
	ds_write2_b64 v16, v[18:19], v[20:21] offset1:1
.LBB188_84:
	s_or_b64 exec, exec, s[12:13]
	v_add_u32_e32 v16, 24, v12
	v_cmp_le_i32_e64 s[8:9], s14, v16
	s_and_saveexec_b64 s[12:13], s[8:9]
	s_xor_b64 s[8:9], exec, s[12:13]
	s_cbranch_execz .LBB188_86
; %bb.85:
	v_mov_b32_e32 v18, 0
	v_mov_b32_e32 v19, v18
	;; [unrolled: 1-line block ×4, first 2 shown]
	ds_write_b128 v17, v[18:21] offset:12672
                                        ; implicit-def: $vgpr17
.LBB188_86:
	s_andn2_saveexec_b64 s[8:9], s[8:9]
	s_cbranch_execz .LBB188_88
; %bb.87:
	v_mov_b32_e32 v18, 0x180
	v_mad_u64_u32 v[18:19], s[12:13], s22, v18, v[8:9]
	v_add_u32_e32 v19, s39, v19
	flat_load_dwordx4 v[18:21], v[18:19]
	v_add_u32_e32 v17, 0x3180, v17
	s_waitcnt vmcnt(0) lgkmcnt(0)
	ds_write2_b64 v17, v[18:19], v[20:21] offset1:1
.LBB188_88:
	s_or_b64 exec, exec, s[8:9]
	v_add_co_u32_e64 v8, s[8:9], v8, v13
	v_addc_co_u32_e64 v9, s[8:9], 0, v9, s[8:9]
	v_mov_b32_e32 v13, s11
	v_subrev_co_u32_e64 v8, s[8:9], s10, v8
	v_subb_co_u32_e64 v9, s[8:9], v9, v13, s[8:9]
	v_add_co_u32_e64 v8, s[8:9], 16, v8
	v_addc_co_u32_e64 v9, s[8:9], 0, v9, s[8:9]
	v_cndmask_b32_e32 v41, v9, v7, vcc
	v_cndmask_b32_e32 v40, v8, v6, vcc
	s_branch .LBB188_94
.LBB188_89:
	ds_read_b128 v[8:11], v24
	s_waitcnt lgkmcnt(0)
	ds_write_b128 v16, v[8:11]
	s_or_b64 exec, exec, s[12:13]
	s_and_saveexec_b64 s[4:5], s[14:15]
	s_cbranch_execz .LBB188_66
.LBB188_90:
	ds_read_b128 v[8:11], v25
	s_waitcnt lgkmcnt(0)
	ds_write_b128 v16, v[8:11] offset:16
	s_or_b64 exec, exec, s[4:5]
	s_and_saveexec_b64 s[4:5], s[8:9]
	s_cbranch_execz .LBB188_67
.LBB188_91:
	v_add_u32_e32 v8, 0x210, v25
	ds_read_b128 v[8:11], v8
	s_waitcnt lgkmcnt(0)
	ds_write_b128 v16, v[8:11] offset:32
	s_or_b64 exec, exec, s[4:5]
	v_add_u32_e32 v26, 0x4700, v17
	s_and_saveexec_b64 s[4:5], s[10:11]
	s_cbranch_execnz .LBB188_68
	s_branch .LBB188_69
.LBB188_92:
                                        ; implicit-def: $vgpr40_vgpr41
                                        ; implicit-def: $vgpr10
                                        ; implicit-def: $vgpr11
                                        ; implicit-def: $vgpr16
	s_cbranch_execz .LBB188_94
; %bb.93:
	flat_load_dwordx4 v[8:11], v[6:7]
	s_lshl_b64 s[8:9], s[22:23], 7
	v_add_lshl_u32 v13, v5, v4, 4
	v_mov_b32_e32 v16, s9
	v_add_co_u32_e32 v4, vcc, s8, v6
	v_addc_co_u32_e32 v5, vcc, v7, v16, vcc
	v_add_u32_e32 v17, 0x1080, v13
	v_pk_mov_b32 v[40:41], v[6:7], v[6:7] op_sel:[0,1]
	s_waitcnt vmcnt(0) lgkmcnt(0)
	ds_write2_b64 v13, v[8:9], v[10:11] offset1:1
	flat_load_dwordx4 v[8:11], v[4:5]
	v_add_co_u32_e32 v4, vcc, s8, v4
	v_addc_co_u32_e32 v5, vcc, v5, v16, vcc
	v_add_u32_e32 v16, 0x2100, v13
	s_waitcnt vmcnt(0) lgkmcnt(0)
	ds_write2_b64 v17, v[8:9], v[10:11] offset1:1
	flat_load_dwordx4 v[8:11], v[4:5]
	v_mov_b32_e32 v4, 0x180
	v_mad_u64_u32 v[4:5], s[8:9], s22, v4, v[6:7]
	v_add_u32_e32 v5, s39, v5
	s_waitcnt vmcnt(0) lgkmcnt(0)
	ds_write2_b64 v16, v[8:9], v[10:11] offset1:1
	flat_load_dwordx4 v[18:21], v[4:5]
	v_add_u32_e32 v10, 8, v12
	v_add_u32_e32 v11, 16, v12
	;; [unrolled: 1-line block ×4, first 2 shown]
	s_waitcnt vmcnt(0) lgkmcnt(0)
	ds_write2_b64 v4, v[18:19], v[20:21] offset1:1
.LBB188_94:
	v_lshlrev_b32_e32 v4, 4, v12
	s_waitcnt lgkmcnt(0)
	s_barrier
	ds_read_b128 v[46:49], v44
	ds_read_b128 v[50:53], v4 offset:18176
	v_add_lshl_u32 v4, v10, v14, 4
	v_lshlrev_b32_e32 v10, 4, v10
	ds_read_b128 v[54:57], v4
	ds_read_b128 v[4:7], v25 offset:528
	ds_read_b128 v[58:61], v10 offset:18176
	s_waitcnt lgkmcnt(3)
	v_mul_f64 v[8:9], v[48:49], v[52:53]
	v_fma_f64 v[8:9], v[46:47], v[50:51], -v[8:9]
	v_add_f64 v[8:9], v[8:9], 0
	v_add_lshl_u32 v10, v11, v14, 4
	s_waitcnt lgkmcnt(0)
	v_mul_f64 v[12:13], v[56:57], v[60:61]
	v_fma_f64 v[12:13], v[54:55], v[58:59], -v[12:13]
	v_add_f64 v[8:9], v[8:9], v[12:13]
	v_lshlrev_b32_e32 v12, 4, v16
	ds_read_b128 v[62:65], v10
	ds_read_b128 v[70:73], v12 offset:18176
	v_lshlrev_b32_e32 v10, 4, v11
	ds_read_b128 v[66:69], v10 offset:18176
	v_add_lshl_u32 v10, v16, v14, 4
	v_mul_f64 v[74:75], v[46:47], v[52:53]
	v_mul_f64 v[60:61], v[54:55], v[60:61]
	ds_read_b128 v[52:55], v10
	s_waitcnt lgkmcnt(1)
	v_mul_f64 v[10:11], v[64:65], v[68:69]
	v_fma_f64 v[10:11], v[62:63], v[66:67], -v[10:11]
	v_add_f64 v[12:13], v[8:9], v[10:11]
	ds_read_b128 v[8:11], v15
	s_waitcnt lgkmcnt(1)
	v_mul_f64 v[14:15], v[54:55], v[72:73]
	v_fma_f64 v[14:15], v[52:53], v[70:71], -v[14:15]
	v_add_f64 v[46:47], v[12:13], v[14:15]
	ds_read_b128 v[20:23], v26 offset:528
	ds_read_b128 v[16:19], v26 offset:544
	;; [unrolled: 1-line block ×3, first 2 shown]
	ds_read_b128 v[32:35], v24
	ds_read_b128 v[12:15], v26 offset:560
	ds_read_b128 v[24:27], v25
	v_fmac_f64_e32 v[74:75], v[48:49], v[50:51]
	v_mul_f64 v[62:63], v[62:63], v[68:69]
	v_add_f64 v[48:49], v[74:75], 0
	v_fmac_f64_e32 v[60:61], v[56:57], v[58:59]
	v_mul_f64 v[52:53], v[52:53], v[72:73]
	v_add_f64 v[48:49], v[48:49], v[60:61]
	v_fmac_f64_e32 v[62:63], v[64:65], v[66:67]
	v_add_f64 v[48:49], v[48:49], v[62:63]
	v_fmac_f64_e32 v[52:53], v[54:55], v[70:71]
	v_add_f64 v[48:49], v[48:49], v[52:53]
	s_waitcnt lgkmcnt(0)
	s_barrier
	ds_write_b128 v44, v[46:49]
	s_waitcnt lgkmcnt(0)
	s_barrier
	s_and_saveexec_b64 s[8:9], s[4:5]
	s_cbranch_execz .LBB188_96
; %bb.95:
	ds_read_b128 v[46:49], v43
	ds_read_b128 v[50:53], v43 offset:16
	ds_read_b128 v[54:57], v43 offset:32
	;; [unrolled: 1-line block ×3, first 2 shown]
	s_waitcnt lgkmcnt(3)
	v_add_f64 v[0:1], v[0:1], v[46:47]
	v_add_f64 v[2:3], v[2:3], v[48:49]
	s_waitcnt lgkmcnt(2)
	v_add_f64 v[0:1], v[0:1], v[50:51]
	v_add_f64 v[46:47], v[2:3], v[52:53]
	s_waitcnt lgkmcnt(1)
	v_add_f64 v[48:49], v[0:1], v[54:55]
	ds_read_b128 v[0:3], v43 offset:64
	v_add_f64 v[46:47], v[46:47], v[56:57]
	s_waitcnt lgkmcnt(1)
	v_add_f64 v[50:51], v[48:49], v[58:59]
	v_add_f64 v[54:55], v[46:47], v[60:61]
	ds_read_b128 v[46:49], v43 offset:80
	s_waitcnt lgkmcnt(1)
	v_add_f64 v[56:57], v[50:51], v[0:1]
	ds_read_b128 v[50:53], v43 offset:96
	v_add_f64 v[54:55], v[54:55], v[2:3]
	ds_read_b128 v[0:3], v43 offset:112
	s_waitcnt lgkmcnt(2)
	v_add_f64 v[46:47], v[56:57], v[46:47]
	v_add_f64 v[48:49], v[54:55], v[48:49]
	s_waitcnt lgkmcnt(1)
	v_add_f64 v[46:47], v[46:47], v[50:51]
	v_add_f64 v[48:49], v[48:49], v[52:53]
	;; [unrolled: 3-line block ×3, first 2 shown]
.LBB188_96:
	s_or_b64 exec, exec, s[8:9]
	v_mul_f64 v[46:47], v[30:31], v[34:35]
	v_fma_f64 v[46:47], v[28:29], v[32:33], -v[46:47]
	v_mul_f64 v[28:29], v[28:29], v[34:35]
	v_fmac_f64_e32 v[28:29], v[30:31], v[32:33]
	v_mul_f64 v[32:33], v[22:23], v[26:27]
	v_fma_f64 v[32:33], v[20:21], v[24:25], -v[32:33]
	v_mul_f64 v[20:21], v[20:21], v[26:27]
	v_add_f64 v[30:31], v[46:47], 0
	v_add_f64 v[28:29], v[28:29], 0
	v_fmac_f64_e32 v[20:21], v[22:23], v[24:25]
	v_mul_f64 v[24:25], v[18:19], v[6:7]
	v_mul_f64 v[6:7], v[16:17], v[6:7]
	v_add_f64 v[22:23], v[30:31], v[32:33]
	v_add_f64 v[20:21], v[28:29], v[20:21]
	v_fma_f64 v[24:25], v[16:17], v[4:5], -v[24:25]
	v_fmac_f64_e32 v[6:7], v[18:19], v[4:5]
	v_mul_f64 v[16:17], v[14:15], v[10:11]
	v_mul_f64 v[10:11], v[12:13], v[10:11]
	v_add_f64 v[4:5], v[22:23], v[24:25]
	v_add_f64 v[6:7], v[20:21], v[6:7]
	v_fma_f64 v[16:17], v[12:13], v[8:9], -v[16:17]
	v_fmac_f64_e32 v[10:11], v[14:15], v[8:9]
	v_add_f64 v[4:5], v[4:5], v[16:17]
	v_add_f64 v[6:7], v[6:7], v[10:11]
	s_barrier
	ds_write_b128 v44, v[4:7]
	s_waitcnt lgkmcnt(0)
	s_barrier
	s_and_saveexec_b64 s[4:5], s[2:3]
	s_cbranch_execz .LBB188_98
; %bb.97:
	ds_read_b128 v[4:7], v43
	ds_read_b128 v[8:11], v43 offset:16
	ds_read_b128 v[12:15], v43 offset:32
	;; [unrolled: 1-line block ×3, first 2 shown]
	s_waitcnt lgkmcnt(3)
	v_add_f64 v[0:1], v[0:1], v[4:5]
	v_add_f64 v[2:3], v[2:3], v[6:7]
	s_waitcnt lgkmcnt(2)
	v_add_f64 v[0:1], v[0:1], v[8:9]
	v_add_f64 v[4:5], v[2:3], v[10:11]
	s_waitcnt lgkmcnt(1)
	v_add_f64 v[6:7], v[0:1], v[12:13]
	ds_read_b128 v[0:3], v43 offset:64
	v_add_f64 v[4:5], v[4:5], v[14:15]
	s_waitcnt lgkmcnt(1)
	v_add_f64 v[8:9], v[6:7], v[16:17]
	v_add_f64 v[12:13], v[4:5], v[18:19]
	ds_read_b128 v[4:7], v43 offset:80
	s_waitcnt lgkmcnt(1)
	v_add_f64 v[14:15], v[8:9], v[0:1]
	ds_read_b128 v[8:11], v43 offset:96
	v_add_f64 v[12:13], v[12:13], v[2:3]
	ds_read_b128 v[0:3], v43 offset:112
	s_waitcnt lgkmcnt(2)
	v_add_f64 v[4:5], v[14:15], v[4:5]
	v_add_f64 v[6:7], v[12:13], v[6:7]
	s_waitcnt lgkmcnt(1)
	v_add_f64 v[4:5], v[4:5], v[8:9]
	v_add_f64 v[6:7], v[6:7], v[10:11]
	;; [unrolled: 3-line block ×3, first 2 shown]
.LBB188_98:
	s_or_b64 exec, exec, s[4:5]
	s_mul_hi_u32 s2, s33, s24
	s_mul_i32 s38, s38, s24
	s_add_i32 s2, s2, s38
	s_mul_i32 s4, s33, s24
	s_mul_i32 s2, s2, s7
	s_mul_hi_u32 s3, s4, s7
	s_add_i32 s3, s3, s2
	s_mul_i32 s2, s4, s7
	s_lshl_b64 s[2:3], s[2:3], 4
	s_add_u32 s4, s26, s2
	s_addc_u32 s5, s27, s3
	s_mul_hi_i32 s3, s33, s6
	s_mul_i32 s2, s33, s6
	s_lshl_b64 s[2:3], s[2:3], 4
	s_add_u32 s19, s4, s2
	s_addc_u32 s24, s5, s3
	s_add_i32 s2, s6, 1
	s_cmp_ge_u32 s2, s7
	v_lshlrev_b32_e32 v168, 4, v201
	s_barrier
	s_cbranch_scc1 .LBB188_156
; %bb.99:
	s_mul_i32 s2, s28, s17
	s_mul_hi_u32 s3, s28, s16
	s_add_i32 s2, s3, s2
	s_mul_i32 s3, s29, s16
	s_add_i32 s3, s2, s3
	s_mul_i32 s2, s28, s16
	s_lshl_b64 s[2:3], s[2:3], 4
	v_mov_b32_e32 v4, s3
	v_subrev_co_u32_e32 v204, vcc, s2, v38
	v_and_b32_e32 v6, 48, v201
	v_subb_co_u32_e32 v205, vcc, v39, v4, vcc
	v_and_b32_e32 v4, 15, v201
	v_lshlrev_b32_e32 v7, 4, v6
	s_movk_i32 s4, 0x430
	v_lshrrev_b32_e32 v5, 4, v42
	v_mad_u32_u24 v208, v4, s4, v7
	v_or_b32_e32 v7, 0xf0, v168
	v_mad_u32_u24 v209, v4, s4, v7
	v_lshlrev_b32_e32 v7, 6, v5
	v_lshlrev_b32_e32 v10, 6, v202
	v_mad_u32_u24 v210, v4, s4, v7
	s_movk_i32 s4, 0x10c0
	v_mul_i32_i24_e32 v11, 0xffffffd0, v5
	v_add_u32_e32 v5, 0x220, v10
	v_mad_u32_u24 v215, v202, s4, v168
	v_or_b32_e32 v228, v6, v4
	v_mad_u64_u32 v[6:7], s[4:5], s22, v5, 0
	v_mov_b32_e32 v8, v7
	v_mad_u64_u32 v[8:9], s[4:5], s23, v5, v[8:9]
	v_mov_b32_e32 v5, v8
	v_sub_co_u32_e32 v6, vcc, v6, v36
	v_subb_co_u32_e32 v5, vcc, v5, v37, vcc
	v_add_co_u32_e32 v170, vcc, v40, v6
	v_addc_co_u32_e32 v169, vcc, v41, v5, vcc
	v_add_u32_e32 v5, 0x530, v10
	v_mad_u64_u32 v[6:7], s[4:5], s22, v5, 0
	v_mov_b32_e32 v8, v7
	v_mad_u64_u32 v[8:9], s[4:5], s23, v5, v[8:9]
	v_mov_b32_e32 v5, v8
	v_sub_co_u32_e32 v6, vcc, v6, v36
	v_subb_co_u32_e32 v5, vcc, v5, v37, vcc
	v_add_co_u32_e32 v172, vcc, v40, v6
	v_addc_co_u32_e32 v171, vcc, v41, v5, vcc
	v_add_u32_e32 v5, 0x210, v10
	;; [unrolled: 9-line block ×15, first 2 shown]
	v_mad_u64_u32 v[6:7], s[4:5], s22, v5, 0
	v_mov_b32_e32 v8, v7
	v_mad_u64_u32 v[8:9], s[4:5], s23, v5, v[8:9]
	v_mov_b32_e32 v5, v8
	v_sub_co_u32_e32 v6, vcc, v6, v36
	v_subb_co_u32_e32 v5, vcc, v5, v37, vcc
	v_lshlrev_b32_e32 v203, 2, v202
	v_add_co_u32_e32 v200, vcc, v40, v6
	s_add_i32 s26, s7, -2
	v_add_u32_e32 v206, 0x4300, v168
	v_add_u32_e32 v207, 0x4700, v168
	v_cmp_gt_u32_e64 s[2:3], 64, v42
	v_or_b32_e32 v211, 1, v203
	v_or_b32_e32 v212, 2, v203
	;; [unrolled: 1-line block ×3, first 2 shown]
	v_add_u32_e32 v214, 0x4300, v10
	v_add_u32_e32 v216, 16, v203
	;; [unrolled: 1-line block ×13, first 2 shown]
	s_add_i32 s27, s28, 64
	v_mov_b32_e32 v4, 0
	s_lshl_b64 s[10:11], s[22:23], 10
	v_addc_co_u32_e32 v199, vcc, v41, v5, vcc
	v_add_u32_e32 v229, v210, v11
	s_cmp_eq_u32 s26, s6
	s_cselect_b32 s28, s25, 0
	s_and_saveexec_b64 s[4:5], s[0:1]
	s_cbranch_execz .LBB188_104
.LBB188_100:
	s_cmp_lg_u32 s28, 0
	s_cselect_b64 s[8:9], -1, 0
	v_cmp_le_i32_e32 vcc, s28, v201
	s_and_b64 s[8:9], s[8:9], vcc
	s_and_saveexec_b64 s[12:13], s[8:9]
	s_xor_b64 s[8:9], exec, s[12:13]
	s_cbranch_execz .LBB188_102
; %bb.101:
	v_mov_b32_e32 v5, v4
	v_mov_b32_e32 v6, v4
	;; [unrolled: 1-line block ×3, first 2 shown]
	ds_write_b128 v206, v[4:7]
.LBB188_102:
	s_andn2_saveexec_b64 s[8:9], s[8:9]
	s_cbranch_execz .LBB188_104
; %bb.103:
	s_ashr_i32 s8, s27, 31
	s_mul_i32 s9, s27, s17
	s_mul_hi_u32 s12, s27, s16
	s_add_i32 s9, s12, s9
	s_mul_i32 s8, s8, s16
	s_add_i32 s9, s9, s8
	s_mul_i32 s8, s27, s16
	s_lshl_b64 s[8:9], s[8:9], 4
	v_mov_b32_e32 v5, s9
	v_add_co_u32_e32 v6, vcc, s8, v204
	v_addc_co_u32_e32 v7, vcc, v205, v5, vcc
	flat_load_dwordx4 v[6:9], v[6:7]
	s_waitcnt vmcnt(0) lgkmcnt(0)
	ds_write2_b64 v206, v[6:7], v[8:9] offset1:1
.LBB188_104:                            ; =>This Inner Loop Header: Depth=1
	s_or_b64 exec, exec, s[4:5]
	s_cmp_eq_u32 s28, 0
	v_add_co_u32_e32 v18, vcc, v178, v168
	s_cselect_b64 s[12:13], -1, 0
	s_cmp_lg_u32 s28, 0
	v_addc_co_u32_e32 v19, vcc, 0, v177, vcc
	s_cselect_b64 s[8:9], -1, 0
	s_and_b64 vcc, exec, s[8:9]
	s_waitcnt lgkmcnt(0)
	s_barrier
	s_cbranch_vccz .LBB188_112
; %bb.105:                              ;   in Loop: Header=BB188_104 Depth=1
	v_pk_mov_b32 v[10:11], 0, 0
	v_cmp_gt_i32_e32 vcc, s28, v203
	v_pk_mov_b32 v[6:7], v[10:11], v[10:11] op_sel:[0,1]
	v_pk_mov_b32 v[8:9], v[10:11], v[10:11] op_sel:[0,1]
	s_and_saveexec_b64 s[4:5], vcc
	s_cbranch_execz .LBB188_107
; %bb.106:                              ;   in Loop: Header=BB188_104 Depth=1
	flat_load_dwordx4 v[6:9], v[18:19]
.LBB188_107:                            ;   in Loop: Header=BB188_104 Depth=1
	s_or_b64 exec, exec, s[4:5]
	v_cmp_gt_i32_e32 vcc, s28, v211
	v_pk_mov_b32 v[12:13], v[10:11], v[10:11] op_sel:[0,1]
	s_and_saveexec_b64 s[4:5], vcc
	s_cbranch_execz .LBB188_109
; %bb.108:                              ;   in Loop: Header=BB188_104 Depth=1
	v_add_co_u32_e32 v10, vcc, v174, v168
	v_addc_co_u32_e32 v11, vcc, 0, v173, vcc
	flat_load_dwordx4 v[10:13], v[10:11]
.LBB188_109:                            ;   in Loop: Header=BB188_104 Depth=1
	s_or_b64 exec, exec, s[4:5]
	v_pk_mov_b32 v[14:15], 0, 0
	v_cmp_gt_i32_e32 vcc, s28, v212
	s_mov_b64 s[22:23], 0
	v_pk_mov_b32 v[16:17], v[14:15], v[14:15] op_sel:[0,1]
	s_and_saveexec_b64 s[4:5], vcc
	s_cbranch_execz .LBB188_111
; %bb.110:                              ;   in Loop: Header=BB188_104 Depth=1
	v_add_co_u32_e32 v14, vcc, v170, v168
	v_addc_co_u32_e32 v15, vcc, 0, v169, vcc
	flat_load_dwordx4 v[14:17], v[14:15]
.LBB188_111:                            ;   in Loop: Header=BB188_104 Depth=1
	s_or_b64 exec, exec, s[4:5]
	v_cmp_gt_i32_e64 s[4:5], s28, v213
	s_mov_b64 s[14:15], 0
	s_and_b64 vcc, exec, s[22:23]
	s_cbranch_vccnz .LBB188_113
	s_branch .LBB188_114
.LBB188_112:                            ;   in Loop: Header=BB188_104 Depth=1
	s_mov_b64 s[4:5], 0
                                        ; implicit-def: $sgpr14_sgpr15
                                        ; implicit-def: $vgpr16_vgpr17
                                        ; implicit-def: $vgpr12_vgpr13
                                        ; implicit-def: $vgpr8_vgpr9
	s_cbranch_execz .LBB188_114
.LBB188_113:                            ;   in Loop: Header=BB188_104 Depth=1
	s_waitcnt vmcnt(0) lgkmcnt(0)
	v_add_co_u32_e32 v10, vcc, v174, v168
	v_addc_co_u32_e32 v11, vcc, 0, v173, vcc
	v_add_co_u32_e32 v14, vcc, v170, v168
	v_addc_co_u32_e32 v15, vcc, 0, v169, vcc
	flat_load_dwordx4 v[6:9], v[18:19]
	s_or_b64 s[4:5], s[4:5], exec
	flat_load_dwordx4 v[10:13], v[10:11]
                                        ; implicit-def: $sgpr14_sgpr15
	s_nop 0
	flat_load_dwordx4 v[14:17], v[14:15]
.LBB188_114:                            ;   in Loop: Header=BB188_104 Depth=1
	v_pk_mov_b32 v[18:19], s[14:15], s[14:15] op_sel:[0,1]
	v_pk_mov_b32 v[20:21], s[14:15], s[14:15] op_sel:[0,1]
	s_and_saveexec_b64 s[14:15], s[4:5]
	s_cbranch_execz .LBB188_116
; %bb.115:                              ;   in Loop: Header=BB188_104 Depth=1
	v_add_co_u32_e32 v18, vcc, v182, v168
	v_addc_co_u32_e32 v19, vcc, 0, v181, vcc
	flat_load_dwordx4 v[18:21], v[18:19]
.LBB188_116:                            ;   in Loop: Header=BB188_104 Depth=1
	s_or_b64 exec, exec, s[14:15]
	ds_read_b128 v[34:37], v207
	ds_read_b128 v[22:25], v214
	v_cndmask_b32_e64 v5, 0, 1, s[8:9]
	s_andn2_b64 vcc, exec, s[8:9]
	v_add_co_u32_e64 v50, s[8:9], v194, v168
	s_waitcnt vmcnt(0) lgkmcnt(0)
	v_mul_f64 v[26:27], v[8:9], v[36:37]
	v_mul_f64 v[28:29], v[6:7], v[36:37]
	;; [unrolled: 1-line block ×3, first 2 shown]
	v_fma_f64 v[26:27], v[6:7], v[34:35], -v[26:27]
	v_fmac_f64_e32 v[28:29], v[8:9], v[34:35]
	v_mul_f64 v[32:33], v[10:11], v[36:37]
	ds_write_b128 v215, v[26:29]
	v_fma_f64 v[30:31], v[10:11], v[34:35], -v[30:31]
	v_fmac_f64_e32 v[32:33], v[12:13], v[34:35]
	v_mul_f64 v[38:39], v[16:17], v[36:37]
	v_mul_f64 v[40:41], v[14:15], v[36:37]
	ds_read_b128 v[26:29], v214 offset:16
	ds_write_b128 v215, v[30:33] offset:1072
	v_fma_f64 v[38:39], v[14:15], v[34:35], -v[38:39]
	v_fmac_f64_e32 v[40:41], v[16:17], v[34:35]
	v_mul_f64 v[42:43], v[20:21], v[36:37]
	v_mul_f64 v[44:45], v[18:19], v[36:37]
	ds_read_b128 v[30:33], v214 offset:32
	ds_write_b128 v215, v[38:41] offset:2144
	v_fma_f64 v[42:43], v[18:19], v[34:35], -v[42:43]
	v_fmac_f64_e32 v[44:45], v[20:21], v[34:35]
	ds_read_b128 v[38:41], v214 offset:48
	ds_write_b128 v215, v[42:45] offset:3216
	s_waitcnt lgkmcnt(0)
	s_barrier
	ds_read_b128 v[94:97], v210
	ds_read_b128 v[90:93], v210 offset:16
	ds_read_b128 v[86:89], v210 offset:32
	;; [unrolled: 1-line block ×3, first 2 shown]
	v_cmp_ne_u32_e64 s[4:5], 1, v5
	v_addc_co_u32_e64 v51, s[8:9], 0, v193, s[8:9]
	s_waitcnt lgkmcnt(0)
	s_barrier
	s_cbranch_vccnz .LBB188_124
; %bb.117:                              ;   in Loop: Header=BB188_104 Depth=1
	v_pk_mov_b32 v[42:43], 0, 0
	v_cmp_gt_i32_e32 vcc, s28, v216
	v_pk_mov_b32 v[34:35], v[42:43], v[42:43] op_sel:[0,1]
	v_pk_mov_b32 v[36:37], v[42:43], v[42:43] op_sel:[0,1]
	s_and_saveexec_b64 s[8:9], vcc
	s_cbranch_execz .LBB188_119
; %bb.118:                              ;   in Loop: Header=BB188_104 Depth=1
	flat_load_dwordx4 v[34:37], v[50:51]
.LBB188_119:                            ;   in Loop: Header=BB188_104 Depth=1
	s_or_b64 exec, exec, s[8:9]
	v_cmp_gt_i32_e32 vcc, s28, v217
	v_pk_mov_b32 v[44:45], v[42:43], v[42:43] op_sel:[0,1]
	s_and_saveexec_b64 s[8:9], vcc
	s_cbranch_execz .LBB188_121
; %bb.120:                              ;   in Loop: Header=BB188_104 Depth=1
	v_add_co_u32_e32 v42, vcc, v190, v168
	v_addc_co_u32_e32 v43, vcc, 0, v189, vcc
	flat_load_dwordx4 v[42:45], v[42:43]
.LBB188_121:                            ;   in Loop: Header=BB188_104 Depth=1
	s_or_b64 exec, exec, s[8:9]
	v_pk_mov_b32 v[46:47], 0, 0
	v_cmp_gt_i32_e32 vcc, s28, v218
	s_mov_b64 s[22:23], 0
	v_pk_mov_b32 v[48:49], v[46:47], v[46:47] op_sel:[0,1]
	s_and_saveexec_b64 s[8:9], vcc
	s_cbranch_execz .LBB188_123
; %bb.122:                              ;   in Loop: Header=BB188_104 Depth=1
	v_add_co_u32_e32 v46, vcc, v184, v168
	v_addc_co_u32_e32 v47, vcc, 0, v183, vcc
	flat_load_dwordx4 v[46:49], v[46:47]
.LBB188_123:                            ;   in Loop: Header=BB188_104 Depth=1
	s_or_b64 exec, exec, s[8:9]
	v_cmp_gt_i32_e64 s[8:9], s28, v219
	s_mov_b64 s[14:15], 0
	s_and_b64 vcc, exec, s[22:23]
	s_cbranch_vccnz .LBB188_125
	s_branch .LBB188_126
.LBB188_124:                            ;   in Loop: Header=BB188_104 Depth=1
	s_mov_b64 s[8:9], 0
                                        ; implicit-def: $sgpr14_sgpr15
                                        ; implicit-def: $vgpr48_vgpr49
                                        ; implicit-def: $vgpr44_vgpr45
                                        ; implicit-def: $vgpr36_vgpr37
	s_cbranch_execz .LBB188_126
.LBB188_125:                            ;   in Loop: Header=BB188_104 Depth=1
	s_waitcnt vmcnt(0) lgkmcnt(0)
	v_add_co_u32_e32 v42, vcc, v190, v168
	v_addc_co_u32_e32 v43, vcc, 0, v189, vcc
	v_add_co_u32_e32 v46, vcc, v184, v168
	v_addc_co_u32_e32 v47, vcc, 0, v183, vcc
	flat_load_dwordx4 v[34:37], v[50:51]
	s_or_b64 s[8:9], s[8:9], exec
	flat_load_dwordx4 v[42:45], v[42:43]
                                        ; implicit-def: $sgpr14_sgpr15
	s_nop 0
	flat_load_dwordx4 v[46:49], v[46:47]
.LBB188_126:                            ;   in Loop: Header=BB188_104 Depth=1
	v_pk_mov_b32 v[50:51], s[14:15], s[14:15] op_sel:[0,1]
	v_pk_mov_b32 v[52:53], s[14:15], s[14:15] op_sel:[0,1]
	s_and_saveexec_b64 s[14:15], s[8:9]
	s_cbranch_execz .LBB188_128
; %bb.127:                              ;   in Loop: Header=BB188_104 Depth=1
	v_add_co_u32_e32 v50, vcc, v198, v168
	v_addc_co_u32_e32 v51, vcc, 0, v197, vcc
	flat_load_dwordx4 v[50:53], v[50:51]
.LBB188_128:                            ;   in Loop: Header=BB188_104 Depth=1
	s_or_b64 exec, exec, s[14:15]
	ds_read_b128 v[66:69], v207
	ds_read_b128 v[54:57], v214 offset:256
	v_add_co_u32_e64 v98, s[8:9], v192, v168
	s_and_b64 vcc, exec, s[4:5]
	s_waitcnt vmcnt(0) lgkmcnt(0)
	v_mul_f64 v[58:59], v[36:37], v[68:69]
	v_mul_f64 v[60:61], v[34:35], v[68:69]
	;; [unrolled: 1-line block ×3, first 2 shown]
	v_fma_f64 v[58:59], v[34:35], v[66:67], -v[58:59]
	v_fmac_f64_e32 v[60:61], v[36:37], v[66:67]
	v_mul_f64 v[64:65], v[42:43], v[68:69]
	ds_write_b128 v215, v[58:61]
	v_fma_f64 v[62:63], v[42:43], v[66:67], -v[62:63]
	v_fmac_f64_e32 v[64:65], v[44:45], v[66:67]
	v_mul_f64 v[70:71], v[48:49], v[68:69]
	v_mul_f64 v[72:73], v[46:47], v[68:69]
	ds_read_b128 v[58:61], v214 offset:272
	ds_write_b128 v215, v[62:65] offset:1072
	v_fma_f64 v[70:71], v[46:47], v[66:67], -v[70:71]
	v_fmac_f64_e32 v[72:73], v[48:49], v[66:67]
	v_mul_f64 v[74:75], v[52:53], v[68:69]
	v_mul_f64 v[76:77], v[50:51], v[68:69]
	ds_read_b128 v[62:65], v214 offset:288
	ds_write_b128 v215, v[70:73] offset:2144
	v_fma_f64 v[74:75], v[50:51], v[66:67], -v[74:75]
	v_fmac_f64_e32 v[76:77], v[52:53], v[66:67]
	ds_read_b128 v[70:73], v214 offset:304
	ds_write_b128 v215, v[74:77] offset:3216
	s_waitcnt lgkmcnt(0)
	s_barrier
	ds_read_b128 v[146:149], v210
	ds_read_b128 v[142:145], v210 offset:16
	ds_read_b128 v[138:141], v210 offset:32
	;; [unrolled: 1-line block ×3, first 2 shown]
	v_addc_co_u32_e64 v99, s[8:9], 0, v191, s[8:9]
	s_waitcnt lgkmcnt(0)
	s_barrier
	s_cbranch_vccnz .LBB188_136
; %bb.129:                              ;   in Loop: Header=BB188_104 Depth=1
	v_pk_mov_b32 v[74:75], 0, 0
	v_cmp_gt_i32_e32 vcc, s28, v220
	v_pk_mov_b32 v[66:67], v[74:75], v[74:75] op_sel:[0,1]
	v_pk_mov_b32 v[68:69], v[74:75], v[74:75] op_sel:[0,1]
	s_and_saveexec_b64 s[8:9], vcc
	s_cbranch_execz .LBB188_131
; %bb.130:                              ;   in Loop: Header=BB188_104 Depth=1
	flat_load_dwordx4 v[66:69], v[98:99]
.LBB188_131:                            ;   in Loop: Header=BB188_104 Depth=1
	s_or_b64 exec, exec, s[8:9]
	v_cmp_gt_i32_e32 vcc, s28, v221
	v_pk_mov_b32 v[76:77], v[74:75], v[74:75] op_sel:[0,1]
	s_and_saveexec_b64 s[8:9], vcc
	s_cbranch_execz .LBB188_133
; %bb.132:                              ;   in Loop: Header=BB188_104 Depth=1
	v_add_co_u32_e32 v74, vcc, v196, v168
	v_addc_co_u32_e32 v75, vcc, 0, v195, vcc
	flat_load_dwordx4 v[74:77], v[74:75]
.LBB188_133:                            ;   in Loop: Header=BB188_104 Depth=1
	s_or_b64 exec, exec, s[8:9]
	v_pk_mov_b32 v[78:79], 0, 0
	v_cmp_gt_i32_e32 vcc, s28, v222
	s_mov_b64 s[22:23], 0
	v_pk_mov_b32 v[80:81], v[78:79], v[78:79] op_sel:[0,1]
	s_and_saveexec_b64 s[8:9], vcc
	s_cbranch_execz .LBB188_135
; %bb.134:                              ;   in Loop: Header=BB188_104 Depth=1
	v_add_co_u32_e32 v78, vcc, v200, v168
	v_addc_co_u32_e32 v79, vcc, 0, v199, vcc
	flat_load_dwordx4 v[78:81], v[78:79]
.LBB188_135:                            ;   in Loop: Header=BB188_104 Depth=1
	s_or_b64 exec, exec, s[8:9]
	v_cmp_gt_i32_e64 s[8:9], s28, v223
	s_mov_b64 s[14:15], 0
	s_and_b64 vcc, exec, s[22:23]
	s_cbranch_vccnz .LBB188_137
	s_branch .LBB188_138
.LBB188_136:                            ;   in Loop: Header=BB188_104 Depth=1
	s_mov_b64 s[8:9], 0
                                        ; implicit-def: $sgpr14_sgpr15
                                        ; implicit-def: $vgpr80_vgpr81
                                        ; implicit-def: $vgpr76_vgpr77
                                        ; implicit-def: $vgpr68_vgpr69
	s_cbranch_execz .LBB188_138
.LBB188_137:                            ;   in Loop: Header=BB188_104 Depth=1
	s_waitcnt vmcnt(0) lgkmcnt(0)
	v_add_co_u32_e32 v74, vcc, v196, v168
	v_addc_co_u32_e32 v75, vcc, 0, v195, vcc
	v_add_co_u32_e32 v78, vcc, v200, v168
	v_addc_co_u32_e32 v79, vcc, 0, v199, vcc
	flat_load_dwordx4 v[66:69], v[98:99]
	s_or_b64 s[8:9], s[8:9], exec
	flat_load_dwordx4 v[74:77], v[74:75]
                                        ; implicit-def: $sgpr14_sgpr15
	s_nop 0
	flat_load_dwordx4 v[78:81], v[78:79]
.LBB188_138:                            ;   in Loop: Header=BB188_104 Depth=1
	v_pk_mov_b32 v[98:99], s[14:15], s[14:15] op_sel:[0,1]
	v_pk_mov_b32 v[100:101], s[14:15], s[14:15] op_sel:[0,1]
	s_and_saveexec_b64 s[14:15], s[8:9]
	s_cbranch_execz .LBB188_140
; %bb.139:                              ;   in Loop: Header=BB188_104 Depth=1
	v_add_co_u32_e32 v98, vcc, v188, v168
	v_addc_co_u32_e32 v99, vcc, 0, v187, vcc
	flat_load_dwordx4 v[98:101], v[98:99]
.LBB188_140:                            ;   in Loop: Header=BB188_104 Depth=1
	s_or_b64 exec, exec, s[14:15]
	ds_read_b128 v[114:117], v207
	ds_read_b128 v[102:105], v214 offset:512
	s_and_b64 vcc, exec, s[4:5]
	v_add_co_u32_e64 v130, s[4:5], v176, v168
	s_waitcnt vmcnt(0) lgkmcnt(0)
	v_mul_f64 v[106:107], v[68:69], v[116:117]
	v_mul_f64 v[108:109], v[66:67], v[116:117]
	;; [unrolled: 1-line block ×3, first 2 shown]
	v_fma_f64 v[106:107], v[66:67], v[114:115], -v[106:107]
	v_fmac_f64_e32 v[108:109], v[68:69], v[114:115]
	v_mul_f64 v[112:113], v[74:75], v[116:117]
	ds_write_b128 v215, v[106:109]
	v_fma_f64 v[110:111], v[74:75], v[114:115], -v[110:111]
	v_fmac_f64_e32 v[112:113], v[76:77], v[114:115]
	v_mul_f64 v[118:119], v[80:81], v[116:117]
	v_mul_f64 v[120:121], v[78:79], v[116:117]
	ds_read_b128 v[106:109], v214 offset:528
	ds_write_b128 v215, v[110:113] offset:1072
	v_fma_f64 v[118:119], v[78:79], v[114:115], -v[118:119]
	v_fmac_f64_e32 v[120:121], v[80:81], v[114:115]
	v_mul_f64 v[122:123], v[100:101], v[116:117]
	v_mul_f64 v[124:125], v[98:99], v[116:117]
	ds_read_b128 v[110:113], v214 offset:544
	ds_write_b128 v215, v[118:121] offset:2144
	v_fma_f64 v[122:123], v[98:99], v[114:115], -v[122:123]
	v_fmac_f64_e32 v[124:125], v[100:101], v[114:115]
	ds_read_b128 v[118:121], v214 offset:560
	ds_write_b128 v215, v[122:125] offset:3216
	s_waitcnt lgkmcnt(0)
	s_barrier
	ds_read_b128 v[162:165], v210
	ds_read_b128 v[158:161], v210 offset:16
	ds_read_b128 v[154:157], v210 offset:32
	ds_read_b128 v[150:153], v210 offset:48
	v_addc_co_u32_e64 v131, s[4:5], 0, v175, s[4:5]
	s_waitcnt lgkmcnt(0)
	s_barrier
	s_cbranch_vccnz .LBB188_148
; %bb.141:                              ;   in Loop: Header=BB188_104 Depth=1
	v_pk_mov_b32 v[122:123], 0, 0
	v_cmp_gt_i32_e32 vcc, s28, v224
	v_pk_mov_b32 v[114:115], v[122:123], v[122:123] op_sel:[0,1]
	v_pk_mov_b32 v[116:117], v[122:123], v[122:123] op_sel:[0,1]
	s_and_saveexec_b64 s[4:5], vcc
	s_cbranch_execz .LBB188_143
; %bb.142:                              ;   in Loop: Header=BB188_104 Depth=1
	flat_load_dwordx4 v[114:117], v[130:131]
.LBB188_143:                            ;   in Loop: Header=BB188_104 Depth=1
	s_or_b64 exec, exec, s[4:5]
	v_cmp_gt_i32_e32 vcc, s28, v225
	v_pk_mov_b32 v[124:125], v[122:123], v[122:123] op_sel:[0,1]
	s_and_saveexec_b64 s[4:5], vcc
	s_cbranch_execz .LBB188_145
; %bb.144:                              ;   in Loop: Header=BB188_104 Depth=1
	v_add_co_u32_e32 v122, vcc, v180, v168
	v_addc_co_u32_e32 v123, vcc, 0, v179, vcc
	flat_load_dwordx4 v[122:125], v[122:123]
.LBB188_145:                            ;   in Loop: Header=BB188_104 Depth=1
	s_or_b64 exec, exec, s[4:5]
	v_pk_mov_b32 v[126:127], 0, 0
	v_cmp_gt_i32_e32 vcc, s28, v226
	s_mov_b64 s[14:15], 0
	v_pk_mov_b32 v[128:129], v[126:127], v[126:127] op_sel:[0,1]
	s_and_saveexec_b64 s[4:5], vcc
	s_cbranch_execz .LBB188_147
; %bb.146:                              ;   in Loop: Header=BB188_104 Depth=1
	v_add_co_u32_e32 v126, vcc, v186, v168
	v_addc_co_u32_e32 v127, vcc, 0, v185, vcc
	flat_load_dwordx4 v[126:129], v[126:127]
.LBB188_147:                            ;   in Loop: Header=BB188_104 Depth=1
	s_or_b64 exec, exec, s[4:5]
	v_cmp_gt_i32_e64 s[4:5], s28, v227
	s_mov_b64 s[8:9], 0
	s_and_b64 vcc, exec, s[14:15]
	s_cbranch_vccnz .LBB188_149
	s_branch .LBB188_150
.LBB188_148:                            ;   in Loop: Header=BB188_104 Depth=1
	s_mov_b64 s[4:5], 0
                                        ; implicit-def: $sgpr8_sgpr9
                                        ; implicit-def: $vgpr128_vgpr129
                                        ; implicit-def: $vgpr124_vgpr125
                                        ; implicit-def: $vgpr116_vgpr117
	s_cbranch_execz .LBB188_150
.LBB188_149:                            ;   in Loop: Header=BB188_104 Depth=1
	s_waitcnt vmcnt(0) lgkmcnt(0)
	v_add_co_u32_e32 v122, vcc, v180, v168
	v_addc_co_u32_e32 v123, vcc, 0, v179, vcc
	v_add_co_u32_e32 v126, vcc, v186, v168
	v_addc_co_u32_e32 v127, vcc, 0, v185, vcc
	flat_load_dwordx4 v[114:117], v[130:131]
	s_or_b64 s[4:5], s[4:5], exec
	flat_load_dwordx4 v[122:125], v[122:123]
                                        ; implicit-def: $sgpr8_sgpr9
	s_nop 0
	flat_load_dwordx4 v[126:129], v[126:127]
.LBB188_150:                            ;   in Loop: Header=BB188_104 Depth=1
	v_pk_mov_b32 v[130:131], s[8:9], s[8:9] op_sel:[0,1]
	v_pk_mov_b32 v[132:133], s[8:9], s[8:9] op_sel:[0,1]
	s_and_saveexec_b64 s[8:9], s[4:5]
	s_cbranch_execz .LBB188_152
; %bb.151:                              ;   in Loop: Header=BB188_104 Depth=1
	v_add_co_u32_e32 v130, vcc, v172, v168
	v_addc_co_u32_e32 v131, vcc, 0, v171, vcc
	flat_load_dwordx4 v[130:133], v[130:131]
.LBB188_152:                            ;   in Loop: Header=BB188_104 Depth=1
	s_or_b64 exec, exec, s[8:9]
	v_add_f64 v[146:147], v[146:147], 0
	v_add_f64 v[148:149], v[148:149], 0
	;; [unrolled: 1-line block ×6, first 2 shown]
	ds_read_b128 v[142:145], v207
	v_add_f64 v[162:163], v[162:163], 0
	v_add_f64 v[94:95], v[94:95], 0
	v_add_f64 v[158:159], v[162:163], v[158:159]
	v_add_f64 v[96:97], v[96:97], 0
	v_add_f64 v[90:91], v[94:95], v[90:91]
	v_add_f64 v[154:155], v[158:159], v[154:155]
	v_add_f64 v[92:93], v[96:97], v[92:93]
	v_add_f64 v[86:87], v[90:91], v[86:87]
	v_add_f64 v[150:151], v[154:155], v[150:151]
	v_add_f64 v[154:155], v[92:93], v[88:89]
	v_add_f64 v[82:83], v[86:87], v[82:83]
	ds_read_b128 v[86:89], v214 offset:768
	s_waitcnt vmcnt(0) lgkmcnt(0)
	v_mul_f64 v[90:91], v[116:117], v[144:145]
	v_mul_f64 v[92:93], v[114:115], v[144:145]
	v_fma_f64 v[90:91], v[114:115], v[142:143], -v[90:91]
	v_fmac_f64_e32 v[92:93], v[116:117], v[142:143]
	v_mul_f64 v[94:95], v[124:125], v[144:145]
	v_mul_f64 v[96:97], v[122:123], v[144:145]
	v_add_f64 v[138:139], v[138:139], v[134:135]
	v_add_f64 v[140:141], v[140:141], v[136:137]
	ds_write_b128 v215, v[90:93]
	v_fma_f64 v[94:95], v[122:123], v[142:143], -v[94:95]
	v_fmac_f64_e32 v[96:97], v[124:125], v[142:143]
	v_mul_f64 v[134:135], v[128:129], v[144:145]
	v_mul_f64 v[136:137], v[126:127], v[144:145]
	ds_read_b128 v[90:93], v214 offset:784
	ds_write_b128 v215, v[94:97] offset:1072
	v_fma_f64 v[134:135], v[126:127], v[142:143], -v[134:135]
	v_fmac_f64_e32 v[136:137], v[128:129], v[142:143]
	v_mul_f64 v[146:147], v[132:133], v[144:145]
	v_mul_f64 v[148:149], v[130:131], v[144:145]
	ds_read_b128 v[94:97], v214 offset:800
	ds_write_b128 v215, v[134:137] offset:2144
	v_fma_f64 v[146:147], v[130:131], v[142:143], -v[146:147]
	v_fmac_f64_e32 v[148:149], v[132:133], v[142:143]
	v_add_f64 v[164:165], v[164:165], 0
	ds_read_b128 v[134:137], v214 offset:816
	ds_write_b128 v215, v[146:149] offset:3216
	s_waitcnt lgkmcnt(0)
	s_barrier
	ds_read_b128 v[142:145], v210
	v_add_f64 v[160:161], v[164:165], v[160:161]
	v_add_f64 v[156:157], v[160:161], v[156:157]
	;; [unrolled: 1-line block ×4, first 2 shown]
	ds_read_b128 v[146:149], v210 offset:16
	ds_read_b128 v[154:157], v210 offset:32
	;; [unrolled: 1-line block ×3, first 2 shown]
	s_waitcnt lgkmcnt(3)
	v_add_f64 v[142:143], v[142:143], 0
	v_add_f64 v[144:145], v[144:145], 0
	v_cmp_gt_i32_e32 vcc, s28, v201
	s_waitcnt lgkmcnt(2)
	v_add_f64 v[142:143], v[142:143], v[146:147]
	v_add_f64 v[144:145], v[144:145], v[148:149]
	s_or_b64 s[4:5], s[12:13], vcc
	s_waitcnt lgkmcnt(1)
	v_add_f64 v[142:143], v[142:143], v[154:155]
	v_add_f64 v[144:145], v[144:145], v[156:157]
	s_and_b64 s[8:9], s[2:3], s[4:5]
	s_waitcnt lgkmcnt(0)
	v_add_f64 v[142:143], v[142:143], v[158:159]
	v_add_f64 v[144:145], v[144:145], v[160:161]
	s_barrier
	ds_write_b128 v229, v[82:85]
	ds_write_b128 v229, v[138:141] offset:256
	ds_write_b128 v229, v[150:153] offset:512
	;; [unrolled: 1-line block ×3, first 2 shown]
	s_waitcnt lgkmcnt(0)
	s_barrier
	s_and_saveexec_b64 s[4:5], s[8:9]
	s_cbranch_execz .LBB188_154
; %bb.153:                              ;   in Loop: Header=BB188_104 Depth=1
	ds_read_b128 v[82:85], v208
	ds_read_b128 v[138:141], v208 offset:16
	ds_read_b128 v[142:145], v208 offset:32
	ds_read_b128 v[146:149], v208 offset:48
	v_mov_b32_e32 v5, s24
	s_waitcnt lgkmcnt(2)
	v_add_f64 v[82:83], v[138:139], v[82:83]
	v_add_f64 v[138:139], v[140:141], v[84:85]
	s_waitcnt lgkmcnt(1)
	v_add_f64 v[140:141], v[82:83], v[142:143]
	ds_read_b128 v[82:85], v208 offset:64
	v_add_f64 v[142:143], v[138:139], v[144:145]
	s_waitcnt lgkmcnt(1)
	v_add_f64 v[144:145], v[140:141], v[146:147]
	ds_read_b128 v[138:141], v208 offset:80
	;; [unrolled: 4-line block ×9, first 2 shown]
	v_add_f64 v[84:85], v[146:147], v[84:85]
	s_waitcnt lgkmcnt(1)
	v_add_f64 v[138:139], v[82:83], v[138:139]
	v_add_f64 v[146:147], v[84:85], v[140:141]
	ds_read_b128 v[82:85], v208 offset:208
	s_waitcnt lgkmcnt(1)
	v_add_f64 v[148:149], v[138:139], v[142:143]
	ds_read_b128 v[138:141], v208 offset:224
	v_add_f64 v[146:147], v[146:147], v[144:145]
	ds_read_b128 v[142:145], v209
	s_waitcnt lgkmcnt(2)
	v_add_f64 v[82:83], v[148:149], v[82:83]
	v_add_f64 v[84:85], v[146:147], v[84:85]
	s_waitcnt lgkmcnt(1)
	v_add_f64 v[82:83], v[82:83], v[138:139]
	v_add_u32_e32 v138, s27, v228
	v_ashrrev_i32_e32 v139, 31, v138
	v_lshlrev_b64 v[138:139], 4, v[138:139]
	v_add_f64 v[84:85], v[84:85], v[140:141]
	v_add_co_u32_e32 v138, vcc, s19, v138
	s_waitcnt lgkmcnt(0)
	v_add_f64 v[82:83], v[82:83], v[142:143]
	v_add_f64 v[84:85], v[84:85], v[144:145]
	v_addc_co_u32_e32 v139, vcc, v5, v139, vcc
	global_store_dwordx4 v[138:139], v[82:85], off
.LBB188_154:                            ;   in Loop: Header=BB188_104 Depth=1
	s_or_b64 exec, exec, s[4:5]
	v_mov_b32_e32 v5, s11
	v_add_co_u32_e32 v170, vcc, s10, v170
	v_mul_f64 v[82:83], v[8:9], v[24:25]
	v_addc_co_u32_e32 v169, vcc, v169, v5, vcc
	v_fma_f64 v[82:83], v[6:7], v[22:23], -v[82:83]
	v_mul_f64 v[6:7], v[6:7], v[24:25]
	v_mul_f64 v[24:25], v[12:13], v[28:29]
	v_add_co_u32_e32 v172, vcc, s10, v172
	v_add_f64 v[0:1], v[0:1], v[82:83]
	v_fma_f64 v[24:25], v[10:11], v[26:27], -v[24:25]
	v_addc_co_u32_e32 v171, vcc, v171, v5, vcc
	v_add_f64 v[0:1], v[0:1], v[24:25]
	v_mul_f64 v[24:25], v[16:17], v[32:33]
	v_add_co_u32_e32 v174, vcc, s10, v174
	v_fma_f64 v[24:25], v[14:15], v[30:31], -v[24:25]
	v_addc_co_u32_e32 v173, vcc, v173, v5, vcc
	v_add_f64 v[0:1], v[0:1], v[24:25]
	v_mul_f64 v[24:25], v[20:21], v[40:41]
	v_fmac_f64_e32 v[6:7], v[8:9], v[22:23]
	v_add_co_u32_e32 v176, vcc, s10, v176
	v_fma_f64 v[24:25], v[18:19], v[38:39], -v[24:25]
	v_add_f64 v[2:3], v[2:3], v[6:7]
	v_mul_f64 v[6:7], v[36:37], v[56:57]
	v_addc_co_u32_e32 v175, vcc, v175, v5, vcc
	v_add_f64 v[0:1], v[0:1], v[24:25]
	v_fma_f64 v[6:7], v[34:35], v[54:55], -v[6:7]
	v_add_co_u32_e32 v178, vcc, s10, v178
	v_add_f64 v[0:1], v[0:1], v[6:7]
	v_mul_f64 v[6:7], v[44:45], v[60:61]
	v_addc_co_u32_e32 v177, vcc, v177, v5, vcc
	v_fma_f64 v[6:7], v[42:43], v[58:59], -v[6:7]
	v_add_co_u32_e32 v180, vcc, s10, v180
	v_add_f64 v[0:1], v[0:1], v[6:7]
	v_mul_f64 v[6:7], v[48:49], v[64:65]
	v_addc_co_u32_e32 v179, vcc, v179, v5, vcc
	;; [unrolled: 5-line block ×3, first 2 shown]
	v_fma_f64 v[6:7], v[50:51], v[70:71], -v[6:7]
	v_add_co_u32_e32 v184, vcc, s10, v184
	v_mul_f64 v[10:11], v[10:11], v[28:29]
	v_add_f64 v[0:1], v[0:1], v[6:7]
	v_mul_f64 v[6:7], v[68:69], v[104:105]
	v_addc_co_u32_e32 v183, vcc, v183, v5, vcc
	v_mul_f64 v[14:15], v[14:15], v[32:33]
	v_fmac_f64_e32 v[10:11], v[12:13], v[26:27]
	v_fma_f64 v[6:7], v[66:67], v[102:103], -v[6:7]
	v_add_co_u32_e32 v186, vcc, s10, v186
	v_mul_f64 v[18:19], v[18:19], v[40:41]
	v_add_f64 v[2:3], v[2:3], v[10:11]
	v_fmac_f64_e32 v[14:15], v[16:17], v[30:31]
	v_add_f64 v[0:1], v[0:1], v[6:7]
	v_mul_f64 v[6:7], v[76:77], v[108:109]
	v_addc_co_u32_e32 v185, vcc, v185, v5, vcc
	v_add_f64 v[2:3], v[2:3], v[14:15]
	v_fmac_f64_e32 v[18:19], v[20:21], v[38:39]
	v_mul_f64 v[8:9], v[34:35], v[56:57]
	v_fma_f64 v[6:7], v[74:75], v[106:107], -v[6:7]
	v_add_co_u32_e32 v188, vcc, s10, v188
	v_add_f64 v[2:3], v[2:3], v[18:19]
	v_mul_f64 v[10:11], v[42:43], v[60:61]
	v_fmac_f64_e32 v[8:9], v[36:37], v[54:55]
	v_add_f64 v[0:1], v[0:1], v[6:7]
	v_mul_f64 v[6:7], v[80:81], v[112:113]
	v_addc_co_u32_e32 v187, vcc, v187, v5, vcc
	v_mul_f64 v[12:13], v[46:47], v[64:65]
	v_add_f64 v[2:3], v[2:3], v[8:9]
	v_fmac_f64_e32 v[10:11], v[44:45], v[58:59]
	v_fma_f64 v[6:7], v[78:79], v[110:111], -v[6:7]
	v_add_co_u32_e32 v190, vcc, s10, v190
	v_mul_f64 v[14:15], v[50:51], v[72:73]
	v_add_f64 v[2:3], v[2:3], v[10:11]
	v_fmac_f64_e32 v[12:13], v[48:49], v[62:63]
	v_add_f64 v[0:1], v[0:1], v[6:7]
	v_mul_f64 v[6:7], v[100:101], v[120:121]
	v_addc_co_u32_e32 v189, vcc, v189, v5, vcc
	v_add_f64 v[2:3], v[2:3], v[12:13]
	v_fmac_f64_e32 v[14:15], v[52:53], v[70:71]
	v_mul_f64 v[8:9], v[66:67], v[104:105]
	v_fma_f64 v[6:7], v[98:99], v[118:119], -v[6:7]
	v_add_co_u32_e32 v192, vcc, s10, v192
	v_add_f64 v[2:3], v[2:3], v[14:15]
	v_mul_f64 v[10:11], v[74:75], v[108:109]
	v_add_f64 v[0:1], v[0:1], v[6:7]
	v_fmac_f64_e32 v[8:9], v[68:69], v[102:103]
	v_mul_f64 v[6:7], v[116:117], v[88:89]
	v_addc_co_u32_e32 v191, vcc, v191, v5, vcc
	v_mul_f64 v[12:13], v[78:79], v[112:113]
	v_add_f64 v[2:3], v[2:3], v[8:9]
	v_fmac_f64_e32 v[10:11], v[76:77], v[106:107]
	v_fma_f64 v[6:7], v[114:115], v[86:87], -v[6:7]
	v_add_co_u32_e32 v194, vcc, s10, v194
	v_mul_f64 v[14:15], v[98:99], v[120:121]
	v_add_f64 v[2:3], v[2:3], v[10:11]
	v_fmac_f64_e32 v[12:13], v[80:81], v[110:111]
	v_add_f64 v[0:1], v[0:1], v[6:7]
	v_mul_f64 v[6:7], v[124:125], v[92:93]
	v_addc_co_u32_e32 v193, vcc, v193, v5, vcc
	v_add_f64 v[2:3], v[2:3], v[12:13]
	v_fmac_f64_e32 v[14:15], v[100:101], v[118:119]
	v_mul_f64 v[8:9], v[114:115], v[88:89]
	v_fma_f64 v[6:7], v[122:123], v[90:91], -v[6:7]
	v_add_co_u32_e32 v196, vcc, s10, v196
	v_add_f64 v[2:3], v[2:3], v[14:15]
	v_mul_f64 v[10:11], v[122:123], v[92:93]
	v_add_f64 v[0:1], v[0:1], v[6:7]
	v_mul_f64 v[6:7], v[128:129], v[96:97]
	v_fmac_f64_e32 v[8:9], v[116:117], v[86:87]
	v_addc_co_u32_e32 v195, vcc, v195, v5, vcc
	v_fma_f64 v[6:7], v[126:127], v[94:95], -v[6:7]
	v_mul_f64 v[12:13], v[126:127], v[96:97]
	v_fmac_f64_e32 v[10:11], v[124:125], v[90:91]
	v_add_f64 v[2:3], v[2:3], v[8:9]
	v_add_co_u32_e32 v198, vcc, s10, v198
	v_add_f64 v[0:1], v[0:1], v[6:7]
	v_mul_f64 v[6:7], v[132:133], v[136:137]
	v_mul_f64 v[14:15], v[130:131], v[136:137]
	v_fmac_f64_e32 v[12:13], v[128:129], v[94:95]
	v_add_f64 v[2:3], v[2:3], v[10:11]
	v_addc_co_u32_e32 v197, vcc, v197, v5, vcc
	v_fma_f64 v[6:7], v[130:131], v[134:135], -v[6:7]
	v_fmac_f64_e32 v[14:15], v[132:133], v[134:135]
	v_add_f64 v[2:3], v[2:3], v[12:13]
	s_add_i32 s4, s6, 1
	s_add_i32 s27, s27, 64
	;; [unrolled: 1-line block ×3, first 2 shown]
	v_add_co_u32_e32 v200, vcc, s10, v200
	v_add_f64 v[0:1], v[0:1], v[6:7]
	v_add_f64 v[2:3], v[2:3], v[14:15]
	s_cmp_ge_u32 s5, s7
	v_addc_co_u32_e32 v199, vcc, v199, v5, vcc
	s_barrier
	s_cbranch_scc1 .LBB188_156
; %bb.155:                              ;   in Loop: Header=BB188_104 Depth=1
	s_mov_b32 s6, s4
	s_cmp_eq_u32 s26, s6
	s_cselect_b32 s28, s25, 0
	s_and_saveexec_b64 s[4:5], s[0:1]
	s_cbranch_execnz .LBB188_100
	s_branch .LBB188_104
.LBB188_156:
	s_movk_i32 s2, 0x430
	v_cmp_gt_i32_e32 vcc, s18, v201
	v_mad_u32_u24 v4, v202, s2, v168
	s_or_b64 s[2:3], s[20:21], vcc
	s_and_b64 s[0:1], s[0:1], s[2:3]
	ds_write_b128 v4, v[0:3]
	s_waitcnt lgkmcnt(0)
	s_barrier
	s_and_saveexec_b64 s[2:3], s[0:1]
	s_cbranch_execz .LBB188_158
; %bb.157:
	ds_read_b128 v[0:3], v168 offset:1072
	ds_read_b128 v[4:7], v168
	ds_read_b128 v[8:11], v168 offset:2144
	ds_read_b128 v[12:15], v168 offset:3216
	s_waitcnt lgkmcnt(2)
	v_add_f64 v[0:1], v[0:1], v[4:5]
	v_add_f64 v[2:3], v[2:3], v[6:7]
	v_lshlrev_b64 v[4:5], 4, v[166:167]
	s_waitcnt lgkmcnt(1)
	v_add_f64 v[0:1], v[0:1], v[8:9]
	v_add_f64 v[2:3], v[2:3], v[10:11]
	v_mov_b32_e32 v6, s24
	v_add_co_u32_e32 v4, vcc, s19, v4
	s_waitcnt lgkmcnt(0)
	v_add_f64 v[0:1], v[0:1], v[12:13]
	v_add_f64 v[2:3], v[2:3], v[14:15]
	v_addc_co_u32_e32 v5, vcc, v6, v5, vcc
	global_store_dwordx4 v[4:5], v[0:3], off
.LBB188_158:
	s_endpgm
	.section	.rodata,"a",@progbits
	.p2align	6, 0x0
	.amdhsa_kernel _ZL26rocblas_hemvn_kernel_upperILb0ELi64ELi4ELi33ELi32ELi16ElPK19rocblas_complex_numIdEPKS3_PS1_EviT6_lT7_lT5_lS8_lS9_lS7_lT8_i
		.amdhsa_group_segment_fixed_size 19200
		.amdhsa_private_segment_fixed_size 0
		.amdhsa_kernarg_size 376
		.amdhsa_user_sgpr_count 6
		.amdhsa_user_sgpr_private_segment_buffer 1
		.amdhsa_user_sgpr_dispatch_ptr 0
		.amdhsa_user_sgpr_queue_ptr 0
		.amdhsa_user_sgpr_kernarg_segment_ptr 1
		.amdhsa_user_sgpr_dispatch_id 0
		.amdhsa_user_sgpr_flat_scratch_init 0
		.amdhsa_user_sgpr_kernarg_preload_length 0
		.amdhsa_user_sgpr_kernarg_preload_offset 0
		.amdhsa_user_sgpr_private_segment_size 0
		.amdhsa_uses_dynamic_stack 0
		.amdhsa_system_sgpr_private_segment_wavefront_offset 0
		.amdhsa_system_sgpr_workgroup_id_x 1
		.amdhsa_system_sgpr_workgroup_id_y 0
		.amdhsa_system_sgpr_workgroup_id_z 1
		.amdhsa_system_sgpr_workgroup_info 0
		.amdhsa_system_vgpr_workitem_id 1
		.amdhsa_next_free_vgpr 230
		.amdhsa_next_free_sgpr 42
		.amdhsa_accum_offset 232
		.amdhsa_reserve_vcc 1
		.amdhsa_reserve_flat_scratch 0
		.amdhsa_float_round_mode_32 0
		.amdhsa_float_round_mode_16_64 0
		.amdhsa_float_denorm_mode_32 3
		.amdhsa_float_denorm_mode_16_64 3
		.amdhsa_dx10_clamp 1
		.amdhsa_ieee_mode 1
		.amdhsa_fp16_overflow 0
		.amdhsa_tg_split 0
		.amdhsa_exception_fp_ieee_invalid_op 0
		.amdhsa_exception_fp_denorm_src 0
		.amdhsa_exception_fp_ieee_div_zero 0
		.amdhsa_exception_fp_ieee_overflow 0
		.amdhsa_exception_fp_ieee_underflow 0
		.amdhsa_exception_fp_ieee_inexact 0
		.amdhsa_exception_int_div_zero 0
	.end_amdhsa_kernel
	.section	.text._ZL26rocblas_hemvn_kernel_upperILb0ELi64ELi4ELi33ELi32ELi16ElPK19rocblas_complex_numIdEPKS3_PS1_EviT6_lT7_lT5_lS8_lS9_lS7_lT8_i,"axG",@progbits,_ZL26rocblas_hemvn_kernel_upperILb0ELi64ELi4ELi33ELi32ELi16ElPK19rocblas_complex_numIdEPKS3_PS1_EviT6_lT7_lT5_lS8_lS9_lS7_lT8_i,comdat
.Lfunc_end188:
	.size	_ZL26rocblas_hemvn_kernel_upperILb0ELi64ELi4ELi33ELi32ELi16ElPK19rocblas_complex_numIdEPKS3_PS1_EviT6_lT7_lT5_lS8_lS9_lS7_lT8_i, .Lfunc_end188-_ZL26rocblas_hemvn_kernel_upperILb0ELi64ELi4ELi33ELi32ELi16ElPK19rocblas_complex_numIdEPKS3_PS1_EviT6_lT7_lT5_lS8_lS9_lS7_lT8_i
                                        ; -- End function
	.section	.AMDGPU.csdata,"",@progbits
; Kernel info:
; codeLenInByte = 10752
; NumSgprs: 46
; NumVgprs: 230
; NumAgprs: 0
; TotalNumVgprs: 230
; ScratchSize: 0
; MemoryBound: 1
; FloatMode: 240
; IeeeMode: 1
; LDSByteSize: 19200 bytes/workgroup (compile time only)
; SGPRBlocks: 5
; VGPRBlocks: 28
; NumSGPRsForWavesPerEU: 46
; NumVGPRsForWavesPerEU: 230
; AccumOffset: 232
; Occupancy: 2
; WaveLimiterHint : 1
; COMPUTE_PGM_RSRC2:SCRATCH_EN: 0
; COMPUTE_PGM_RSRC2:USER_SGPR: 6
; COMPUTE_PGM_RSRC2:TRAP_HANDLER: 0
; COMPUTE_PGM_RSRC2:TGID_X_EN: 1
; COMPUTE_PGM_RSRC2:TGID_Y_EN: 0
; COMPUTE_PGM_RSRC2:TGID_Z_EN: 1
; COMPUTE_PGM_RSRC2:TIDIG_COMP_CNT: 1
; COMPUTE_PGM_RSRC3_GFX90A:ACCUM_OFFSET: 57
; COMPUTE_PGM_RSRC3_GFX90A:TG_SPLIT: 0
	.section	.text._ZL26rocblas_hemvn_kernel_upperILb0ELi64ELi4ELi33ELi32ELi16EiPK19rocblas_complex_numIdEPKS3_PS1_EviT6_lT7_lT5_lS8_lS9_lS7_lT8_i,"axG",@progbits,_ZL26rocblas_hemvn_kernel_upperILb0ELi64ELi4ELi33ELi32ELi16EiPK19rocblas_complex_numIdEPKS3_PS1_EviT6_lT7_lT5_lS8_lS9_lS7_lT8_i,comdat
	.globl	_ZL26rocblas_hemvn_kernel_upperILb0ELi64ELi4ELi33ELi32ELi16EiPK19rocblas_complex_numIdEPKS3_PS1_EviT6_lT7_lT5_lS8_lS9_lS7_lT8_i ; -- Begin function _ZL26rocblas_hemvn_kernel_upperILb0ELi64ELi4ELi33ELi32ELi16EiPK19rocblas_complex_numIdEPKS3_PS1_EviT6_lT7_lT5_lS8_lS9_lS7_lT8_i
	.p2align	8
	.type	_ZL26rocblas_hemvn_kernel_upperILb0ELi64ELi4ELi33ELi32ELi16EiPK19rocblas_complex_numIdEPKS3_PS1_EviT6_lT7_lT5_lS8_lS9_lS7_lT8_i,@function
_ZL26rocblas_hemvn_kernel_upperILb0ELi64ELi4ELi33ELi32ELi16EiPK19rocblas_complex_numIdEPKS3_PS1_EviT6_lT7_lT5_lS8_lS9_lS7_lT8_i: ; @_ZL26rocblas_hemvn_kernel_upperILb0ELi64ELi4ELi33ELi32ELi16EiPK19rocblas_complex_numIdEPKS3_PS1_EviT6_lT7_lT5_lS8_lS9_lS7_lT8_i
; %bb.0:
	s_load_dwordx2 s[0:1], s[4:5], 0x84
	s_add_u32 s16, s4, 0x78
	s_addc_u32 s17, s5, 0
	s_waitcnt lgkmcnt(0)
	s_lshr_b32 s2, s0, 16
	s_and_b32 s0, s0, 0xffff
	s_and_b32 s1, s1, 0xffff
	s_mul_i32 s0, s2, s0
	s_mul_i32 s0, s0, s1
	s_cmpk_lg_i32 s0, 0x100
	s_cbranch_scc1 .LBB189_158
; %bb.1:
	s_load_dwordx8 s[8:15], s[4:5], 0x8
	s_mov_b32 s20, s7
	s_mov_b32 s21, 0
	s_waitcnt lgkmcnt(0)
	s_mul_i32 s1, s7, s11
	s_mul_hi_u32 s2, s7, s10
	s_mul_i32 s0, s7, s10
	s_add_i32 s1, s2, s1
	s_lshl_b64 s[0:1], s[0:1], 4
	s_add_u32 s8, s8, s0
	s_addc_u32 s9, s9, s1
	s_load_dwordx4 s[24:27], s[8:9], 0x0
	s_load_dwordx2 s[22:23], s[4:5], 0x68
	s_load_dwordx4 s[0:3], s[4:5], 0x58
	s_mov_b64 s[10:11], 0
	s_waitcnt lgkmcnt(0)
	v_cmp_neq_f64_e64 s[8:9], s[24:25], 0
	v_cmp_neq_f64_e64 s[18:19], s[26:27], 0
	s_or_b64 s[8:9], s[8:9], s[18:19]
	s_and_b64 vcc, exec, s[8:9]
	s_cbranch_vccnz .LBB189_3
; %bb.2:
	s_mul_i32 s3, s20, s3
	s_mul_hi_u32 s7, s20, s2
	s_add_i32 s3, s7, s3
	s_mul_i32 s2, s20, s2
	s_lshl_b64 s[2:3], s[2:3], 4
	s_add_u32 s0, s0, s2
	s_addc_u32 s1, s1, s3
	s_load_dwordx4 s[24:27], s[0:1], 0x0
	s_mov_b64 s[2:3], 0
	s_waitcnt lgkmcnt(0)
	v_cmp_neq_f64_e64 s[0:1], s[24:25], 1.0
	v_cmp_neq_f64_e64 s[10:11], s[26:27], 0
	s_or_b64 s[10:11], s[0:1], s[10:11]
	s_cbranch_execz .LBB189_4
	s_branch .LBB189_5
.LBB189_3:
	s_mov_b64 s[2:3], -1
.LBB189_4:
	s_lshl_b64 s[0:1], s[20:21], 3
	s_add_u32 s0, s12, s0
	s_addc_u32 s1, s13, s1
	s_load_dwordx2 s[0:1], s[0:1], 0x0
	s_lshl_b64 s[2:3], s[14:15], 4
	s_mov_b64 s[10:11], -1
	s_waitcnt lgkmcnt(0)
	s_add_u32 s2, s0, s2
	s_addc_u32 s3, s1, s3
.LBB189_5:
	s_andn2_b64 vcc, exec, s[10:11]
	s_cbranch_vccnz .LBB189_158
; %bb.6:
	v_cndmask_b32_e64 v1, 0, 1, s[8:9]
	v_cmp_ne_u32_e64 s[0:1], 1, v1
	s_andn2_b64 vcc, exec, s[8:9]
	s_mov_b64 s[8:9], 0
	s_cbranch_vccnz .LBB189_8
; %bb.7:
	s_load_dwordx4 s[8:11], s[4:5], 0x38
	s_lshl_b64 s[12:13], s[20:21], 3
	s_waitcnt lgkmcnt(0)
	s_add_u32 s8, s8, s12
	s_addc_u32 s9, s9, s13
	s_load_dwordx2 s[8:9], s[8:9], 0x0
	s_lshl_b64 s[10:11], s[10:11], 4
	s_waitcnt lgkmcnt(0)
	s_add_u32 s8, s8, s10
	s_addc_u32 s9, s9, s11
.LBB189_8:
	s_and_b64 vcc, exec, s[0:1]
	s_cbranch_vccnz .LBB189_158
; %bb.9:
	s_load_dword s7, s[16:17], 0x0
	s_load_dword s40, s[4:5], 0x0
	;; [unrolled: 1-line block ×3, first 2 shown]
	v_and_b32_e32 v168, 0x3ff, v0
	s_lshl_b32 s24, s6, 6
	v_add_u32_e32 v166, s24, v168
	s_waitcnt lgkmcnt(0)
	s_ashr_i32 s41, s40, 31
	s_lshr_b32 s1, s41, 26
	v_bfe_u32 v209, v0, 10, 10
	s_add_i32 s1, s40, s1
	v_mul_lo_u32 v0, v166, s21
	s_andn2_b32 s1, s1, 63
	v_ashrrev_i32_e32 v1, 31, v0
	s_add_i32 s0, s7, -1
	s_sub_i32 s33, s40, s1
	v_lshlrev_b64 v[0:1], 4, v[0:1]
	s_cmp_eq_u32 s6, s0
	v_mov_b32_e32 v2, s9
	v_add_co_u32_e32 v36, vcc, s8, v0
	s_cselect_b32 s16, s33, 0
	v_addc_co_u32_e32 v37, vcc, v2, v1, vcc
	v_cmp_eq_u32_e64 s[0:1], 0, v209
	s_and_saveexec_b64 s[8:9], s[0:1]
	s_cbranch_execz .LBB189_14
; %bb.10:
	s_cmp_lg_u32 s16, 0
	s_cselect_b64 s[10:11], -1, 0
	v_cmp_le_i32_e32 vcc, s16, v168
	v_mov_b32_e32 v0, 0x4700
	s_and_b64 s[10:11], s[10:11], vcc
	v_lshl_add_u32 v0, v168, 4, v0
	s_and_saveexec_b64 s[12:13], s[10:11]
	s_xor_b64 s[10:11], exec, s[12:13]
	s_cbranch_execz .LBB189_12
; %bb.11:
	v_mov_b32_e32 v2, 0
	v_mov_b32_e32 v3, v2
	;; [unrolled: 1-line block ×4, first 2 shown]
	ds_write_b128 v0, v[2:5]
                                        ; implicit-def: $vgpr0
.LBB189_12:
	s_andn2_saveexec_b64 s[10:11], s[10:11]
	s_cbranch_execz .LBB189_14
; %bb.13:
	flat_load_dwordx4 v[2:5], v[36:37]
	s_waitcnt vmcnt(0) lgkmcnt(0)
	ds_write2_b64 v0, v[2:3], v[4:5] offset1:1
.LBB189_14:
	s_or_b64 exec, exec, s[8:9]
	s_load_dword s26, s[4:5], 0x28
	s_ashr_i32 s25, s24, 31
	v_lshl_add_u32 v42, v209, 6, v168
	s_lshl_b64 s[4:5], s[24:25], 4
	v_and_b32_e32 v4, 31, v168
	v_lshrrev_b32_e32 v5, 5, v42
	s_add_u32 s4, s2, s4
	s_addc_u32 s5, s3, s5
	s_waitcnt lgkmcnt(0)
	v_mad_u64_u32 v[0:1], s[2:3], v5, s26, v[4:5]
	s_mul_i32 s2, s24, s26
	s_ashr_i32 s3, s2, 31
	s_lshl_b64 s[2:3], s[2:3], 4
	s_add_u32 s2, s2, s4
	v_ashrrev_i32_e32 v1, 31, v0
	s_addc_u32 s3, s3, s5
	v_lshlrev_b64 v[38:39], 4, v[0:1]
	s_cmp_eq_u32 s16, 0
	v_mov_b32_e32 v1, s3
	v_add_co_u32_e32 v0, vcc, s2, v38
	s_cselect_b64 s[18:19], -1, 0
	s_cmp_lg_u32 s16, 0
	v_addc_co_u32_e32 v1, vcc, v1, v39, vcc
	s_cselect_b64 s[34:35], -1, 0
	s_and_b64 vcc, exec, s[34:35]
	v_cmp_gt_i32_e64 s[2:3], s16, v4
	v_lshlrev_b32_e32 v11, 4, v4
	v_mul_u32_u24_e32 v10, 33, v5
	s_cbranch_vccz .LBB189_32
; %bb.15:
	v_sub_co_u32_e32 v2, vcc, v0, v11
	s_ashr_i32 s17, s16, 31
	v_subbrev_co_u32_e32 v3, vcc, 0, v1, vcc
	s_lshl_b64 s[4:5], s[16:17], 4
	v_mov_b32_e32 v6, s5
	v_add_co_u32_e32 v2, vcc, s4, v2
	v_addc_co_u32_e32 v3, vcc, v3, v6, vcc
	v_add_co_u32_e32 v2, vcc, -16, v2
	v_addc_co_u32_e32 v3, vcc, -1, v3, vcc
	v_cndmask_b32_e64 v3, v3, v1, s[2:3]
	v_cndmask_b32_e64 v2, v2, v0, s[2:3]
	v_cmp_le_i32_e32 vcc, s16, v5
	v_add_lshl_u32 v6, v10, v4, 4
	s_and_saveexec_b64 s[8:9], vcc
	s_xor_b64 s[8:9], exec, s[8:9]
	s_cbranch_execz .LBB189_17
; %bb.16:
	v_mov_b32_e32 v12, 0
	v_mov_b32_e32 v13, v12
	;; [unrolled: 1-line block ×4, first 2 shown]
	ds_write_b128 v6, v[12:15]
.LBB189_17:
	s_andn2_saveexec_b64 s[8:9], s[8:9]
	s_cbranch_execz .LBB189_19
; %bb.18:
	flat_load_dwordx4 v[12:15], v[2:3]
	s_waitcnt vmcnt(0) lgkmcnt(0)
	ds_write2_b64 v6, v[12:13], v[14:15] offset1:1
.LBB189_19:
	s_or_b64 exec, exec, s[8:9]
	v_add_u32_e32 v7, 8, v5
	v_cmp_le_i32_e32 vcc, s16, v7
	s_and_saveexec_b64 s[8:9], vcc
	s_xor_b64 s[8:9], exec, s[8:9]
	s_cbranch_execz .LBB189_21
; %bb.20:
	v_mul_u32_u24_e32 v7, 33, v7
	v_mov_b32_e32 v12, 0
	v_add_lshl_u32 v7, v7, v4, 4
	v_mov_b32_e32 v13, v12
	v_mov_b32_e32 v14, v12
	;; [unrolled: 1-line block ×3, first 2 shown]
	ds_write_b128 v7, v[12:15]
.LBB189_21:
	s_andn2_saveexec_b64 s[8:9], s[8:9]
	s_cbranch_execz .LBB189_23
; %bb.22:
	s_lshl_b32 s10, s26, 3
	s_ashr_i32 s11, s10, 31
	s_lshl_b64 s[10:11], s[10:11], 4
	v_mov_b32_e32 v7, s11
	v_add_co_u32_e32 v8, vcc, s10, v2
	v_addc_co_u32_e32 v9, vcc, v3, v7, vcc
	flat_load_dwordx4 v[12:15], v[8:9]
	v_add_u32_e32 v7, 0x1080, v6
	s_waitcnt vmcnt(0) lgkmcnt(0)
	ds_write2_b64 v7, v[12:13], v[14:15] offset1:1
.LBB189_23:
	s_or_b64 exec, exec, s[8:9]
	v_add_u32_e32 v7, 16, v5
	v_cmp_le_i32_e32 vcc, s16, v7
	s_and_saveexec_b64 s[8:9], vcc
	s_xor_b64 s[8:9], exec, s[8:9]
	s_cbranch_execz .LBB189_25
; %bb.24:
	v_mul_u32_u24_e32 v7, 33, v7
	v_mov_b32_e32 v12, 0
	v_add_lshl_u32 v7, v7, v4, 4
	v_mov_b32_e32 v13, v12
	v_mov_b32_e32 v14, v12
	;; [unrolled: 1-line block ×3, first 2 shown]
	ds_write_b128 v7, v[12:15]
.LBB189_25:
	s_andn2_saveexec_b64 s[8:9], s[8:9]
	s_cbranch_execz .LBB189_27
; %bb.26:
	s_lshl_b32 s10, s26, 4
	s_ashr_i32 s11, s10, 31
	s_lshl_b64 s[10:11], s[10:11], 4
	v_mov_b32_e32 v7, s11
	v_add_co_u32_e32 v8, vcc, s10, v2
	v_addc_co_u32_e32 v9, vcc, v3, v7, vcc
	flat_load_dwordx4 v[12:15], v[8:9]
	v_add_u32_e32 v7, 0x2100, v6
	s_waitcnt vmcnt(0) lgkmcnt(0)
	ds_write2_b64 v7, v[12:13], v[14:15] offset1:1
.LBB189_27:
	s_or_b64 exec, exec, s[8:9]
	v_add_u32_e32 v7, 24, v5
	v_cmp_le_i32_e32 vcc, s16, v7
	s_and_saveexec_b64 s[8:9], vcc
	s_xor_b64 s[8:9], exec, s[8:9]
	s_cbranch_execz .LBB189_29
; %bb.28:
	v_mov_b32_e32 v12, 0
	v_mov_b32_e32 v13, v12
	;; [unrolled: 1-line block ×4, first 2 shown]
	ds_write_b128 v6, v[12:15] offset:12672
                                        ; implicit-def: $vgpr6
.LBB189_29:
	s_andn2_saveexec_b64 s[8:9], s[8:9]
	s_cbranch_execz .LBB189_31
; %bb.30:
	s_mul_i32 s10, s26, 24
	s_ashr_i32 s11, s10, 31
	s_lshl_b64 s[10:11], s[10:11], 4
	v_mov_b32_e32 v7, s11
	v_add_co_u32_e32 v8, vcc, s10, v2
	v_addc_co_u32_e32 v9, vcc, v3, v7, vcc
	flat_load_dwordx4 v[12:15], v[8:9]
	v_add_u32_e32 v6, 0x3180, v6
	s_waitcnt vmcnt(0) lgkmcnt(0)
	ds_write2_b64 v6, v[12:13], v[14:15] offset1:1
.LBB189_31:
	s_or_b64 exec, exec, s[8:9]
	v_add_co_u32_e32 v2, vcc, v2, v11
	v_addc_co_u32_e32 v3, vcc, 0, v3, vcc
	v_mov_b32_e32 v6, s5
	v_subrev_co_u32_e32 v2, vcc, s4, v2
	v_subb_co_u32_e32 v3, vcc, v3, v6, vcc
	v_add_co_u32_e32 v2, vcc, 16, v2
	v_addc_co_u32_e32 v3, vcc, 0, v3, vcc
	v_cndmask_b32_e64 v7, v3, v1, s[2:3]
	v_cndmask_b32_e64 v6, v2, v0, s[2:3]
	s_branch .LBB189_34
.LBB189_32:
                                        ; implicit-def: $vgpr6_vgpr7
	s_cbranch_execz .LBB189_34
; %bb.33:
	flat_load_dwordx4 v[6:9], v[0:1]
	s_lshl_b32 s2, s26, 3
	s_ashr_i32 s3, s2, 31
	s_lshl_b64 s[2:3], s[2:3], 4
	v_add_lshl_u32 v12, v10, v4, 4
	v_mov_b32_e32 v3, s3
	v_add_co_u32_e32 v2, vcc, s2, v0
	v_addc_co_u32_e32 v3, vcc, v1, v3, vcc
	s_ashr_i32 s27, s26, 31
	s_lshl_b64 s[2:3], s[26:27], 7
	v_add_u32_e32 v13, 0x1080, v12
	v_mov_b32_e32 v14, s3
	s_waitcnt vmcnt(0) lgkmcnt(0)
	ds_write2_b64 v12, v[6:7], v[8:9] offset1:1
	flat_load_dwordx4 v[6:9], v[2:3]
	v_add_co_u32_e32 v2, vcc, s2, v2
	v_addc_co_u32_e32 v3, vcc, v3, v14, vcc
	s_waitcnt vmcnt(0) lgkmcnt(0)
	ds_write2_b64 v13, v[6:7], v[8:9] offset1:1
	flat_load_dwordx4 v[6:9], v[2:3]
	v_add_u32_e32 v13, 0x2100, v12
	v_add_co_u32_e32 v2, vcc, s2, v2
	v_addc_co_u32_e32 v3, vcc, v3, v14, vcc
	s_waitcnt vmcnt(0) lgkmcnt(0)
	ds_write2_b64 v13, v[6:7], v[8:9] offset1:1
	flat_load_dwordx4 v[6:9], v[2:3]
	v_add_u32_e32 v2, 0x3180, v12
	s_waitcnt vmcnt(0) lgkmcnt(0)
	ds_write2_b64 v2, v[6:7], v[8:9] offset1:1
	v_pk_mov_b32 v[6:7], v[0:1], v[0:1] op_sel:[0,1]
.LBB189_34:
	v_lshlrev_b32_e32 v0, 2, v5
	v_mul_u32_u24_e32 v12, 33, v4
	v_cmp_gt_u32_e64 s[4:5], v0, v4
	v_add_lshl_u32 v16, v0, v12, 4
	s_waitcnt lgkmcnt(0)
	s_barrier
	s_and_saveexec_b64 s[2:3], s[4:5]
	s_cbranch_execz .LBB189_36
; %bb.35:
	v_mul_u32_u24_e32 v1, 0x84, v5
	v_add_lshl_u32 v1, v1, v4, 4
	ds_read_b128 v[18:21], v1
	s_waitcnt lgkmcnt(0)
	ds_write_b128 v16, v[18:21]
.LBB189_36:
	s_or_b64 exec, exec, s[2:3]
	v_cmp_ge_u32_e64 s[14:15], v0, v4
	s_and_saveexec_b64 s[2:3], s[14:15]
	s_cbranch_execz .LBB189_38
; %bb.37:
	v_or_b32_e32 v1, 1, v0
	v_mul_u32_u24_e32 v1, 33, v1
	v_add_lshl_u32 v1, v1, v4, 4
	ds_read_b128 v[18:21], v1
	s_waitcnt lgkmcnt(0)
	ds_write_b128 v16, v[18:21] offset:16
.LBB189_38:
	s_or_b64 exec, exec, s[2:3]
	v_or_b32_e32 v1, 2, v0
	v_cmp_gt_u32_e64 s[8:9], v1, v4
	s_and_saveexec_b64 s[2:3], s[8:9]
	s_cbranch_execz .LBB189_40
; %bb.39:
	v_mul_u32_u24_e32 v1, 33, v1
	v_add_lshl_u32 v1, v1, v4, 4
	ds_read_b128 v[18:21], v1
	s_waitcnt lgkmcnt(0)
	ds_write_b128 v16, v[18:21] offset:32
.LBB189_40:
	s_or_b64 exec, exec, s[2:3]
	v_or_b32_e32 v1, 3, v0
	v_cmp_gt_u32_e64 s[10:11], v1, v4
	v_mad_u32_u24 v1, v1, 33, v4
	v_lshlrev_b32_e32 v13, 4, v1
	s_and_saveexec_b64 s[2:3], s[10:11]
	s_cbranch_execz .LBB189_42
; %bb.41:
	ds_read_b128 v[18:21], v13
	s_waitcnt lgkmcnt(0)
	ds_write_b128 v16, v[18:21] offset:48
.LBB189_42:
	s_or_b64 exec, exec, s[2:3]
	v_mul_u32_u24_e32 v1, 0x84, v5
	v_lshlrev_b32_e32 v15, 4, v0
	s_waitcnt lgkmcnt(0)
	s_barrier
	v_add_lshl_u32 v14, v1, v4, 4
	ds_read_b128 v[0:3], v15 offset:18176
	ds_read_b128 v[18:21], v14
	ds_read_b128 v[26:29], v15 offset:18192
	ds_read_b128 v[30:33], v15 offset:18208
	v_add_u32_e32 v24, 0xfffffbe0, v13
	ds_read_b128 v[44:47], v24
	ds_read_b128 v[48:51], v24 offset:528
	s_waitcnt lgkmcnt(4)
	v_mul_f64 v[8:9], v[2:3], v[20:21]
	v_fma_f64 v[8:9], v[0:1], v[18:19], -v[8:9]
	v_mul_f64 v[0:1], v[0:1], v[20:21]
	v_fmac_f64_e32 v[0:1], v[2:3], v[18:19]
	s_waitcnt lgkmcnt(1)
	v_mul_f64 v[18:19], v[26:27], v[46:47]
	v_add_f64 v[2:3], v[8:9], 0
	v_add_f64 v[0:1], v[0:1], 0
	v_mul_f64 v[8:9], v[28:29], v[46:47]
	v_fmac_f64_e32 v[18:19], v[28:29], v[44:45]
	v_fma_f64 v[8:9], v[26:27], v[44:45], -v[8:9]
	v_add_f64 v[22:23], v[0:1], v[18:19]
	s_waitcnt lgkmcnt(0)
	v_mul_f64 v[0:1], v[32:33], v[50:51]
	v_add_f64 v[8:9], v[2:3], v[8:9]
	v_fma_f64 v[26:27], v[30:31], v[48:49], -v[0:1]
	ds_read_b128 v[0:3], v15 offset:18224
	ds_read_b128 v[18:21], v13
	v_mul_f64 v[28:29], v[30:31], v[50:51]
	v_fmac_f64_e32 v[28:29], v[32:33], v[48:49]
	v_add_f64 v[8:9], v[8:9], v[26:27]
	v_add_f64 v[22:23], v[22:23], v[28:29]
	s_waitcnt lgkmcnt(0)
	v_mul_f64 v[26:27], v[2:3], v[20:21]
	v_mul_f64 v[20:21], v[0:1], v[20:21]
	v_fma_f64 v[26:27], v[0:1], v[18:19], -v[26:27]
	v_fmac_f64_e32 v[20:21], v[2:3], v[18:19]
	v_add_f64 v[0:1], v[8:9], v[26:27]
	v_add_f64 v[2:3], v[22:23], v[20:21]
	v_add_lshl_u32 v44, v5, v12, 4
	s_barrier
	ds_write_b128 v44, v[0:3]
	v_pk_mov_b32 v[0:1], 0, 0
	v_cmp_gt_u32_e64 s[2:3], 32, v42
	v_lshlrev_b32_e32 v43, 4, v12
	v_pk_mov_b32 v[2:3], v[0:1], v[0:1] op_sel:[0,1]
	s_waitcnt lgkmcnt(0)
	s_barrier
	s_and_saveexec_b64 s[12:13], s[2:3]
	s_cbranch_execz .LBB189_44
; %bb.43:
	ds_read_b128 v[0:3], v43
	ds_read_b128 v[18:21], v43 offset:16
	ds_read_b128 v[26:29], v43 offset:32
	;; [unrolled: 1-line block ×3, first 2 shown]
	s_waitcnt lgkmcnt(2)
	v_add_f64 v[0:1], v[18:19], v[0:1]
	v_add_f64 v[8:9], v[20:21], v[2:3]
	s_waitcnt lgkmcnt(1)
	v_add_f64 v[18:19], v[0:1], v[26:27]
	ds_read_b128 v[0:3], v43 offset:64
	v_add_f64 v[8:9], v[8:9], v[28:29]
	s_waitcnt lgkmcnt(1)
	v_add_f64 v[22:23], v[18:19], v[30:31]
	ds_read_b128 v[18:21], v43 offset:80
	v_add_f64 v[8:9], v[8:9], v[32:33]
	ds_read_b128 v[26:29], v43 offset:96
	s_waitcnt lgkmcnt(2)
	v_add_f64 v[22:23], v[22:23], v[0:1]
	v_add_f64 v[8:9], v[8:9], v[2:3]
	ds_read_b128 v[0:3], v43 offset:112
	s_waitcnt lgkmcnt(2)
	v_add_f64 v[18:19], v[22:23], v[18:19]
	v_add_f64 v[8:9], v[8:9], v[20:21]
	s_waitcnt lgkmcnt(1)
	v_add_f64 v[18:19], v[18:19], v[26:27]
	v_add_f64 v[8:9], v[8:9], v[28:29]
	s_waitcnt lgkmcnt(0)
	v_add_f64 v[0:1], v[18:19], v[0:1]
	v_add_f64 v[2:3], v[8:9], v[2:3]
.LBB189_44:
	s_or_b64 exec, exec, s[12:13]
	s_lshl_b32 s30, s26, 5
	s_ashr_i32 s31, s30, 31
	s_lshl_b64 s[28:29], s[30:31], 4
	v_mov_b32_e32 v8, s29
	v_add_co_u32_e32 v17, vcc, s28, v6
	v_addc_co_u32_e32 v18, vcc, v7, v8, vcc
	v_add_co_u32_e32 v8, vcc, 0x200, v17
	v_addc_co_u32_e32 v9, vcc, 0, v18, vcc
	s_and_b64 vcc, exec, s[34:35]
	s_barrier
	s_cbranch_vccz .LBB189_62
; %bb.45:
	v_or_b32_e32 v6, 32, v4
	v_lshlrev_b32_e32 v7, 4, v6
	v_sub_co_u32_e32 v7, vcc, v8, v7
	s_ashr_i32 s17, s16, 31
	v_subbrev_co_u32_e32 v19, vcc, 0, v9, vcc
	s_lshl_b64 s[36:37], s[16:17], 4
	v_mov_b32_e32 v20, s37
	v_add_co_u32_e32 v7, vcc, s36, v7
	v_addc_co_u32_e32 v19, vcc, v19, v20, vcc
	v_add_co_u32_e32 v20, vcc, -16, v7
	v_addc_co_u32_e32 v7, vcc, -1, v19, vcc
	v_cmp_gt_i32_e64 s[12:13], s16, v6
	s_sub_i32 s17, s16, 32
	v_cndmask_b32_e64 v7, v7, v9, s[12:13]
	v_cndmask_b32_e64 v6, v20, v8, s[12:13]
	v_cmp_le_i32_e32 vcc, s17, v5
	v_add_lshl_u32 v19, v10, v4, 4
	s_and_saveexec_b64 s[38:39], vcc
	s_xor_b64 s[38:39], exec, s[38:39]
	s_cbranch_execz .LBB189_47
; %bb.46:
	v_mov_b32_e32 v20, 0
	v_mov_b32_e32 v21, v20
	;; [unrolled: 1-line block ×4, first 2 shown]
	ds_write_b128 v19, v[20:23]
.LBB189_47:
	s_andn2_saveexec_b64 s[38:39], s[38:39]
	s_cbranch_execz .LBB189_49
; %bb.48:
	flat_load_dwordx4 v[20:23], v[6:7]
	s_waitcnt vmcnt(0) lgkmcnt(0)
	ds_write2_b64 v19, v[20:21], v[22:23] offset1:1
.LBB189_49:
	s_or_b64 exec, exec, s[38:39]
	v_add_u32_e32 v20, 8, v5
	v_cmp_le_i32_e32 vcc, s17, v20
	s_and_saveexec_b64 s[38:39], vcc
	s_xor_b64 s[38:39], exec, s[38:39]
	s_cbranch_execz .LBB189_51
; %bb.50:
	v_mul_u32_u24_e32 v20, 33, v20
	v_add_lshl_u32 v25, v20, v4, 4
	v_mov_b32_e32 v20, 0
	v_mov_b32_e32 v21, v20
	;; [unrolled: 1-line block ×4, first 2 shown]
	ds_write_b128 v25, v[20:23]
.LBB189_51:
	s_andn2_saveexec_b64 s[38:39], s[38:39]
	s_cbranch_execz .LBB189_53
; %bb.52:
	s_lshl_b32 s42, s26, 3
	s_ashr_i32 s43, s42, 31
	s_lshl_b64 s[42:43], s[42:43], 4
	v_mov_b32_e32 v21, s43
	v_add_co_u32_e32 v20, vcc, s42, v6
	v_addc_co_u32_e32 v21, vcc, v7, v21, vcc
	flat_load_dwordx4 v[20:23], v[20:21]
	v_add_u32_e32 v25, 0x1080, v19
	s_waitcnt vmcnt(0) lgkmcnt(0)
	ds_write2_b64 v25, v[20:21], v[22:23] offset1:1
.LBB189_53:
	s_or_b64 exec, exec, s[38:39]
	v_add_u32_e32 v20, 16, v5
	v_cmp_le_i32_e32 vcc, s17, v20
	s_and_saveexec_b64 s[38:39], vcc
	s_xor_b64 s[38:39], exec, s[38:39]
	s_cbranch_execz .LBB189_55
; %bb.54:
	v_mul_u32_u24_e32 v20, 33, v20
	v_add_lshl_u32 v25, v20, v4, 4
	v_mov_b32_e32 v20, 0
	v_mov_b32_e32 v21, v20
	;; [unrolled: 1-line block ×4, first 2 shown]
	ds_write_b128 v25, v[20:23]
.LBB189_55:
	s_andn2_saveexec_b64 s[38:39], s[38:39]
	s_cbranch_execz .LBB189_57
; %bb.56:
	s_lshl_b32 s42, s26, 4
	s_ashr_i32 s43, s42, 31
	s_lshl_b64 s[42:43], s[42:43], 4
	v_mov_b32_e32 v21, s43
	v_add_co_u32_e32 v20, vcc, s42, v6
	v_addc_co_u32_e32 v21, vcc, v7, v21, vcc
	flat_load_dwordx4 v[20:23], v[20:21]
	v_add_u32_e32 v25, 0x2100, v19
	s_waitcnt vmcnt(0) lgkmcnt(0)
	ds_write2_b64 v25, v[20:21], v[22:23] offset1:1
.LBB189_57:
	s_or_b64 exec, exec, s[38:39]
	v_add_u32_e32 v20, 24, v5
	v_cmp_le_i32_e32 vcc, s17, v20
	s_and_saveexec_b64 s[38:39], vcc
	s_xor_b64 s[38:39], exec, s[38:39]
	s_cbranch_execz .LBB189_59
; %bb.58:
	v_mov_b32_e32 v20, 0
	v_mov_b32_e32 v21, v20
	;; [unrolled: 1-line block ×4, first 2 shown]
	ds_write_b128 v19, v[20:23] offset:12672
                                        ; implicit-def: $vgpr19
.LBB189_59:
	s_andn2_saveexec_b64 s[38:39], s[38:39]
	s_cbranch_execz .LBB189_61
; %bb.60:
	s_mul_i32 s42, s26, 24
	s_ashr_i32 s43, s42, 31
	s_lshl_b64 s[42:43], s[42:43], 4
	v_mov_b32_e32 v21, s43
	v_add_co_u32_e32 v20, vcc, s42, v6
	v_addc_co_u32_e32 v21, vcc, v7, v21, vcc
	flat_load_dwordx4 v[20:23], v[20:21]
	v_add_u32_e32 v19, 0x3180, v19
	s_waitcnt vmcnt(0) lgkmcnt(0)
	ds_write2_b64 v19, v[20:21], v[22:23] offset1:1
.LBB189_61:
	s_or_b64 exec, exec, s[38:39]
	v_add_co_u32_e32 v6, vcc, v6, v11
	v_addc_co_u32_e32 v7, vcc, 0, v7, vcc
	v_mov_b32_e32 v19, s37
	v_subrev_co_u32_e32 v6, vcc, s36, v6
	v_subb_co_u32_e32 v7, vcc, v7, v19, vcc
	v_add_co_u32_e32 v6, vcc, 0x210, v6
	v_addc_co_u32_e32 v7, vcc, 0, v7, vcc
	v_cndmask_b32_e64 v7, v7, v9, s[12:13]
	v_cndmask_b32_e64 v6, v6, v8, s[12:13]
	s_branch .LBB189_64
.LBB189_62:
                                        ; implicit-def: $vgpr6_vgpr7
	s_cbranch_execz .LBB189_64
; %bb.63:
	flat_load_dwordx4 v[20:23], v[8:9]
	s_lshl_b32 s12, s26, 3
	s_ashr_i32 s13, s12, 31
	s_lshl_b64 s[12:13], s[12:13], 4
	v_add_lshl_u32 v25, v10, v4, 4
	v_mov_b32_e32 v7, s13
	v_add_co_u32_e32 v6, vcc, s12, v17
	v_addc_co_u32_e32 v7, vcc, v18, v7, vcc
	s_ashr_i32 s27, s26, 31
	s_lshl_b64 s[12:13], s[26:27], 7
	v_add_u32_e32 v17, 0x1080, v25
	s_waitcnt vmcnt(0) lgkmcnt(0)
	ds_write2_b64 v25, v[20:21], v[22:23] offset1:1
	flat_load_dwordx4 v[18:21], v[6:7] offset:512
	v_mov_b32_e32 v22, s13
	v_add_co_u32_e32 v6, vcc, s12, v6
	v_addc_co_u32_e32 v7, vcc, v7, v22, vcc
	s_waitcnt vmcnt(0) lgkmcnt(0)
	ds_write2_b64 v17, v[18:19], v[20:21] offset1:1
	flat_load_dwordx4 v[18:21], v[6:7] offset:512
	v_add_u32_e32 v17, 0x2100, v25
	v_add_co_u32_e32 v6, vcc, s12, v6
	v_addc_co_u32_e32 v7, vcc, v7, v22, vcc
	s_waitcnt vmcnt(0) lgkmcnt(0)
	ds_write2_b64 v17, v[18:19], v[20:21] offset1:1
	flat_load_dwordx4 v[18:21], v[6:7] offset:512
	v_add_u32_e32 v6, 0x3180, v25
	s_waitcnt vmcnt(0) lgkmcnt(0)
	ds_write2_b64 v6, v[18:19], v[20:21] offset1:1
	v_pk_mov_b32 v[6:7], v[8:9], v[8:9] op_sel:[0,1]
.LBB189_64:
	s_waitcnt lgkmcnt(0)
	s_barrier
	s_and_saveexec_b64 s[12:13], s[4:5]
	s_cbranch_execnz .LBB189_89
; %bb.65:
	s_or_b64 exec, exec, s[12:13]
	s_and_saveexec_b64 s[4:5], s[14:15]
	s_cbranch_execnz .LBB189_90
.LBB189_66:
	s_or_b64 exec, exec, s[4:5]
	s_and_saveexec_b64 s[4:5], s[8:9]
	s_cbranch_execnz .LBB189_91
.LBB189_67:
	s_or_b64 exec, exec, s[4:5]
	v_add_u32_e32 v15, 0x4700, v15
	s_and_saveexec_b64 s[4:5], s[10:11]
	s_cbranch_execz .LBB189_69
.LBB189_68:
	ds_read_b128 v[18:21], v13
	s_waitcnt lgkmcnt(0)
	ds_write_b128 v16, v[18:21] offset:48
.LBB189_69:
	s_or_b64 exec, exec, s[4:5]
	s_waitcnt lgkmcnt(0)
	s_barrier
	ds_read_b128 v[16:19], v15 offset:512
	ds_read_b128 v[20:23], v14
	ds_read_b128 v[26:29], v15 offset:528
	ds_read_b128 v[30:33], v15 offset:544
	;; [unrolled: 1-line block ×3, first 2 shown]
	ds_read_b128 v[50:53], v24
	v_cmp_eq_u32_e64 s[4:5], 1, v5
	s_waitcnt lgkmcnt(4)
	v_mul_f64 v[8:9], v[18:19], v[22:23]
	v_fma_f64 v[8:9], v[16:17], v[20:21], -v[8:9]
	v_mul_f64 v[16:17], v[16:17], v[22:23]
	v_fmac_f64_e32 v[16:17], v[18:19], v[20:21]
	v_add_f64 v[20:21], v[16:17], 0
	s_waitcnt lgkmcnt(0)
	v_mul_f64 v[16:17], v[28:29], v[52:53]
	v_fma_f64 v[22:23], v[26:27], v[50:51], -v[16:17]
	v_mul_f64 v[26:27], v[26:27], v[52:53]
	v_add_f64 v[8:9], v[8:9], 0
	ds_read_b128 v[16:19], v24 offset:528
	v_fmac_f64_e32 v[26:27], v[28:29], v[50:51]
	v_add_f64 v[8:9], v[8:9], v[22:23]
	v_add_f64 v[26:27], v[20:21], v[26:27]
	ds_read_b128 v[20:23], v13
	s_waitcnt lgkmcnt(1)
	v_mul_f64 v[28:29], v[32:33], v[18:19]
	v_mul_f64 v[18:19], v[30:31], v[18:19]
	v_fma_f64 v[28:29], v[30:31], v[16:17], -v[28:29]
	v_fmac_f64_e32 v[18:19], v[32:33], v[16:17]
	s_waitcnt lgkmcnt(0)
	v_mul_f64 v[16:17], v[48:49], v[22:23]
	v_mul_f64 v[22:23], v[46:47], v[22:23]
	v_add_f64 v[8:9], v[8:9], v[28:29]
	v_add_f64 v[18:19], v[26:27], v[18:19]
	v_fma_f64 v[16:17], v[46:47], v[20:21], -v[16:17]
	v_fmac_f64_e32 v[22:23], v[48:49], v[20:21]
	v_add_f64 v[16:17], v[8:9], v[16:17]
	v_add_f64 v[18:19], v[18:19], v[22:23]
	s_barrier
	ds_write_b128 v44, v[16:19]
	s_waitcnt lgkmcnt(0)
	s_barrier
	s_and_saveexec_b64 s[8:9], s[4:5]
	s_cbranch_execz .LBB189_71
; %bb.70:
	ds_read_b128 v[0:3], v43
	ds_read_b128 v[16:19], v43 offset:16
	ds_read_b128 v[20:23], v43 offset:32
	;; [unrolled: 1-line block ×3, first 2 shown]
	s_waitcnt lgkmcnt(2)
	v_add_f64 v[0:1], v[16:17], v[0:1]
	v_add_f64 v[8:9], v[18:19], v[2:3]
	s_waitcnt lgkmcnt(1)
	v_add_f64 v[16:17], v[0:1], v[20:21]
	ds_read_b128 v[0:3], v43 offset:64
	v_add_f64 v[8:9], v[8:9], v[22:23]
	s_waitcnt lgkmcnt(1)
	v_add_f64 v[20:21], v[16:17], v[26:27]
	ds_read_b128 v[16:19], v43 offset:80
	;; [unrolled: 4-line block ×3, first 2 shown]
	v_add_f64 v[8:9], v[8:9], v[2:3]
	ds_read_b128 v[0:3], v43 offset:112
	s_waitcnt lgkmcnt(2)
	v_add_f64 v[16:17], v[26:27], v[16:17]
	v_add_f64 v[8:9], v[8:9], v[18:19]
	s_waitcnt lgkmcnt(1)
	v_add_f64 v[16:17], v[16:17], v[20:21]
	v_add_f64 v[8:9], v[8:9], v[22:23]
	;; [unrolled: 3-line block ×3, first 2 shown]
.LBB189_71:
	s_or_b64 exec, exec, s[8:9]
	v_add_co_u32_e32 v6, vcc, 0xfffffe00, v6
	v_addc_co_u32_e32 v7, vcc, -1, v7, vcc
	s_and_b64 vcc, exec, s[34:35]
	s_barrier
	s_cbranch_vccz .LBB189_92
; %bb.72:
	v_sub_co_u32_e32 v8, vcc, v6, v11
	s_ashr_i32 s17, s16, 31
	v_subbrev_co_u32_e32 v9, vcc, 0, v7, vcc
	s_lshl_b64 s[10:11], s[16:17], 4
	v_mov_b32_e32 v16, s11
	v_add_co_u32_e32 v8, vcc, s10, v8
	v_addc_co_u32_e32 v9, vcc, v9, v16, vcc
	v_add_co_u32_e32 v8, vcc, -16, v8
	v_addc_co_u32_e32 v9, vcc, -1, v9, vcc
	v_cmp_gt_i32_e32 vcc, s16, v4
	s_sub_i32 s14, s16, 32
	v_cndmask_b32_e32 v9, v9, v7, vcc
	v_cndmask_b32_e32 v8, v8, v6, vcc
	v_cmp_le_i32_e64 s[8:9], s14, v5
	v_add_lshl_u32 v19, v10, v4, 4
	s_and_saveexec_b64 s[12:13], s[8:9]
	s_xor_b64 s[8:9], exec, s[12:13]
	s_cbranch_execz .LBB189_74
; %bb.73:
	v_mov_b32_e32 v20, 0
	v_mov_b32_e32 v21, v20
	;; [unrolled: 1-line block ×4, first 2 shown]
	ds_write_b128 v19, v[20:23]
.LBB189_74:
	s_andn2_saveexec_b64 s[8:9], s[8:9]
	s_cbranch_execz .LBB189_76
; %bb.75:
	flat_load_dwordx4 v[20:23], v[8:9]
	s_waitcnt vmcnt(0) lgkmcnt(0)
	ds_write2_b64 v19, v[20:21], v[22:23] offset1:1
.LBB189_76:
	s_or_b64 exec, exec, s[8:9]
	v_add_u32_e32 v16, 8, v5
	v_cmp_le_i32_e64 s[8:9], s14, v16
	s_and_saveexec_b64 s[12:13], s[8:9]
	s_xor_b64 s[8:9], exec, s[12:13]
	s_cbranch_execz .LBB189_78
; %bb.77:
	v_mul_u32_u24_e32 v17, 33, v16
	v_mov_b32_e32 v20, 0
	v_add_lshl_u32 v17, v17, v4, 4
	v_mov_b32_e32 v21, v20
	v_mov_b32_e32 v22, v20
	;; [unrolled: 1-line block ×3, first 2 shown]
	ds_write_b128 v17, v[20:23]
.LBB189_78:
	s_andn2_saveexec_b64 s[12:13], s[8:9]
	s_cbranch_execz .LBB189_80
; %bb.79:
	s_lshl_b32 s8, s26, 3
	s_ashr_i32 s9, s8, 31
	s_lshl_b64 s[8:9], s[8:9], 4
	v_mov_b32_e32 v17, s9
	v_add_co_u32_e64 v20, s[8:9], s8, v8
	v_addc_co_u32_e64 v21, s[8:9], v9, v17, s[8:9]
	flat_load_dwordx4 v[20:23], v[20:21]
	v_add_u32_e32 v17, 0x1080, v19
	s_waitcnt vmcnt(0) lgkmcnt(0)
	ds_write2_b64 v17, v[20:21], v[22:23] offset1:1
.LBB189_80:
	s_or_b64 exec, exec, s[12:13]
	v_add_u32_e32 v17, 16, v5
	v_cmp_le_i32_e64 s[8:9], s14, v17
	s_and_saveexec_b64 s[12:13], s[8:9]
	s_xor_b64 s[8:9], exec, s[12:13]
	s_cbranch_execz .LBB189_82
; %bb.81:
	v_mul_u32_u24_e32 v18, 33, v17
	v_mov_b32_e32 v20, 0
	v_add_lshl_u32 v18, v18, v4, 4
	v_mov_b32_e32 v21, v20
	v_mov_b32_e32 v22, v20
	;; [unrolled: 1-line block ×3, first 2 shown]
	ds_write_b128 v18, v[20:23]
.LBB189_82:
	s_andn2_saveexec_b64 s[12:13], s[8:9]
	s_cbranch_execz .LBB189_84
; %bb.83:
	s_lshl_b32 s8, s26, 4
	s_ashr_i32 s9, s8, 31
	s_lshl_b64 s[8:9], s[8:9], 4
	v_mov_b32_e32 v18, s9
	v_add_co_u32_e64 v20, s[8:9], s8, v8
	v_addc_co_u32_e64 v21, s[8:9], v9, v18, s[8:9]
	flat_load_dwordx4 v[20:23], v[20:21]
	v_add_u32_e32 v18, 0x2100, v19
	s_waitcnt vmcnt(0) lgkmcnt(0)
	ds_write2_b64 v18, v[20:21], v[22:23] offset1:1
.LBB189_84:
	s_or_b64 exec, exec, s[12:13]
	v_add_u32_e32 v18, 24, v5
	v_cmp_le_i32_e64 s[8:9], s14, v18
	s_and_saveexec_b64 s[12:13], s[8:9]
	s_xor_b64 s[8:9], exec, s[12:13]
	s_cbranch_execz .LBB189_86
; %bb.85:
	v_mov_b32_e32 v20, 0
	v_mov_b32_e32 v21, v20
	;; [unrolled: 1-line block ×4, first 2 shown]
	ds_write_b128 v19, v[20:23] offset:12672
                                        ; implicit-def: $vgpr19
.LBB189_86:
	s_andn2_saveexec_b64 s[12:13], s[8:9]
	s_cbranch_execz .LBB189_88
; %bb.87:
	s_mul_i32 s8, s26, 24
	s_ashr_i32 s9, s8, 31
	s_lshl_b64 s[8:9], s[8:9], 4
	v_mov_b32_e32 v21, s9
	v_add_co_u32_e64 v20, s[8:9], s8, v8
	v_addc_co_u32_e64 v21, s[8:9], v9, v21, s[8:9]
	flat_load_dwordx4 v[20:23], v[20:21]
	v_add_u32_e32 v19, 0x3180, v19
	s_waitcnt vmcnt(0) lgkmcnt(0)
	ds_write2_b64 v19, v[20:21], v[22:23] offset1:1
.LBB189_88:
	s_or_b64 exec, exec, s[12:13]
	v_add_co_u32_e64 v8, s[8:9], v8, v11
	v_addc_co_u32_e64 v9, s[8:9], 0, v9, s[8:9]
	v_mov_b32_e32 v11, s11
	v_subrev_co_u32_e64 v8, s[8:9], s10, v8
	v_subb_co_u32_e64 v9, s[8:9], v9, v11, s[8:9]
	v_add_co_u32_e64 v8, s[8:9], 16, v8
	v_addc_co_u32_e64 v9, s[8:9], 0, v9, s[8:9]
	v_cndmask_b32_e32 v41, v9, v7, vcc
	v_cndmask_b32_e32 v40, v8, v6, vcc
	s_branch .LBB189_94
.LBB189_89:
	ds_read_b128 v[18:21], v14
	s_waitcnt lgkmcnt(0)
	ds_write_b128 v16, v[18:21]
	s_or_b64 exec, exec, s[12:13]
	s_and_saveexec_b64 s[4:5], s[14:15]
	s_cbranch_execz .LBB189_66
.LBB189_90:
	ds_read_b128 v[18:21], v24
	s_waitcnt lgkmcnt(0)
	ds_write_b128 v16, v[18:21] offset:16
	s_or_b64 exec, exec, s[4:5]
	s_and_saveexec_b64 s[4:5], s[8:9]
	s_cbranch_execz .LBB189_67
.LBB189_91:
	v_add_u32_e32 v8, 0x210, v24
	ds_read_b128 v[18:21], v8
	s_waitcnt lgkmcnt(0)
	ds_write_b128 v16, v[18:21] offset:32
	s_or_b64 exec, exec, s[4:5]
	v_add_u32_e32 v15, 0x4700, v15
	s_and_saveexec_b64 s[4:5], s[10:11]
	s_cbranch_execnz .LBB189_68
	s_branch .LBB189_69
.LBB189_92:
                                        ; implicit-def: $vgpr40_vgpr41
                                        ; implicit-def: $vgpr16
                                        ; implicit-def: $vgpr17
                                        ; implicit-def: $vgpr18
	s_cbranch_execz .LBB189_94
; %bb.93:
	flat_load_dwordx4 v[16:19], v[6:7]
	s_lshl_b32 s8, s26, 3
	s_ashr_i32 s9, s8, 31
	s_lshl_b64 s[8:9], s[8:9], 4
	v_add_lshl_u32 v4, v10, v4, 4
	v_mov_b32_e32 v8, s9
	v_add_co_u32_e32 v20, vcc, s8, v6
	v_addc_co_u32_e32 v21, vcc, v7, v8, vcc
	s_ashr_i32 s27, s26, 31
	s_lshl_b64 s[8:9], s[26:27], 7
	v_pk_mov_b32 v[40:41], v[6:7], v[6:7] op_sel:[0,1]
	s_waitcnt vmcnt(0) lgkmcnt(0)
	ds_write2_b64 v4, v[16:17], v[18:19] offset1:1
	flat_load_dwordx4 v[8:11], v[20:21]
	v_add_u32_e32 v18, 0x1080, v4
	v_mov_b32_e32 v19, s9
	v_add_co_u32_e32 v16, vcc, s8, v20
	v_addc_co_u32_e32 v17, vcc, v21, v19, vcc
	s_waitcnt vmcnt(0) lgkmcnt(0)
	ds_write2_b64 v18, v[8:9], v[10:11] offset1:1
	flat_load_dwordx4 v[8:11], v[16:17]
	v_add_u32_e32 v18, 0x2100, v4
	v_add_co_u32_e32 v16, vcc, s8, v16
	v_addc_co_u32_e32 v17, vcc, v17, v19, vcc
	v_add_u32_e32 v4, 0x3180, v4
	s_waitcnt vmcnt(0) lgkmcnt(0)
	ds_write2_b64 v18, v[8:9], v[10:11] offset1:1
	flat_load_dwordx4 v[8:11], v[16:17]
	v_add_u32_e32 v16, 8, v5
	v_add_u32_e32 v17, 16, v5
	;; [unrolled: 1-line block ×3, first 2 shown]
	s_waitcnt vmcnt(0) lgkmcnt(0)
	ds_write2_b64 v4, v[8:9], v[10:11] offset1:1
.LBB189_94:
	v_lshlrev_b32_e32 v4, 4, v5
	s_waitcnt lgkmcnt(0)
	s_barrier
	ds_read_b128 v[46:49], v44
	ds_read_b128 v[50:53], v4 offset:18176
	v_add_lshl_u32 v4, v16, v12, 4
	v_lshlrev_b32_e32 v10, 4, v16
	ds_read_b128 v[54:57], v4
	ds_read_b128 v[4:7], v24 offset:528
	ds_read_b128 v[58:61], v10 offset:18176
	s_waitcnt lgkmcnt(3)
	v_mul_f64 v[8:9], v[48:49], v[52:53]
	v_add_lshl_u32 v10, v17, v12, 4
	v_lshlrev_b32_e32 v16, 4, v17
	v_fma_f64 v[8:9], v[46:47], v[50:51], -v[8:9]
	ds_read_b128 v[62:65], v10
	ds_read_b128 v[66:69], v16 offset:18176
	s_waitcnt lgkmcnt(2)
	v_mul_f64 v[10:11], v[56:57], v[60:61]
	v_add_f64 v[8:9], v[8:9], 0
	v_fma_f64 v[10:11], v[54:55], v[58:59], -v[10:11]
	v_add_f64 v[8:9], v[8:9], v[10:11]
	v_add_lshl_u32 v10, v18, v12, 4
	v_lshlrev_b32_e32 v12, 4, v18
	v_mul_f64 v[74:75], v[46:47], v[52:53]
	v_mul_f64 v[60:61], v[54:55], v[60:61]
	ds_read_b128 v[52:55], v10
	ds_read_b128 v[70:73], v12 offset:18176
	s_waitcnt lgkmcnt(2)
	v_mul_f64 v[10:11], v[64:65], v[68:69]
	v_fma_f64 v[10:11], v[62:63], v[66:67], -v[10:11]
	v_add_f64 v[16:17], v[8:9], v[10:11]
	ds_read_b128 v[8:11], v13
	s_waitcnt lgkmcnt(1)
	v_mul_f64 v[12:13], v[54:55], v[72:73]
	v_fma_f64 v[12:13], v[52:53], v[70:71], -v[12:13]
	v_add_f64 v[46:47], v[16:17], v[12:13]
	ds_read_b128 v[20:23], v15 offset:528
	ds_read_b128 v[16:19], v15 offset:544
	;; [unrolled: 1-line block ×3, first 2 shown]
	ds_read_b128 v[32:35], v14
	ds_read_b128 v[12:15], v15 offset:560
	ds_read_b128 v[24:27], v24
	v_fmac_f64_e32 v[74:75], v[48:49], v[50:51]
	v_mul_f64 v[62:63], v[62:63], v[68:69]
	v_add_f64 v[48:49], v[74:75], 0
	v_fmac_f64_e32 v[60:61], v[56:57], v[58:59]
	v_mul_f64 v[52:53], v[52:53], v[72:73]
	v_add_f64 v[48:49], v[48:49], v[60:61]
	v_fmac_f64_e32 v[62:63], v[64:65], v[66:67]
	v_add_f64 v[48:49], v[48:49], v[62:63]
	v_fmac_f64_e32 v[52:53], v[54:55], v[70:71]
	v_add_f64 v[48:49], v[48:49], v[52:53]
	s_waitcnt lgkmcnt(0)
	s_barrier
	ds_write_b128 v44, v[46:49]
	s_waitcnt lgkmcnt(0)
	s_barrier
	s_and_saveexec_b64 s[8:9], s[4:5]
	s_cbranch_execz .LBB189_96
; %bb.95:
	ds_read_b128 v[46:49], v43
	ds_read_b128 v[50:53], v43 offset:16
	ds_read_b128 v[54:57], v43 offset:32
	;; [unrolled: 1-line block ×3, first 2 shown]
	s_waitcnt lgkmcnt(3)
	v_add_f64 v[0:1], v[0:1], v[46:47]
	v_add_f64 v[2:3], v[2:3], v[48:49]
	s_waitcnt lgkmcnt(2)
	v_add_f64 v[0:1], v[0:1], v[50:51]
	v_add_f64 v[46:47], v[2:3], v[52:53]
	s_waitcnt lgkmcnt(1)
	v_add_f64 v[48:49], v[0:1], v[54:55]
	ds_read_b128 v[0:3], v43 offset:64
	v_add_f64 v[46:47], v[46:47], v[56:57]
	s_waitcnt lgkmcnt(1)
	v_add_f64 v[50:51], v[48:49], v[58:59]
	v_add_f64 v[54:55], v[46:47], v[60:61]
	ds_read_b128 v[46:49], v43 offset:80
	s_waitcnt lgkmcnt(1)
	v_add_f64 v[56:57], v[50:51], v[0:1]
	ds_read_b128 v[50:53], v43 offset:96
	v_add_f64 v[54:55], v[54:55], v[2:3]
	ds_read_b128 v[0:3], v43 offset:112
	s_waitcnt lgkmcnt(2)
	v_add_f64 v[46:47], v[56:57], v[46:47]
	v_add_f64 v[48:49], v[54:55], v[48:49]
	s_waitcnt lgkmcnt(1)
	v_add_f64 v[46:47], v[46:47], v[50:51]
	v_add_f64 v[48:49], v[48:49], v[52:53]
	;; [unrolled: 3-line block ×3, first 2 shown]
.LBB189_96:
	s_or_b64 exec, exec, s[8:9]
	v_mul_f64 v[46:47], v[30:31], v[34:35]
	v_fma_f64 v[46:47], v[28:29], v[32:33], -v[46:47]
	v_mul_f64 v[28:29], v[28:29], v[34:35]
	v_fmac_f64_e32 v[28:29], v[30:31], v[32:33]
	v_mul_f64 v[32:33], v[22:23], v[26:27]
	v_fma_f64 v[32:33], v[20:21], v[24:25], -v[32:33]
	v_mul_f64 v[20:21], v[20:21], v[26:27]
	v_add_f64 v[30:31], v[46:47], 0
	v_add_f64 v[28:29], v[28:29], 0
	v_fmac_f64_e32 v[20:21], v[22:23], v[24:25]
	v_mul_f64 v[24:25], v[18:19], v[6:7]
	v_mul_f64 v[6:7], v[16:17], v[6:7]
	v_add_f64 v[22:23], v[30:31], v[32:33]
	v_add_f64 v[20:21], v[28:29], v[20:21]
	v_fma_f64 v[24:25], v[16:17], v[4:5], -v[24:25]
	v_fmac_f64_e32 v[6:7], v[18:19], v[4:5]
	v_mul_f64 v[16:17], v[14:15], v[10:11]
	v_mul_f64 v[10:11], v[12:13], v[10:11]
	v_add_f64 v[4:5], v[22:23], v[24:25]
	v_add_f64 v[6:7], v[20:21], v[6:7]
	v_fma_f64 v[16:17], v[12:13], v[8:9], -v[16:17]
	v_fmac_f64_e32 v[10:11], v[14:15], v[8:9]
	v_add_f64 v[4:5], v[4:5], v[16:17]
	v_add_f64 v[6:7], v[6:7], v[10:11]
	s_barrier
	ds_write_b128 v44, v[4:7]
	s_waitcnt lgkmcnt(0)
	s_barrier
	s_and_saveexec_b64 s[4:5], s[2:3]
	s_cbranch_execz .LBB189_98
; %bb.97:
	ds_read_b128 v[4:7], v43
	ds_read_b128 v[8:11], v43 offset:16
	ds_read_b128 v[12:15], v43 offset:32
	;; [unrolled: 1-line block ×3, first 2 shown]
	s_waitcnt lgkmcnt(3)
	v_add_f64 v[0:1], v[0:1], v[4:5]
	v_add_f64 v[2:3], v[2:3], v[6:7]
	s_waitcnt lgkmcnt(2)
	v_add_f64 v[0:1], v[0:1], v[8:9]
	v_add_f64 v[4:5], v[2:3], v[10:11]
	s_waitcnt lgkmcnt(1)
	v_add_f64 v[6:7], v[0:1], v[12:13]
	ds_read_b128 v[0:3], v43 offset:64
	v_add_f64 v[4:5], v[4:5], v[14:15]
	s_waitcnt lgkmcnt(1)
	v_add_f64 v[8:9], v[6:7], v[16:17]
	v_add_f64 v[12:13], v[4:5], v[18:19]
	ds_read_b128 v[4:7], v43 offset:80
	s_waitcnt lgkmcnt(1)
	v_add_f64 v[14:15], v[8:9], v[0:1]
	ds_read_b128 v[8:11], v43 offset:96
	v_add_f64 v[12:13], v[12:13], v[2:3]
	ds_read_b128 v[0:3], v43 offset:112
	s_waitcnt lgkmcnt(2)
	v_add_f64 v[4:5], v[14:15], v[4:5]
	v_add_f64 v[6:7], v[12:13], v[6:7]
	s_waitcnt lgkmcnt(1)
	v_add_f64 v[4:5], v[4:5], v[8:9]
	v_add_f64 v[6:7], v[6:7], v[10:11]
	;; [unrolled: 3-line block ×3, first 2 shown]
.LBB189_98:
	s_or_b64 exec, exec, s[4:5]
	s_mul_hi_u32 s2, s40, s20
	s_mul_i32 s41, s41, s20
	s_add_i32 s2, s2, s41
	s_mul_i32 s4, s40, s20
	s_mul_i32 s2, s2, s7
	s_mul_hi_u32 s3, s4, s7
	s_add_i32 s3, s3, s2
	s_mul_i32 s2, s4, s7
	s_lshl_b64 s[2:3], s[2:3], 4
	s_add_u32 s4, s22, s2
	s_addc_u32 s5, s23, s3
	s_mul_hi_i32 s3, s40, s6
	s_mul_i32 s2, s40, s6
	s_lshl_b64 s[2:3], s[2:3], 4
	s_add_u32 s17, s4, s2
	s_addc_u32 s25, s5, s3
	s_add_i32 s10, s6, 1
	s_cmp_ge_u32 s10, s7
	v_lshlrev_b32_e32 v211, 4, v168
	s_barrier
	s_cbranch_scc1 .LBB189_156
; %bb.99:
	v_and_b32_e32 v8, 48, v168
	s_mul_i32 s2, s24, s21
	v_and_b32_e32 v6, 15, v168
	v_lshlrev_b32_e32 v9, 4, v8
	s_movk_i32 s4, 0x430
	s_ashr_i32 s3, s2, 31
	v_lshrrev_b32_e32 v7, 4, v42
	v_mad_u32_u24 v217, v6, s4, v9
	v_or_b32_e32 v9, 0xf0, v211
	s_lshl_b64 s[2:3], s[2:3], 4
	v_mad_u32_u24 v218, v6, s4, v9
	v_lshlrev_b32_e32 v9, 6, v7
	v_lshlrev_b32_e32 v212, 2, v209
	v_mov_b32_e32 v4, s3
	v_subrev_co_u32_e32 v213, vcc, s2, v36
	s_lshl_b32 s35, s21, 6
	s_lshl_b32 s8, s26, 4
	v_mad_u32_u24 v219, v6, s4, v9
	s_ashr_i32 s27, s26, 31
	s_lshl_b32 s36, s26, 1
	s_movk_i32 s4, 0x10c0
	s_mul_i32 s14, s26, 3
	s_mul_i32 s21, s21, s10
	v_subb_co_u32_e32 v214, vcc, v37, v4, vcc
	v_mad_u64_u32 v[4:5], s[2:3], v212, s26, v[168:169]
	s_add_i32 s34, s7, -2
	s_ashr_i32 s9, s8, 31
	s_ashr_i32 s37, s36, 31
	v_mad_u32_u24 v224, v209, s4, v211
	s_ashr_i32 s15, s14, 31
	s_lshl_b64 s[4:5], s[26:27], 4
	s_lshl_b32 s10, s21, 6
	s_lshl_b64 s[22:23], s[26:27], 5
	v_ashrrev_i32_e32 v5, 31, v4
	v_mul_i32_i24_e32 v10, 0xffffffd0, v7
	v_add_u32_e32 v7, s24, v8
	v_sub_co_u32_e32 v237, vcc, 0, v38
	s_add_u32 s11, s22, s28
	v_mov_b32_e32 v9, 0x4300
	v_add3_u32 v170, v7, v6, 64
	v_subb_co_u32_e32 v238, vcc, 0, v39, vcc
	s_addc_u32 s24, s23, s29
	v_lshlrev_b64 v[6:7], 4, v[4:5]
	v_lshl_add_u32 v223, v209, 6, v9
	v_mov_b32_e32 v8, s24
	v_add_co_u32_e32 v9, vcc, s11, v6
	v_addc_co_u32_e32 v8, vcc, v8, v7, vcc
	v_add_co_u32_e32 v172, vcc, v40, v9
	v_addc_co_u32_e32 v167, vcc, v41, v8, vcc
	v_mov_b32_e32 v8, s31
	v_add_co_u32_e32 v4, vcc, s30, v4
	v_addc_co_u32_e32 v5, vcc, v8, v5, vcc
	v_lshlrev_b64 v[4:5], 4, v[4:5]
	v_mad_i64_i32 v[8:9], s[20:21], s8, 48, v[4:5]
	s_lshl_b64 s[14:15], s[14:15], 4
	v_mov_b32_e32 v11, s15
	v_add_co_u32_e32 v12, vcc, s14, v8
	s_lshl_b64 s[12:13], s[8:9], 6
	v_addc_co_u32_e32 v11, vcc, v9, v11, vcc
	v_add_co_u32_e32 v174, vcc, v40, v12
	s_add_u32 s30, s4, s28
	v_addc_co_u32_e32 v169, vcc, v41, v11, vcc
	s_addc_u32 s31, s5, s29
	v_mov_b32_e32 v11, s31
	v_add_co_u32_e32 v12, vcc, s30, v6
	v_addc_co_u32_e32 v11, vcc, v11, v7, vcc
	v_add_co_u32_e32 v176, vcc, v40, v12
	v_addc_co_u32_e32 v173, vcc, v41, v11, vcc
	s_lshl_b64 s[20:21], s[36:37], 4
	v_mov_b32_e32 v11, s21
	v_add_co_u32_e32 v12, vcc, s20, v8
	v_addc_co_u32_e32 v11, vcc, v9, v11, vcc
	v_add_co_u32_e32 v178, vcc, v40, v12
	v_addc_co_u32_e32 v175, vcc, v41, v11, vcc
	v_mov_b32_e32 v11, s29
	v_add_co_u32_e32 v12, vcc, s28, v6
	v_addc_co_u32_e32 v11, vcc, v11, v7, vcc
	v_add_co_u32_e32 v180, vcc, v40, v12
	v_addc_co_u32_e32 v177, vcc, v41, v11, vcc
	s_mul_i32 s38, s26, 0x300
	v_add_co_u32_e32 v182, vcc, v40, v8
	s_add_u32 s26, s28, s20
	v_addc_co_u32_e32 v179, vcc, v41, v9, vcc
	s_addc_u32 s27, s29, s21
	v_mov_b32_e32 v11, s27
	v_add_co_u32_e32 v12, vcc, s26, v6
	v_addc_co_u32_e32 v11, vcc, v11, v7, vcc
	v_add_co_u32_e32 v184, vcc, v40, v12
	v_addc_co_u32_e32 v181, vcc, v41, v11, vcc
	v_mov_b32_e32 v11, s5
	v_add_co_u32_e32 v8, vcc, s4, v8
	v_addc_co_u32_e32 v9, vcc, v9, v11, vcc
	v_add_co_u32_e32 v186, vcc, v40, v8
	s_add_u32 s26, s28, s14
	v_addc_co_u32_e32 v183, vcc, v41, v9, vcc
	s_addc_u32 s27, s29, s15
	v_mov_b32_e32 v8, s27
	v_add_co_u32_e32 v9, vcc, s26, v6
	v_addc_co_u32_e32 v8, vcc, v8, v7, vcc
	s_lshl_b64 s[26:27], s[8:9], 4
	v_add_co_u32_e32 v188, vcc, v40, v9
	s_add_u32 s36, s11, s26
	v_addc_co_u32_e32 v185, vcc, v41, v8, vcc
	s_addc_u32 s37, s24, s27
	v_mov_b32_e32 v8, s37
	v_add_co_u32_e32 v9, vcc, s36, v6
	v_addc_co_u32_e32 v8, vcc, v8, v7, vcc
	s_mul_hi_i32 s39, s8, 48
	v_add_co_u32_e32 v190, vcc, v40, v9
	s_add_u32 s22, s38, s22
	v_addc_co_u32_e32 v187, vcc, v41, v8, vcc
	s_addc_u32 s23, s39, s23
	s_lshl_b64 s[8:9], s[8:9], 5
	v_mov_b32_e32 v8, s23
	v_add_co_u32_e32 v4, vcc, s22, v4
	s_add_u32 s22, s8, s28
	v_addc_co_u32_e32 v5, vcc, v8, v5, vcc
	s_addc_u32 s23, s9, s29
	v_add_co_u32_e32 v192, vcc, v40, v4
	s_add_u32 s36, s22, s14
	v_addc_co_u32_e32 v189, vcc, v41, v5, vcc
	s_addc_u32 s37, s23, s15
	v_mov_b32_e32 v4, s37
	v_add_co_u32_e32 v5, vcc, s36, v6
	v_addc_co_u32_e32 v4, vcc, v4, v7, vcc
	v_add_co_u32_e32 v194, vcc, v40, v5
	s_add_u32 s30, s30, s26
	v_addc_co_u32_e32 v191, vcc, v41, v4, vcc
	s_addc_u32 s31, s31, s27
	v_mov_b32_e32 v4, s31
	v_add_co_u32_e32 v5, vcc, s30, v6
	v_addc_co_u32_e32 v4, vcc, v4, v7, vcc
	;; [unrolled: 7-line block ×4, first 2 shown]
	v_add_co_u32_e32 v200, vcc, v40, v5
	v_addc_co_u32_e32 v197, vcc, v41, v4, vcc
	v_mov_b32_e32 v4, s23
	v_add_co_u32_e32 v5, vcc, s22, v6
	v_addc_co_u32_e32 v4, vcc, v4, v7, vcc
	v_add_co_u32_e32 v202, vcc, v40, v5
	s_add_u32 s20, s26, s20
	v_addc_co_u32_e32 v199, vcc, v41, v4, vcc
	s_addc_u32 s21, s27, s21
	v_mov_b32_e32 v4, s21
	v_add_co_u32_e32 v5, vcc, s20, v6
	v_addc_co_u32_e32 v4, vcc, v4, v7, vcc
	v_add_co_u32_e32 v204, vcc, v40, v5
	s_add_u32 s4, s22, s4
	v_addc_co_u32_e32 v201, vcc, v41, v4, vcc
	s_addc_u32 s5, s23, s5
	;; [unrolled: 7-line block ×4, first 2 shown]
	v_mov_b32_e32 v4, s5
	v_add_co_u32_e32 v5, vcc, s4, v6
	v_addc_co_u32_e32 v4, vcc, v4, v7, vcc
	v_add_co_u32_e32 v210, vcc, v40, v5
	v_add_u32_e32 v215, 0x4300, v211
	v_add_u32_e32 v216, 0x4700, v211
	v_cmp_gt_u32_e64 s[2:3], 64, v42
	v_or_b32_e32 v220, 1, v212
	v_or_b32_e32 v221, 2, v212
	;; [unrolled: 1-line block ×3, first 2 shown]
	v_add_u32_e32 v225, 16, v212
	v_add_u32_e32 v226, 17, v212
	;; [unrolled: 1-line block ×12, first 2 shown]
	v_addc_co_u32_e32 v207, vcc, v41, v4, vcc
	v_add_u32_e32 v239, v219, v10
	v_mov_b32_e32 v4, 0
	s_cmp_eq_u32 s34, s6
	s_cselect_b32 s24, s33, 0
	s_and_saveexec_b64 s[4:5], s[0:1]
	s_cbranch_execz .LBB189_104
.LBB189_100:
	s_cmp_lg_u32 s24, 0
	s_cselect_b64 s[8:9], -1, 0
	v_cmp_le_i32_e32 vcc, s24, v168
	s_and_b64 s[8:9], s[8:9], vcc
	s_and_saveexec_b64 s[14:15], s[8:9]
	s_xor_b64 s[8:9], exec, s[14:15]
	s_cbranch_execz .LBB189_102
; %bb.101:
	v_mov_b32_e32 v5, v4
	v_mov_b32_e32 v6, v4
	;; [unrolled: 1-line block ×3, first 2 shown]
	ds_write_b128 v215, v[4:7]
.LBB189_102:
	s_andn2_saveexec_b64 s[8:9], s[8:9]
	s_cbranch_execz .LBB189_104
; %bb.103:
	s_ashr_i32 s11, s10, 31
	s_lshl_b64 s[8:9], s[10:11], 4
	v_mov_b32_e32 v5, s9
	v_add_co_u32_e32 v6, vcc, s8, v213
	v_addc_co_u32_e32 v7, vcc, v214, v5, vcc
	flat_load_dwordx4 v[6:9], v[6:7]
	s_waitcnt vmcnt(0) lgkmcnt(0)
	ds_write2_b64 v215, v[6:7], v[8:9] offset1:1
.LBB189_104:                            ; =>This Inner Loop Header: Depth=1
	s_or_b64 exec, exec, s[4:5]
	s_cmp_eq_u32 s24, 0
	v_add_co_u32_e32 v18, vcc, v180, v237
	s_cselect_b64 s[14:15], -1, 0
	s_cmp_lg_u32 s24, 0
	v_addc_co_u32_e32 v19, vcc, v177, v238, vcc
	s_cselect_b64 s[8:9], -1, 0
	s_and_b64 vcc, exec, s[8:9]
	s_waitcnt lgkmcnt(0)
	s_barrier
	s_cbranch_vccz .LBB189_112
; %bb.105:                              ;   in Loop: Header=BB189_104 Depth=1
	v_pk_mov_b32 v[10:11], 0, 0
	v_cmp_gt_i32_e32 vcc, s24, v212
	v_pk_mov_b32 v[6:7], v[10:11], v[10:11] op_sel:[0,1]
	v_pk_mov_b32 v[8:9], v[10:11], v[10:11] op_sel:[0,1]
	s_and_saveexec_b64 s[4:5], vcc
	s_cbranch_execz .LBB189_107
; %bb.106:                              ;   in Loop: Header=BB189_104 Depth=1
	flat_load_dwordx4 v[6:9], v[18:19]
.LBB189_107:                            ;   in Loop: Header=BB189_104 Depth=1
	s_or_b64 exec, exec, s[4:5]
	v_cmp_gt_i32_e32 vcc, s24, v220
	v_pk_mov_b32 v[12:13], v[10:11], v[10:11] op_sel:[0,1]
	s_and_saveexec_b64 s[4:5], vcc
	s_cbranch_execz .LBB189_109
; %bb.108:                              ;   in Loop: Header=BB189_104 Depth=1
	v_add_co_u32_e32 v10, vcc, v176, v237
	v_addc_co_u32_e32 v11, vcc, v173, v238, vcc
	flat_load_dwordx4 v[10:13], v[10:11]
.LBB189_109:                            ;   in Loop: Header=BB189_104 Depth=1
	s_or_b64 exec, exec, s[4:5]
	v_pk_mov_b32 v[14:15], 0, 0
	v_cmp_gt_i32_e32 vcc, s24, v221
	s_mov_b64 s[22:23], 0
	v_pk_mov_b32 v[16:17], v[14:15], v[14:15] op_sel:[0,1]
	s_and_saveexec_b64 s[4:5], vcc
	s_cbranch_execz .LBB189_111
; %bb.110:                              ;   in Loop: Header=BB189_104 Depth=1
	v_add_co_u32_e32 v14, vcc, v184, v237
	v_addc_co_u32_e32 v15, vcc, v181, v238, vcc
	flat_load_dwordx4 v[14:17], v[14:15]
.LBB189_111:                            ;   in Loop: Header=BB189_104 Depth=1
	s_or_b64 exec, exec, s[4:5]
	v_cmp_gt_i32_e64 s[4:5], s24, v222
	s_mov_b64 s[20:21], 0
	s_and_b64 vcc, exec, s[22:23]
	s_cbranch_vccnz .LBB189_113
	s_branch .LBB189_114
.LBB189_112:                            ;   in Loop: Header=BB189_104 Depth=1
	s_mov_b64 s[4:5], 0
                                        ; implicit-def: $sgpr20_sgpr21
                                        ; implicit-def: $vgpr16_vgpr17
                                        ; implicit-def: $vgpr12_vgpr13
                                        ; implicit-def: $vgpr8_vgpr9
	s_cbranch_execz .LBB189_114
.LBB189_113:                            ;   in Loop: Header=BB189_104 Depth=1
	s_waitcnt vmcnt(0) lgkmcnt(0)
	v_add_co_u32_e32 v10, vcc, v176, v237
	v_addc_co_u32_e32 v11, vcc, v173, v238, vcc
	v_add_co_u32_e32 v14, vcc, v172, v237
	v_addc_co_u32_e32 v15, vcc, v167, v238, vcc
	flat_load_dwordx4 v[6:9], v[18:19]
	s_or_b64 s[4:5], s[4:5], exec
	flat_load_dwordx4 v[10:13], v[10:11]
                                        ; implicit-def: $sgpr20_sgpr21
	s_nop 0
	flat_load_dwordx4 v[14:17], v[14:15]
.LBB189_114:                            ;   in Loop: Header=BB189_104 Depth=1
	v_pk_mov_b32 v[18:19], s[20:21], s[20:21] op_sel:[0,1]
	v_pk_mov_b32 v[20:21], s[20:21], s[20:21] op_sel:[0,1]
	s_and_saveexec_b64 s[20:21], s[4:5]
	s_cbranch_execz .LBB189_116
; %bb.115:                              ;   in Loop: Header=BB189_104 Depth=1
	v_add_co_u32_e32 v18, vcc, v188, v237
	v_addc_co_u32_e32 v19, vcc, v185, v238, vcc
	flat_load_dwordx4 v[18:21], v[18:19]
.LBB189_116:                            ;   in Loop: Header=BB189_104 Depth=1
	s_or_b64 exec, exec, s[20:21]
	ds_read_b128 v[34:37], v216
	ds_read_b128 v[22:25], v223
	v_cndmask_b32_e64 v5, 0, 1, s[8:9]
	s_andn2_b64 vcc, exec, s[8:9]
	v_add_co_u32_e64 v50, s[8:9], v200, v237
	s_waitcnt vmcnt(0) lgkmcnt(0)
	v_mul_f64 v[26:27], v[8:9], v[36:37]
	v_mul_f64 v[28:29], v[6:7], v[36:37]
	;; [unrolled: 1-line block ×3, first 2 shown]
	v_fma_f64 v[26:27], v[6:7], v[34:35], -v[26:27]
	v_fmac_f64_e32 v[28:29], v[8:9], v[34:35]
	v_mul_f64 v[32:33], v[10:11], v[36:37]
	ds_write_b128 v224, v[26:29]
	v_fma_f64 v[30:31], v[10:11], v[34:35], -v[30:31]
	v_fmac_f64_e32 v[32:33], v[12:13], v[34:35]
	v_mul_f64 v[38:39], v[16:17], v[36:37]
	v_mul_f64 v[40:41], v[14:15], v[36:37]
	ds_read_b128 v[26:29], v223 offset:16
	ds_write_b128 v224, v[30:33] offset:1072
	v_fma_f64 v[38:39], v[14:15], v[34:35], -v[38:39]
	v_fmac_f64_e32 v[40:41], v[16:17], v[34:35]
	v_mul_f64 v[42:43], v[20:21], v[36:37]
	v_mul_f64 v[44:45], v[18:19], v[36:37]
	ds_read_b128 v[30:33], v223 offset:32
	ds_write_b128 v224, v[38:41] offset:2144
	v_fma_f64 v[42:43], v[18:19], v[34:35], -v[42:43]
	v_fmac_f64_e32 v[44:45], v[20:21], v[34:35]
	ds_read_b128 v[38:41], v223 offset:48
	ds_write_b128 v224, v[42:45] offset:3216
	s_waitcnt lgkmcnt(0)
	s_barrier
	ds_read_b128 v[94:97], v219
	ds_read_b128 v[90:93], v219 offset:16
	ds_read_b128 v[86:89], v219 offset:32
	;; [unrolled: 1-line block ×3, first 2 shown]
	v_cmp_ne_u32_e64 s[4:5], 1, v5
	v_addc_co_u32_e64 v51, s[8:9], v197, v238, s[8:9]
	s_waitcnt lgkmcnt(0)
	s_barrier
	s_cbranch_vccnz .LBB189_124
; %bb.117:                              ;   in Loop: Header=BB189_104 Depth=1
	v_pk_mov_b32 v[42:43], 0, 0
	v_cmp_gt_i32_e32 vcc, s24, v225
	v_pk_mov_b32 v[34:35], v[42:43], v[42:43] op_sel:[0,1]
	v_pk_mov_b32 v[36:37], v[42:43], v[42:43] op_sel:[0,1]
	s_and_saveexec_b64 s[8:9], vcc
	s_cbranch_execz .LBB189_119
; %bb.118:                              ;   in Loop: Header=BB189_104 Depth=1
	flat_load_dwordx4 v[34:37], v[50:51]
.LBB189_119:                            ;   in Loop: Header=BB189_104 Depth=1
	s_or_b64 exec, exec, s[8:9]
	v_cmp_gt_i32_e32 vcc, s24, v226
	v_pk_mov_b32 v[44:45], v[42:43], v[42:43] op_sel:[0,1]
	s_and_saveexec_b64 s[8:9], vcc
	s_cbranch_execz .LBB189_121
; %bb.120:                              ;   in Loop: Header=BB189_104 Depth=1
	v_add_co_u32_e32 v42, vcc, v196, v237
	v_addc_co_u32_e32 v43, vcc, v193, v238, vcc
	flat_load_dwordx4 v[42:45], v[42:43]
.LBB189_121:                            ;   in Loop: Header=BB189_104 Depth=1
	s_or_b64 exec, exec, s[8:9]
	v_pk_mov_b32 v[46:47], 0, 0
	v_cmp_gt_i32_e32 vcc, s24, v227
	s_mov_b64 s[22:23], 0
	v_pk_mov_b32 v[48:49], v[46:47], v[46:47] op_sel:[0,1]
	s_and_saveexec_b64 s[8:9], vcc
	s_cbranch_execz .LBB189_123
; %bb.122:                              ;   in Loop: Header=BB189_104 Depth=1
	v_add_co_u32_e32 v46, vcc, v204, v237
	v_addc_co_u32_e32 v47, vcc, v201, v238, vcc
	flat_load_dwordx4 v[46:49], v[46:47]
.LBB189_123:                            ;   in Loop: Header=BB189_104 Depth=1
	s_or_b64 exec, exec, s[8:9]
	v_cmp_gt_i32_e64 s[8:9], s24, v228
	s_mov_b64 s[20:21], 0
	s_and_b64 vcc, exec, s[22:23]
	s_cbranch_vccnz .LBB189_125
	s_branch .LBB189_126
.LBB189_124:                            ;   in Loop: Header=BB189_104 Depth=1
	s_mov_b64 s[8:9], 0
                                        ; implicit-def: $sgpr20_sgpr21
                                        ; implicit-def: $vgpr48_vgpr49
                                        ; implicit-def: $vgpr44_vgpr45
                                        ; implicit-def: $vgpr36_vgpr37
	s_cbranch_execz .LBB189_126
.LBB189_125:                            ;   in Loop: Header=BB189_104 Depth=1
	s_waitcnt vmcnt(0) lgkmcnt(0)
	v_add_co_u32_e32 v42, vcc, v196, v237
	v_addc_co_u32_e32 v43, vcc, v193, v238, vcc
	v_add_co_u32_e32 v46, vcc, v190, v237
	v_addc_co_u32_e32 v47, vcc, v187, v238, vcc
	flat_load_dwordx4 v[34:37], v[50:51]
	s_or_b64 s[8:9], s[8:9], exec
	flat_load_dwordx4 v[42:45], v[42:43]
                                        ; implicit-def: $sgpr20_sgpr21
	s_nop 0
	flat_load_dwordx4 v[46:49], v[46:47]
.LBB189_126:                            ;   in Loop: Header=BB189_104 Depth=1
	v_pk_mov_b32 v[50:51], s[20:21], s[20:21] op_sel:[0,1]
	v_pk_mov_b32 v[52:53], s[20:21], s[20:21] op_sel:[0,1]
	s_and_saveexec_b64 s[20:21], s[8:9]
	s_cbranch_execz .LBB189_128
; %bb.127:                              ;   in Loop: Header=BB189_104 Depth=1
	v_add_co_u32_e32 v50, vcc, v208, v237
	v_addc_co_u32_e32 v51, vcc, v205, v238, vcc
	flat_load_dwordx4 v[50:53], v[50:51]
.LBB189_128:                            ;   in Loop: Header=BB189_104 Depth=1
	s_or_b64 exec, exec, s[20:21]
	ds_read_b128 v[66:69], v216
	ds_read_b128 v[54:57], v223 offset:256
	v_add_co_u32_e64 v98, s[8:9], v202, v237
	s_and_b64 vcc, exec, s[4:5]
	s_waitcnt vmcnt(0) lgkmcnt(0)
	v_mul_f64 v[58:59], v[36:37], v[68:69]
	v_mul_f64 v[60:61], v[34:35], v[68:69]
	v_mul_f64 v[62:63], v[44:45], v[68:69]
	v_fma_f64 v[58:59], v[34:35], v[66:67], -v[58:59]
	v_fmac_f64_e32 v[60:61], v[36:37], v[66:67]
	v_mul_f64 v[64:65], v[42:43], v[68:69]
	ds_write_b128 v224, v[58:61]
	v_fma_f64 v[62:63], v[42:43], v[66:67], -v[62:63]
	v_fmac_f64_e32 v[64:65], v[44:45], v[66:67]
	v_mul_f64 v[70:71], v[48:49], v[68:69]
	v_mul_f64 v[72:73], v[46:47], v[68:69]
	ds_read_b128 v[58:61], v223 offset:272
	ds_write_b128 v224, v[62:65] offset:1072
	v_fma_f64 v[70:71], v[46:47], v[66:67], -v[70:71]
	v_fmac_f64_e32 v[72:73], v[48:49], v[66:67]
	v_mul_f64 v[74:75], v[52:53], v[68:69]
	v_mul_f64 v[76:77], v[50:51], v[68:69]
	ds_read_b128 v[62:65], v223 offset:288
	ds_write_b128 v224, v[70:73] offset:2144
	v_fma_f64 v[74:75], v[50:51], v[66:67], -v[74:75]
	v_fmac_f64_e32 v[76:77], v[52:53], v[66:67]
	ds_read_b128 v[70:73], v223 offset:304
	ds_write_b128 v224, v[74:77] offset:3216
	s_waitcnt lgkmcnt(0)
	s_barrier
	ds_read_b128 v[146:149], v219
	ds_read_b128 v[142:145], v219 offset:16
	ds_read_b128 v[138:141], v219 offset:32
	;; [unrolled: 1-line block ×3, first 2 shown]
	v_addc_co_u32_e64 v99, s[8:9], v199, v238, s[8:9]
	s_waitcnt lgkmcnt(0)
	s_barrier
	s_cbranch_vccnz .LBB189_136
; %bb.129:                              ;   in Loop: Header=BB189_104 Depth=1
	v_pk_mov_b32 v[74:75], 0, 0
	v_cmp_gt_i32_e32 vcc, s24, v229
	v_pk_mov_b32 v[66:67], v[74:75], v[74:75] op_sel:[0,1]
	v_pk_mov_b32 v[68:69], v[74:75], v[74:75] op_sel:[0,1]
	s_and_saveexec_b64 s[8:9], vcc
	s_cbranch_execz .LBB189_131
; %bb.130:                              ;   in Loop: Header=BB189_104 Depth=1
	flat_load_dwordx4 v[66:69], v[98:99]
.LBB189_131:                            ;   in Loop: Header=BB189_104 Depth=1
	s_or_b64 exec, exec, s[8:9]
	v_cmp_gt_i32_e32 vcc, s24, v230
	v_pk_mov_b32 v[76:77], v[74:75], v[74:75] op_sel:[0,1]
	s_and_saveexec_b64 s[8:9], vcc
	s_cbranch_execz .LBB189_133
; %bb.132:                              ;   in Loop: Header=BB189_104 Depth=1
	v_add_co_u32_e32 v74, vcc, v206, v237
	v_addc_co_u32_e32 v75, vcc, v203, v238, vcc
	flat_load_dwordx4 v[74:77], v[74:75]
.LBB189_133:                            ;   in Loop: Header=BB189_104 Depth=1
	s_or_b64 exec, exec, s[8:9]
	v_pk_mov_b32 v[78:79], 0, 0
	v_cmp_gt_i32_e32 vcc, s24, v231
	s_mov_b64 s[22:23], 0
	v_pk_mov_b32 v[80:81], v[78:79], v[78:79] op_sel:[0,1]
	s_and_saveexec_b64 s[8:9], vcc
	s_cbranch_execz .LBB189_135
; %bb.134:                              ;   in Loop: Header=BB189_104 Depth=1
	v_add_co_u32_e32 v78, vcc, v198, v237
	v_addc_co_u32_e32 v79, vcc, v195, v238, vcc
	flat_load_dwordx4 v[78:81], v[78:79]
.LBB189_135:                            ;   in Loop: Header=BB189_104 Depth=1
	s_or_b64 exec, exec, s[8:9]
	v_cmp_gt_i32_e64 s[8:9], s24, v232
	s_mov_b64 s[20:21], 0
	s_and_b64 vcc, exec, s[22:23]
	s_cbranch_vccnz .LBB189_137
	s_branch .LBB189_138
.LBB189_136:                            ;   in Loop: Header=BB189_104 Depth=1
	s_mov_b64 s[8:9], 0
                                        ; implicit-def: $sgpr20_sgpr21
                                        ; implicit-def: $vgpr80_vgpr81
                                        ; implicit-def: $vgpr76_vgpr77
                                        ; implicit-def: $vgpr68_vgpr69
	s_cbranch_execz .LBB189_138
.LBB189_137:                            ;   in Loop: Header=BB189_104 Depth=1
	s_waitcnt vmcnt(0) lgkmcnt(0)
	v_add_co_u32_e32 v74, vcc, v206, v237
	v_addc_co_u32_e32 v75, vcc, v203, v238, vcc
	v_add_co_u32_e32 v78, vcc, v210, v237
	v_addc_co_u32_e32 v79, vcc, v207, v238, vcc
	flat_load_dwordx4 v[66:69], v[98:99]
	s_or_b64 s[8:9], s[8:9], exec
	flat_load_dwordx4 v[74:77], v[74:75]
                                        ; implicit-def: $sgpr20_sgpr21
	s_nop 0
	flat_load_dwordx4 v[78:81], v[78:79]
.LBB189_138:                            ;   in Loop: Header=BB189_104 Depth=1
	v_pk_mov_b32 v[98:99], s[20:21], s[20:21] op_sel:[0,1]
	v_pk_mov_b32 v[100:101], s[20:21], s[20:21] op_sel:[0,1]
	s_and_saveexec_b64 s[20:21], s[8:9]
	s_cbranch_execz .LBB189_140
; %bb.139:                              ;   in Loop: Header=BB189_104 Depth=1
	v_add_co_u32_e32 v98, vcc, v194, v237
	v_addc_co_u32_e32 v99, vcc, v191, v238, vcc
	flat_load_dwordx4 v[98:101], v[98:99]
.LBB189_140:                            ;   in Loop: Header=BB189_104 Depth=1
	s_or_b64 exec, exec, s[20:21]
	ds_read_b128 v[114:117], v216
	ds_read_b128 v[102:105], v223 offset:512
	s_and_b64 vcc, exec, s[4:5]
	v_add_co_u32_e64 v130, s[4:5], v182, v237
	s_waitcnt vmcnt(0) lgkmcnt(0)
	v_mul_f64 v[106:107], v[68:69], v[116:117]
	v_mul_f64 v[108:109], v[66:67], v[116:117]
	;; [unrolled: 1-line block ×3, first 2 shown]
	v_fma_f64 v[106:107], v[66:67], v[114:115], -v[106:107]
	v_fmac_f64_e32 v[108:109], v[68:69], v[114:115]
	v_mul_f64 v[112:113], v[74:75], v[116:117]
	ds_write_b128 v224, v[106:109]
	v_fma_f64 v[110:111], v[74:75], v[114:115], -v[110:111]
	v_fmac_f64_e32 v[112:113], v[76:77], v[114:115]
	v_mul_f64 v[118:119], v[80:81], v[116:117]
	v_mul_f64 v[120:121], v[78:79], v[116:117]
	ds_read_b128 v[106:109], v223 offset:528
	ds_write_b128 v224, v[110:113] offset:1072
	v_fma_f64 v[118:119], v[78:79], v[114:115], -v[118:119]
	v_fmac_f64_e32 v[120:121], v[80:81], v[114:115]
	v_mul_f64 v[122:123], v[100:101], v[116:117]
	v_mul_f64 v[124:125], v[98:99], v[116:117]
	ds_read_b128 v[110:113], v223 offset:544
	ds_write_b128 v224, v[118:121] offset:2144
	v_fma_f64 v[122:123], v[98:99], v[114:115], -v[122:123]
	v_fmac_f64_e32 v[124:125], v[100:101], v[114:115]
	ds_read_b128 v[118:121], v223 offset:560
	ds_write_b128 v224, v[122:125] offset:3216
	s_waitcnt lgkmcnt(0)
	s_barrier
	ds_read_b128 v[162:165], v219
	ds_read_b128 v[158:161], v219 offset:16
	ds_read_b128 v[154:157], v219 offset:32
	;; [unrolled: 1-line block ×3, first 2 shown]
	v_addc_co_u32_e64 v131, s[4:5], v179, v238, s[4:5]
	s_waitcnt lgkmcnt(0)
	s_barrier
	s_cbranch_vccnz .LBB189_148
; %bb.141:                              ;   in Loop: Header=BB189_104 Depth=1
	v_pk_mov_b32 v[122:123], 0, 0
	v_cmp_gt_i32_e32 vcc, s24, v233
	v_pk_mov_b32 v[114:115], v[122:123], v[122:123] op_sel:[0,1]
	v_pk_mov_b32 v[116:117], v[122:123], v[122:123] op_sel:[0,1]
	s_and_saveexec_b64 s[4:5], vcc
	s_cbranch_execz .LBB189_143
; %bb.142:                              ;   in Loop: Header=BB189_104 Depth=1
	flat_load_dwordx4 v[114:117], v[130:131]
.LBB189_143:                            ;   in Loop: Header=BB189_104 Depth=1
	s_or_b64 exec, exec, s[4:5]
	v_cmp_gt_i32_e32 vcc, s24, v234
	v_pk_mov_b32 v[124:125], v[122:123], v[122:123] op_sel:[0,1]
	s_and_saveexec_b64 s[4:5], vcc
	s_cbranch_execz .LBB189_145
; %bb.144:                              ;   in Loop: Header=BB189_104 Depth=1
	v_add_co_u32_e32 v122, vcc, v186, v237
	v_addc_co_u32_e32 v123, vcc, v183, v238, vcc
	flat_load_dwordx4 v[122:125], v[122:123]
.LBB189_145:                            ;   in Loop: Header=BB189_104 Depth=1
	s_or_b64 exec, exec, s[4:5]
	v_pk_mov_b32 v[126:127], 0, 0
	v_cmp_gt_i32_e32 vcc, s24, v235
	s_mov_b64 s[20:21], 0
	v_pk_mov_b32 v[128:129], v[126:127], v[126:127] op_sel:[0,1]
	s_and_saveexec_b64 s[4:5], vcc
	s_cbranch_execz .LBB189_147
; %bb.146:                              ;   in Loop: Header=BB189_104 Depth=1
	v_add_co_u32_e32 v126, vcc, v178, v237
	v_addc_co_u32_e32 v127, vcc, v175, v238, vcc
	flat_load_dwordx4 v[126:129], v[126:127]
.LBB189_147:                            ;   in Loop: Header=BB189_104 Depth=1
	s_or_b64 exec, exec, s[4:5]
	v_cmp_gt_i32_e64 s[4:5], s24, v236
	s_mov_b64 s[8:9], 0
	s_and_b64 vcc, exec, s[20:21]
	s_cbranch_vccnz .LBB189_149
	s_branch .LBB189_150
.LBB189_148:                            ;   in Loop: Header=BB189_104 Depth=1
	s_mov_b64 s[4:5], 0
                                        ; implicit-def: $sgpr8_sgpr9
                                        ; implicit-def: $vgpr128_vgpr129
                                        ; implicit-def: $vgpr124_vgpr125
                                        ; implicit-def: $vgpr116_vgpr117
	s_cbranch_execz .LBB189_150
.LBB189_149:                            ;   in Loop: Header=BB189_104 Depth=1
	s_waitcnt vmcnt(0) lgkmcnt(0)
	v_add_co_u32_e32 v122, vcc, v186, v237
	v_addc_co_u32_e32 v123, vcc, v183, v238, vcc
	v_add_co_u32_e32 v126, vcc, v192, v237
	v_addc_co_u32_e32 v127, vcc, v189, v238, vcc
	flat_load_dwordx4 v[114:117], v[130:131]
	s_or_b64 s[4:5], s[4:5], exec
	flat_load_dwordx4 v[122:125], v[122:123]
                                        ; implicit-def: $sgpr8_sgpr9
	s_nop 0
	flat_load_dwordx4 v[126:129], v[126:127]
.LBB189_150:                            ;   in Loop: Header=BB189_104 Depth=1
	v_pk_mov_b32 v[130:131], s[8:9], s[8:9] op_sel:[0,1]
	v_pk_mov_b32 v[132:133], s[8:9], s[8:9] op_sel:[0,1]
	s_and_saveexec_b64 s[8:9], s[4:5]
	s_cbranch_execz .LBB189_152
; %bb.151:                              ;   in Loop: Header=BB189_104 Depth=1
	v_add_co_u32_e32 v130, vcc, v174, v237
	v_addc_co_u32_e32 v131, vcc, v169, v238, vcc
	flat_load_dwordx4 v[130:133], v[130:131]
.LBB189_152:                            ;   in Loop: Header=BB189_104 Depth=1
	s_or_b64 exec, exec, s[8:9]
	v_add_f64 v[146:147], v[146:147], 0
	v_add_f64 v[148:149], v[148:149], 0
	;; [unrolled: 1-line block ×6, first 2 shown]
	ds_read_b128 v[142:145], v216
	v_add_f64 v[162:163], v[162:163], 0
	v_add_f64 v[94:95], v[94:95], 0
	;; [unrolled: 1-line block ×11, first 2 shown]
	ds_read_b128 v[86:89], v223 offset:768
	s_waitcnt vmcnt(0) lgkmcnt(0)
	v_mul_f64 v[90:91], v[116:117], v[144:145]
	v_mul_f64 v[92:93], v[114:115], v[144:145]
	v_fma_f64 v[90:91], v[114:115], v[142:143], -v[90:91]
	v_fmac_f64_e32 v[92:93], v[116:117], v[142:143]
	v_mul_f64 v[94:95], v[124:125], v[144:145]
	v_mul_f64 v[96:97], v[122:123], v[144:145]
	v_add_f64 v[138:139], v[138:139], v[134:135]
	v_add_f64 v[140:141], v[140:141], v[136:137]
	ds_write_b128 v224, v[90:93]
	v_fma_f64 v[94:95], v[122:123], v[142:143], -v[94:95]
	v_fmac_f64_e32 v[96:97], v[124:125], v[142:143]
	v_mul_f64 v[134:135], v[128:129], v[144:145]
	v_mul_f64 v[136:137], v[126:127], v[144:145]
	ds_read_b128 v[90:93], v223 offset:784
	ds_write_b128 v224, v[94:97] offset:1072
	v_fma_f64 v[134:135], v[126:127], v[142:143], -v[134:135]
	v_fmac_f64_e32 v[136:137], v[128:129], v[142:143]
	v_mul_f64 v[146:147], v[132:133], v[144:145]
	v_mul_f64 v[148:149], v[130:131], v[144:145]
	ds_read_b128 v[94:97], v223 offset:800
	ds_write_b128 v224, v[134:137] offset:2144
	v_fma_f64 v[146:147], v[130:131], v[142:143], -v[146:147]
	v_fmac_f64_e32 v[148:149], v[132:133], v[142:143]
	v_add_f64 v[164:165], v[164:165], 0
	ds_read_b128 v[134:137], v223 offset:816
	ds_write_b128 v224, v[146:149] offset:3216
	s_waitcnt lgkmcnt(0)
	s_barrier
	ds_read_b128 v[142:145], v219
	v_add_f64 v[160:161], v[164:165], v[160:161]
	v_add_f64 v[156:157], v[160:161], v[156:157]
	;; [unrolled: 1-line block ×4, first 2 shown]
	ds_read_b128 v[146:149], v219 offset:16
	ds_read_b128 v[154:157], v219 offset:32
	;; [unrolled: 1-line block ×3, first 2 shown]
	s_waitcnt lgkmcnt(3)
	v_add_f64 v[142:143], v[142:143], 0
	v_add_f64 v[144:145], v[144:145], 0
	v_cmp_gt_i32_e32 vcc, s24, v168
	s_waitcnt lgkmcnt(2)
	v_add_f64 v[142:143], v[142:143], v[146:147]
	v_add_f64 v[144:145], v[144:145], v[148:149]
	s_or_b64 s[4:5], s[14:15], vcc
	s_waitcnt lgkmcnt(1)
	v_add_f64 v[142:143], v[142:143], v[154:155]
	v_add_f64 v[144:145], v[144:145], v[156:157]
	s_and_b64 s[8:9], s[2:3], s[4:5]
	s_waitcnt lgkmcnt(0)
	v_add_f64 v[142:143], v[142:143], v[158:159]
	v_add_f64 v[144:145], v[144:145], v[160:161]
	s_barrier
	ds_write_b128 v239, v[82:85]
	ds_write_b128 v239, v[138:141] offset:256
	ds_write_b128 v239, v[150:153] offset:512
	;; [unrolled: 1-line block ×3, first 2 shown]
	s_waitcnt lgkmcnt(0)
	s_barrier
	s_and_saveexec_b64 s[4:5], s[8:9]
	s_cbranch_execz .LBB189_154
; %bb.153:                              ;   in Loop: Header=BB189_104 Depth=1
	ds_read_b128 v[82:85], v217
	ds_read_b128 v[138:141], v217 offset:16
	ds_read_b128 v[142:145], v217 offset:32
	;; [unrolled: 1-line block ×3, first 2 shown]
	v_ashrrev_i32_e32 v171, 31, v170
	v_mov_b32_e32 v5, s25
	s_waitcnt lgkmcnt(2)
	v_add_f64 v[82:83], v[138:139], v[82:83]
	v_add_f64 v[138:139], v[140:141], v[84:85]
	s_waitcnt lgkmcnt(1)
	v_add_f64 v[140:141], v[82:83], v[142:143]
	ds_read_b128 v[82:85], v217 offset:64
	v_add_f64 v[142:143], v[138:139], v[144:145]
	s_waitcnt lgkmcnt(1)
	v_add_f64 v[144:145], v[140:141], v[146:147]
	ds_read_b128 v[138:141], v217 offset:80
	;; [unrolled: 4-line block ×9, first 2 shown]
	v_add_f64 v[84:85], v[146:147], v[84:85]
	s_waitcnt lgkmcnt(1)
	v_add_f64 v[138:139], v[82:83], v[138:139]
	v_add_f64 v[146:147], v[84:85], v[140:141]
	ds_read_b128 v[82:85], v217 offset:208
	s_waitcnt lgkmcnt(1)
	v_add_f64 v[148:149], v[138:139], v[142:143]
	ds_read_b128 v[138:141], v217 offset:224
	v_add_f64 v[146:147], v[146:147], v[144:145]
	ds_read_b128 v[142:145], v218
	s_waitcnt lgkmcnt(2)
	v_add_f64 v[82:83], v[148:149], v[82:83]
	v_add_f64 v[84:85], v[146:147], v[84:85]
	s_waitcnt lgkmcnt(1)
	v_add_f64 v[82:83], v[82:83], v[138:139]
	v_lshlrev_b64 v[138:139], 4, v[170:171]
	v_add_f64 v[84:85], v[84:85], v[140:141]
	v_add_co_u32_e32 v138, vcc, s17, v138
	s_waitcnt lgkmcnt(0)
	v_add_f64 v[82:83], v[82:83], v[142:143]
	v_add_f64 v[84:85], v[84:85], v[144:145]
	v_addc_co_u32_e32 v139, vcc, v5, v139, vcc
	global_store_dwordx4 v[138:139], v[82:85], off
.LBB189_154:                            ;   in Loop: Header=BB189_104 Depth=1
	s_or_b64 exec, exec, s[4:5]
	v_mov_b32_e32 v5, s13
	v_add_co_u32_e32 v172, vcc, s12, v172
	v_addc_co_u32_e32 v167, vcc, v167, v5, vcc
	v_add_co_u32_e32 v174, vcc, s12, v174
	v_addc_co_u32_e32 v169, vcc, v169, v5, vcc
	;; [unrolled: 2-line block ×4, first 2 shown]
	v_add_co_u32_e32 v180, vcc, s12, v180
	v_mul_f64 v[82:83], v[8:9], v[24:25]
	v_addc_co_u32_e32 v177, vcc, v177, v5, vcc
	v_fma_f64 v[82:83], v[6:7], v[22:23], -v[82:83]
	v_mul_f64 v[6:7], v[6:7], v[24:25]
	v_mul_f64 v[24:25], v[12:13], v[28:29]
	v_add_co_u32_e32 v182, vcc, s12, v182
	v_add_f64 v[0:1], v[0:1], v[82:83]
	v_fma_f64 v[24:25], v[10:11], v[26:27], -v[24:25]
	v_addc_co_u32_e32 v179, vcc, v179, v5, vcc
	v_add_f64 v[0:1], v[0:1], v[24:25]
	v_mul_f64 v[24:25], v[16:17], v[32:33]
	v_add_co_u32_e32 v184, vcc, s12, v184
	v_fma_f64 v[24:25], v[14:15], v[30:31], -v[24:25]
	v_addc_co_u32_e32 v181, vcc, v181, v5, vcc
	v_add_f64 v[0:1], v[0:1], v[24:25]
	v_mul_f64 v[24:25], v[20:21], v[40:41]
	v_fmac_f64_e32 v[6:7], v[8:9], v[22:23]
	v_add_co_u32_e32 v186, vcc, s12, v186
	v_fma_f64 v[24:25], v[18:19], v[38:39], -v[24:25]
	v_add_f64 v[2:3], v[2:3], v[6:7]
	v_mul_f64 v[6:7], v[36:37], v[56:57]
	v_addc_co_u32_e32 v183, vcc, v183, v5, vcc
	v_add_f64 v[0:1], v[0:1], v[24:25]
	v_fma_f64 v[6:7], v[34:35], v[54:55], -v[6:7]
	v_add_co_u32_e32 v188, vcc, s12, v188
	v_add_f64 v[0:1], v[0:1], v[6:7]
	v_mul_f64 v[6:7], v[44:45], v[60:61]
	v_addc_co_u32_e32 v185, vcc, v185, v5, vcc
	v_fma_f64 v[6:7], v[42:43], v[58:59], -v[6:7]
	v_add_co_u32_e32 v190, vcc, s12, v190
	v_add_f64 v[0:1], v[0:1], v[6:7]
	v_mul_f64 v[6:7], v[48:49], v[64:65]
	v_addc_co_u32_e32 v187, vcc, v187, v5, vcc
	;; [unrolled: 5-line block ×3, first 2 shown]
	v_fma_f64 v[6:7], v[50:51], v[70:71], -v[6:7]
	v_add_co_u32_e32 v194, vcc, s12, v194
	v_mul_f64 v[10:11], v[10:11], v[28:29]
	v_add_f64 v[0:1], v[0:1], v[6:7]
	v_mul_f64 v[6:7], v[68:69], v[104:105]
	v_addc_co_u32_e32 v191, vcc, v191, v5, vcc
	v_mul_f64 v[14:15], v[14:15], v[32:33]
	v_fmac_f64_e32 v[10:11], v[12:13], v[26:27]
	v_fma_f64 v[6:7], v[66:67], v[102:103], -v[6:7]
	v_add_co_u32_e32 v196, vcc, s12, v196
	v_mul_f64 v[18:19], v[18:19], v[40:41]
	v_add_f64 v[2:3], v[2:3], v[10:11]
	v_fmac_f64_e32 v[14:15], v[16:17], v[30:31]
	v_add_f64 v[0:1], v[0:1], v[6:7]
	v_mul_f64 v[6:7], v[76:77], v[108:109]
	v_addc_co_u32_e32 v193, vcc, v193, v5, vcc
	v_add_f64 v[2:3], v[2:3], v[14:15]
	v_fmac_f64_e32 v[18:19], v[20:21], v[38:39]
	v_mul_f64 v[8:9], v[34:35], v[56:57]
	v_fma_f64 v[6:7], v[74:75], v[106:107], -v[6:7]
	v_add_co_u32_e32 v198, vcc, s12, v198
	v_add_f64 v[2:3], v[2:3], v[18:19]
	v_mul_f64 v[10:11], v[42:43], v[60:61]
	v_fmac_f64_e32 v[8:9], v[36:37], v[54:55]
	v_add_f64 v[0:1], v[0:1], v[6:7]
	v_mul_f64 v[6:7], v[80:81], v[112:113]
	v_addc_co_u32_e32 v195, vcc, v195, v5, vcc
	v_mul_f64 v[12:13], v[46:47], v[64:65]
	v_add_f64 v[2:3], v[2:3], v[8:9]
	v_fmac_f64_e32 v[10:11], v[44:45], v[58:59]
	v_fma_f64 v[6:7], v[78:79], v[110:111], -v[6:7]
	v_add_co_u32_e32 v200, vcc, s12, v200
	v_mul_f64 v[14:15], v[50:51], v[72:73]
	v_add_f64 v[2:3], v[2:3], v[10:11]
	v_fmac_f64_e32 v[12:13], v[48:49], v[62:63]
	v_add_f64 v[0:1], v[0:1], v[6:7]
	v_mul_f64 v[6:7], v[100:101], v[120:121]
	v_addc_co_u32_e32 v197, vcc, v197, v5, vcc
	v_add_f64 v[2:3], v[2:3], v[12:13]
	v_fmac_f64_e32 v[14:15], v[52:53], v[70:71]
	v_mul_f64 v[8:9], v[66:67], v[104:105]
	v_fma_f64 v[6:7], v[98:99], v[118:119], -v[6:7]
	v_add_co_u32_e32 v202, vcc, s12, v202
	v_add_f64 v[2:3], v[2:3], v[14:15]
	v_mul_f64 v[10:11], v[74:75], v[108:109]
	v_add_f64 v[0:1], v[0:1], v[6:7]
	v_fmac_f64_e32 v[8:9], v[68:69], v[102:103]
	v_mul_f64 v[6:7], v[116:117], v[88:89]
	v_addc_co_u32_e32 v199, vcc, v199, v5, vcc
	v_mul_f64 v[12:13], v[78:79], v[112:113]
	v_add_f64 v[2:3], v[2:3], v[8:9]
	v_fmac_f64_e32 v[10:11], v[76:77], v[106:107]
	v_fma_f64 v[6:7], v[114:115], v[86:87], -v[6:7]
	v_add_co_u32_e32 v204, vcc, s12, v204
	v_mul_f64 v[14:15], v[98:99], v[120:121]
	v_add_f64 v[2:3], v[2:3], v[10:11]
	v_fmac_f64_e32 v[12:13], v[80:81], v[110:111]
	v_add_f64 v[0:1], v[0:1], v[6:7]
	v_mul_f64 v[6:7], v[124:125], v[92:93]
	v_addc_co_u32_e32 v201, vcc, v201, v5, vcc
	v_add_f64 v[2:3], v[2:3], v[12:13]
	v_fmac_f64_e32 v[14:15], v[100:101], v[118:119]
	v_mul_f64 v[8:9], v[114:115], v[88:89]
	v_fma_f64 v[6:7], v[122:123], v[90:91], -v[6:7]
	v_add_co_u32_e32 v206, vcc, s12, v206
	v_add_f64 v[2:3], v[2:3], v[14:15]
	v_mul_f64 v[10:11], v[122:123], v[92:93]
	v_add_f64 v[0:1], v[0:1], v[6:7]
	v_mul_f64 v[6:7], v[128:129], v[96:97]
	v_fmac_f64_e32 v[8:9], v[116:117], v[86:87]
	v_addc_co_u32_e32 v203, vcc, v203, v5, vcc
	v_fma_f64 v[6:7], v[126:127], v[94:95], -v[6:7]
	v_mul_f64 v[12:13], v[126:127], v[96:97]
	v_fmac_f64_e32 v[10:11], v[124:125], v[90:91]
	v_add_f64 v[2:3], v[2:3], v[8:9]
	v_add_co_u32_e32 v208, vcc, s12, v208
	v_add_f64 v[0:1], v[0:1], v[6:7]
	v_mul_f64 v[6:7], v[132:133], v[136:137]
	v_mul_f64 v[14:15], v[130:131], v[136:137]
	v_fmac_f64_e32 v[12:13], v[128:129], v[94:95]
	v_add_f64 v[2:3], v[2:3], v[10:11]
	v_addc_co_u32_e32 v205, vcc, v205, v5, vcc
	v_fma_f64 v[6:7], v[130:131], v[134:135], -v[6:7]
	v_fmac_f64_e32 v[14:15], v[132:133], v[134:135]
	v_add_f64 v[2:3], v[2:3], v[12:13]
	s_add_i32 s4, s6, 1
	s_add_i32 s10, s10, s35
	;; [unrolled: 1-line block ×3, first 2 shown]
	v_add_co_u32_e32 v210, vcc, s12, v210
	v_add_f64 v[0:1], v[0:1], v[6:7]
	v_add_f64 v[2:3], v[2:3], v[14:15]
	v_add_u32_e32 v170, 64, v170
	s_cmp_ge_u32 s5, s7
	v_addc_co_u32_e32 v207, vcc, v207, v5, vcc
	s_barrier
	s_cbranch_scc1 .LBB189_156
; %bb.155:                              ;   in Loop: Header=BB189_104 Depth=1
	s_mov_b32 s6, s4
	s_cmp_eq_u32 s34, s6
	s_cselect_b32 s24, s33, 0
	s_and_saveexec_b64 s[4:5], s[0:1]
	s_cbranch_execnz .LBB189_100
	s_branch .LBB189_104
.LBB189_156:
	s_movk_i32 s2, 0x430
	v_cmp_gt_i32_e32 vcc, s16, v168
	v_mad_u32_u24 v4, v209, s2, v211
	s_or_b64 s[2:3], s[18:19], vcc
	s_and_b64 s[0:1], s[0:1], s[2:3]
	ds_write_b128 v4, v[0:3]
	s_waitcnt lgkmcnt(0)
	s_barrier
	s_and_saveexec_b64 s[2:3], s[0:1]
	s_cbranch_execz .LBB189_158
; %bb.157:
	ds_read_b128 v[0:3], v211 offset:1072
	ds_read_b128 v[4:7], v211
	ds_read_b128 v[8:11], v211 offset:2144
	ds_read_b128 v[12:15], v211 offset:3216
	v_ashrrev_i32_e32 v167, 31, v166
	s_waitcnt lgkmcnt(2)
	v_add_f64 v[0:1], v[0:1], v[4:5]
	v_add_f64 v[2:3], v[2:3], v[6:7]
	v_lshlrev_b64 v[4:5], 4, v[166:167]
	s_waitcnt lgkmcnt(1)
	v_add_f64 v[0:1], v[0:1], v[8:9]
	v_add_f64 v[2:3], v[2:3], v[10:11]
	v_mov_b32_e32 v6, s25
	v_add_co_u32_e32 v4, vcc, s17, v4
	s_waitcnt lgkmcnt(0)
	v_add_f64 v[0:1], v[0:1], v[12:13]
	v_add_f64 v[2:3], v[2:3], v[14:15]
	v_addc_co_u32_e32 v5, vcc, v6, v5, vcc
	global_store_dwordx4 v[4:5], v[0:3], off
.LBB189_158:
	s_endpgm
	.section	.rodata,"a",@progbits
	.p2align	6, 0x0
	.amdhsa_kernel _ZL26rocblas_hemvn_kernel_upperILb0ELi64ELi4ELi33ELi32ELi16EiPK19rocblas_complex_numIdEPKS3_PS1_EviT6_lT7_lT5_lS8_lS9_lS7_lT8_i
		.amdhsa_group_segment_fixed_size 19200
		.amdhsa_private_segment_fixed_size 0
		.amdhsa_kernarg_size 376
		.amdhsa_user_sgpr_count 6
		.amdhsa_user_sgpr_private_segment_buffer 1
		.amdhsa_user_sgpr_dispatch_ptr 0
		.amdhsa_user_sgpr_queue_ptr 0
		.amdhsa_user_sgpr_kernarg_segment_ptr 1
		.amdhsa_user_sgpr_dispatch_id 0
		.amdhsa_user_sgpr_flat_scratch_init 0
		.amdhsa_user_sgpr_kernarg_preload_length 0
		.amdhsa_user_sgpr_kernarg_preload_offset 0
		.amdhsa_user_sgpr_private_segment_size 0
		.amdhsa_uses_dynamic_stack 0
		.amdhsa_system_sgpr_private_segment_wavefront_offset 0
		.amdhsa_system_sgpr_workgroup_id_x 1
		.amdhsa_system_sgpr_workgroup_id_y 0
		.amdhsa_system_sgpr_workgroup_id_z 1
		.amdhsa_system_sgpr_workgroup_info 0
		.amdhsa_system_vgpr_workitem_id 1
		.amdhsa_next_free_vgpr 240
		.amdhsa_next_free_sgpr 44
		.amdhsa_accum_offset 240
		.amdhsa_reserve_vcc 1
		.amdhsa_reserve_flat_scratch 0
		.amdhsa_float_round_mode_32 0
		.amdhsa_float_round_mode_16_64 0
		.amdhsa_float_denorm_mode_32 3
		.amdhsa_float_denorm_mode_16_64 3
		.amdhsa_dx10_clamp 1
		.amdhsa_ieee_mode 1
		.amdhsa_fp16_overflow 0
		.amdhsa_tg_split 0
		.amdhsa_exception_fp_ieee_invalid_op 0
		.amdhsa_exception_fp_denorm_src 0
		.amdhsa_exception_fp_ieee_div_zero 0
		.amdhsa_exception_fp_ieee_overflow 0
		.amdhsa_exception_fp_ieee_underflow 0
		.amdhsa_exception_fp_ieee_inexact 0
		.amdhsa_exception_int_div_zero 0
	.end_amdhsa_kernel
	.section	.text._ZL26rocblas_hemvn_kernel_upperILb0ELi64ELi4ELi33ELi32ELi16EiPK19rocblas_complex_numIdEPKS3_PS1_EviT6_lT7_lT5_lS8_lS9_lS7_lT8_i,"axG",@progbits,_ZL26rocblas_hemvn_kernel_upperILb0ELi64ELi4ELi33ELi32ELi16EiPK19rocblas_complex_numIdEPKS3_PS1_EviT6_lT7_lT5_lS8_lS9_lS7_lT8_i,comdat
.Lfunc_end189:
	.size	_ZL26rocblas_hemvn_kernel_upperILb0ELi64ELi4ELi33ELi32ELi16EiPK19rocblas_complex_numIdEPKS3_PS1_EviT6_lT7_lT5_lS8_lS9_lS7_lT8_i, .Lfunc_end189-_ZL26rocblas_hemvn_kernel_upperILb0ELi64ELi4ELi33ELi32ELi16EiPK19rocblas_complex_numIdEPKS3_PS1_EviT6_lT7_lT5_lS8_lS9_lS7_lT8_i
                                        ; -- End function
	.section	.AMDGPU.csdata,"",@progbits
; Kernel info:
; codeLenInByte = 10704
; NumSgprs: 48
; NumVgprs: 240
; NumAgprs: 0
; TotalNumVgprs: 240
; ScratchSize: 0
; MemoryBound: 1
; FloatMode: 240
; IeeeMode: 1
; LDSByteSize: 19200 bytes/workgroup (compile time only)
; SGPRBlocks: 5
; VGPRBlocks: 29
; NumSGPRsForWavesPerEU: 48
; NumVGPRsForWavesPerEU: 240
; AccumOffset: 240
; Occupancy: 2
; WaveLimiterHint : 1
; COMPUTE_PGM_RSRC2:SCRATCH_EN: 0
; COMPUTE_PGM_RSRC2:USER_SGPR: 6
; COMPUTE_PGM_RSRC2:TRAP_HANDLER: 0
; COMPUTE_PGM_RSRC2:TGID_X_EN: 1
; COMPUTE_PGM_RSRC2:TGID_Y_EN: 0
; COMPUTE_PGM_RSRC2:TGID_Z_EN: 1
; COMPUTE_PGM_RSRC2:TIDIG_COMP_CNT: 1
; COMPUTE_PGM_RSRC3_GFX90A:ACCUM_OFFSET: 59
; COMPUTE_PGM_RSRC3_GFX90A:TG_SPLIT: 0
	.section	.text._ZL26rocblas_hemvn_kernel_upperILb0ELi64ELi4ELi33ELi32ELi16El19rocblas_complex_numIdEPKPKS1_PS1_EviT6_lT7_lT5_lS8_lS9_lS7_lT8_i,"axG",@progbits,_ZL26rocblas_hemvn_kernel_upperILb0ELi64ELi4ELi33ELi32ELi16El19rocblas_complex_numIdEPKPKS1_PS1_EviT6_lT7_lT5_lS8_lS9_lS7_lT8_i,comdat
	.globl	_ZL26rocblas_hemvn_kernel_upperILb0ELi64ELi4ELi33ELi32ELi16El19rocblas_complex_numIdEPKPKS1_PS1_EviT6_lT7_lT5_lS8_lS9_lS7_lT8_i ; -- Begin function _ZL26rocblas_hemvn_kernel_upperILb0ELi64ELi4ELi33ELi32ELi16El19rocblas_complex_numIdEPKPKS1_PS1_EviT6_lT7_lT5_lS8_lS9_lS7_lT8_i
	.p2align	8
	.type	_ZL26rocblas_hemvn_kernel_upperILb0ELi64ELi4ELi33ELi32ELi16El19rocblas_complex_numIdEPKPKS1_PS1_EviT6_lT7_lT5_lS8_lS9_lS7_lT8_i,@function
_ZL26rocblas_hemvn_kernel_upperILb0ELi64ELi4ELi33ELi32ELi16El19rocblas_complex_numIdEPKPKS1_PS1_EviT6_lT7_lT5_lS8_lS9_lS7_lT8_i: ; @_ZL26rocblas_hemvn_kernel_upperILb0ELi64ELi4ELi33ELi32ELi16El19rocblas_complex_numIdEPKPKS1_PS1_EviT6_lT7_lT5_lS8_lS9_lS7_lT8_i
; %bb.0:
	s_load_dwordx2 s[0:1], s[4:5], 0x94
	s_add_u32 s14, s4, 0x88
	s_addc_u32 s15, s5, 0
	s_waitcnt lgkmcnt(0)
	s_lshr_b32 s2, s0, 16
	s_and_b32 s0, s0, 0xffff
	s_and_b32 s1, s1, 0xffff
	s_mul_i32 s0, s2, s0
	s_mul_i32 s0, s0, s1
	s_cmpk_lg_i32 s0, 0x100
	s_cbranch_scc1 .LBB190_158
; %bb.1:
	s_load_dwordx4 s[16:19], s[4:5], 0x8
	s_load_dwordx4 s[0:3], s[4:5], 0x20
	s_load_dwordx2 s[24:25], s[4:5], 0x30
	s_mov_b32 s26, s7
	s_mov_b64 s[8:9], 0
	s_waitcnt lgkmcnt(0)
	v_cmp_neq_f64_e64 s[10:11], s[16:17], 0
	v_cmp_neq_f64_e64 s[12:13], s[18:19], 0
	s_or_b64 s[16:17], s[10:11], s[12:13]
	s_and_b64 vcc, exec, s[16:17]
	s_cbranch_vccnz .LBB190_3
; %bb.2:
	s_load_dwordx4 s[8:11], s[4:5], 0x60
	s_mov_b64 s[12:13], 0
	s_waitcnt lgkmcnt(0)
	v_cmp_neq_f64_e64 s[8:9], s[8:9], 1.0
	v_cmp_neq_f64_e64 s[10:11], s[10:11], 0
	s_or_b64 s[8:9], s[8:9], s[10:11]
	s_cbranch_execz .LBB190_4
	s_branch .LBB190_5
.LBB190_3:
	s_mov_b64 s[12:13], -1
.LBB190_4:
	s_mov_b32 s27, 0
	s_lshl_b64 s[8:9], s[26:27], 3
	s_add_u32 s0, s0, s8
	s_addc_u32 s1, s1, s9
	s_load_dwordx2 s[0:1], s[0:1], 0x0
	s_lshl_b64 s[2:3], s[2:3], 4
	s_mov_b64 s[8:9], -1
	s_waitcnt lgkmcnt(0)
	s_add_u32 s12, s0, s2
	s_addc_u32 s13, s1, s3
.LBB190_5:
	s_andn2_b64 vcc, exec, s[8:9]
	s_cbranch_vccnz .LBB190_158
; %bb.6:
	s_load_dwordx4 s[8:11], s[4:5], 0x40
	s_load_dwordx2 s[18:19], s[4:5], 0x50
	v_cndmask_b32_e64 v1, 0, 1, s[16:17]
	v_cmp_ne_u32_e64 s[0:1], 1, v1
	s_andn2_b64 vcc, exec, s[16:17]
	s_mov_b64 s[2:3], 0
	s_cbranch_vccnz .LBB190_8
; %bb.7:
	s_mov_b32 s27, 0
	s_lshl_b64 s[2:3], s[26:27], 3
	s_waitcnt lgkmcnt(0)
	s_add_u32 s2, s8, s2
	s_addc_u32 s3, s9, s3
	s_load_dwordx2 s[2:3], s[2:3], 0x0
	s_lshl_b64 s[8:9], s[10:11], 4
	s_waitcnt lgkmcnt(0)
	s_add_u32 s2, s2, s8
	s_addc_u32 s3, s3, s9
.LBB190_8:
	s_and_b64 vcc, exec, s[0:1]
	s_cbranch_vccnz .LBB190_158
; %bb.9:
	s_load_dword s7, s[14:15], 0x0
	s_load_dword s33, s[4:5], 0x0
	v_and_b32_e32 v201, 0x3ff, v0
	s_lshl_b32 s28, s6, 6
	v_add_u32_e32 v166, s28, v201
	s_waitcnt lgkmcnt(0)
	s_add_i32 s0, s7, -1
	s_ashr_i32 s38, s33, 31
	s_lshr_b32 s1, s38, 26
	s_add_i32 s1, s33, s1
	s_andn2_b32 s1, s1, 63
	s_sub_i32 s27, s33, s1
	v_ashrrev_i32_e32 v167, 31, v166
	v_bfe_u32 v202, v0, 10, 10
	s_cmp_eq_u32 s6, s0
	v_mul_lo_u32 v2, v167, s18
	v_mul_lo_u32 v3, v166, s19
	v_mad_u64_u32 v[0:1], s[0:1], v166, s18, 0
	v_add3_u32 v1, v1, v3, v2
	v_lshlrev_b64 v[0:1], 4, v[0:1]
	v_mov_b32_e32 v2, s3
	v_add_co_u32_e32 v38, vcc, s2, v0
	s_cselect_b32 s20, s27, 0
	v_addc_co_u32_e32 v39, vcc, v2, v1, vcc
	v_cmp_eq_u32_e64 s[0:1], 0, v202
	s_and_saveexec_b64 s[2:3], s[0:1]
	s_cbranch_execz .LBB190_14
; %bb.10:
	s_cmp_lg_u32 s20, 0
	s_cselect_b64 s[8:9], -1, 0
	v_cmp_le_i32_e32 vcc, s20, v201
	v_mov_b32_e32 v0, 0x4700
	s_and_b64 s[8:9], s[8:9], vcc
	v_lshl_add_u32 v0, v201, 4, v0
	s_and_saveexec_b64 s[10:11], s[8:9]
	s_xor_b64 s[8:9], exec, s[10:11]
	s_cbranch_execz .LBB190_12
; %bb.11:
	v_mov_b32_e32 v2, 0
	v_mov_b32_e32 v3, v2
	;; [unrolled: 1-line block ×4, first 2 shown]
	ds_write_b128 v0, v[2:5]
                                        ; implicit-def: $vgpr0
.LBB190_12:
	s_andn2_saveexec_b64 s[8:9], s[8:9]
	s_cbranch_execz .LBB190_14
; %bb.13:
	flat_load_dwordx4 v[2:5], v[38:39]
	s_waitcnt vmcnt(0) lgkmcnt(0)
	ds_write2_b64 v0, v[2:3], v[4:5] offset1:1
.LBB190_14:
	s_or_b64 exec, exec, s[2:3]
	s_ashr_i32 s29, s28, 31
	v_lshl_add_u32 v42, v202, 6, v201
	s_lshl_b64 s[2:3], s[28:29], 4
	v_and_b32_e32 v4, 31, v201
	v_lshrrev_b32_e32 v12, 5, v42
	s_add_u32 s8, s12, s2
	v_mov_b32_e32 v5, 0
	s_addc_u32 s9, s13, s3
	v_mad_u64_u32 v[0:1], s[2:3], v12, s24, v[4:5]
	v_mov_b32_e32 v2, v1
	v_mad_u64_u32 v[2:3], s[2:3], v12, s25, v[2:3]
	s_mul_i32 s2, s28, s25
	s_mul_hi_u32 s3, s28, s24
	s_add_i32 s2, s3, s2
	s_mul_i32 s3, s29, s24
	s_add_i32 s3, s2, s3
	s_mul_i32 s2, s28, s24
	s_lshl_b64 s[2:3], s[2:3], 4
	s_add_u32 s2, s2, s8
	v_mov_b32_e32 v1, v2
	s_addc_u32 s3, s3, s9
	v_lshlrev_b64 v[36:37], 4, v[0:1]
	s_cmp_eq_u32 s20, 0
	v_mov_b32_e32 v1, s3
	v_add_co_u32_e32 v0, vcc, s2, v36
	s_cselect_b64 s[22:23], -1, 0
	s_cmp_lg_u32 s20, 0
	v_addc_co_u32_e32 v1, vcc, v1, v37, vcc
	s_cselect_b64 s[30:31], -1, 0
	s_and_b64 vcc, exec, s[30:31]
	v_cmp_gt_i32_e64 s[2:3], s20, v4
	v_lshlrev_b32_e32 v13, 4, v4
	v_mul_u32_u24_e32 v5, 33, v12
	s_mul_i32 s39, s25, 0x180
	s_cbranch_vccz .LBB190_32
; %bb.15:
	v_sub_co_u32_e32 v2, vcc, v0, v13
	s_ashr_i32 s21, s20, 31
	v_subbrev_co_u32_e32 v3, vcc, 0, v1, vcc
	s_lshl_b64 s[8:9], s[20:21], 4
	v_mov_b32_e32 v6, s9
	v_add_co_u32_e32 v2, vcc, s8, v2
	v_addc_co_u32_e32 v3, vcc, v3, v6, vcc
	v_add_co_u32_e32 v2, vcc, -16, v2
	v_addc_co_u32_e32 v3, vcc, -1, v3, vcc
	v_cndmask_b32_e64 v3, v3, v1, s[2:3]
	v_cndmask_b32_e64 v2, v2, v0, s[2:3]
	v_cmp_le_i32_e32 vcc, s20, v12
	v_add_lshl_u32 v6, v5, v4, 4
	s_and_saveexec_b64 s[10:11], vcc
	s_xor_b64 s[10:11], exec, s[10:11]
	s_cbranch_execz .LBB190_17
; %bb.16:
	v_mov_b32_e32 v8, 0
	v_mov_b32_e32 v9, v8
	;; [unrolled: 1-line block ×4, first 2 shown]
	ds_write_b128 v6, v[8:11]
.LBB190_17:
	s_andn2_saveexec_b64 s[10:11], s[10:11]
	s_cbranch_execz .LBB190_19
; %bb.18:
	flat_load_dwordx4 v[8:11], v[2:3]
	s_waitcnt vmcnt(0) lgkmcnt(0)
	ds_write2_b64 v6, v[8:9], v[10:11] offset1:1
.LBB190_19:
	s_or_b64 exec, exec, s[10:11]
	v_add_u32_e32 v7, 8, v12
	v_cmp_le_i32_e32 vcc, s20, v7
	s_and_saveexec_b64 s[10:11], vcc
	s_xor_b64 s[10:11], exec, s[10:11]
	s_cbranch_execz .LBB190_21
; %bb.20:
	v_mul_u32_u24_e32 v7, 33, v7
	v_mov_b32_e32 v8, 0
	v_add_lshl_u32 v7, v7, v4, 4
	v_mov_b32_e32 v9, v8
	v_mov_b32_e32 v10, v8
	;; [unrolled: 1-line block ×3, first 2 shown]
	ds_write_b128 v7, v[8:11]
.LBB190_21:
	s_andn2_saveexec_b64 s[10:11], s[10:11]
	s_cbranch_execz .LBB190_23
; %bb.22:
	s_lshl_b64 s[12:13], s[24:25], 7
	v_mov_b32_e32 v7, s13
	v_add_co_u32_e32 v8, vcc, s12, v2
	v_addc_co_u32_e32 v9, vcc, v3, v7, vcc
	flat_load_dwordx4 v[8:11], v[8:9]
	v_add_u32_e32 v7, 0x1080, v6
	s_waitcnt vmcnt(0) lgkmcnt(0)
	ds_write2_b64 v7, v[8:9], v[10:11] offset1:1
.LBB190_23:
	s_or_b64 exec, exec, s[10:11]
	v_add_u32_e32 v7, 16, v12
	v_cmp_le_i32_e32 vcc, s20, v7
	s_and_saveexec_b64 s[10:11], vcc
	s_xor_b64 s[10:11], exec, s[10:11]
	s_cbranch_execz .LBB190_25
; %bb.24:
	v_mov_b32_e32 v8, 0
	v_mov_b32_e32 v9, v8
	;; [unrolled: 1-line block ×4, first 2 shown]
	ds_write_b128 v6, v[8:11] offset:8448
.LBB190_25:
	s_andn2_saveexec_b64 s[10:11], s[10:11]
	s_cbranch_execz .LBB190_27
; %bb.26:
	s_lshl_b64 s[12:13], s[24:25], 8
	v_mov_b32_e32 v7, s13
	v_add_co_u32_e32 v8, vcc, s12, v2
	v_addc_co_u32_e32 v9, vcc, v3, v7, vcc
	flat_load_dwordx4 v[8:11], v[8:9]
	v_add_u32_e32 v7, 0x2100, v6
	s_waitcnt vmcnt(0) lgkmcnt(0)
	ds_write2_b64 v7, v[8:9], v[10:11] offset1:1
.LBB190_27:
	s_or_b64 exec, exec, s[10:11]
	v_add_u32_e32 v7, 24, v12
	v_cmp_le_i32_e32 vcc, s20, v7
	s_and_saveexec_b64 s[10:11], vcc
	s_xor_b64 s[10:11], exec, s[10:11]
	s_cbranch_execz .LBB190_29
; %bb.28:
	v_mov_b32_e32 v8, 0
	v_mov_b32_e32 v9, v8
	;; [unrolled: 1-line block ×4, first 2 shown]
	ds_write_b128 v6, v[8:11] offset:12672
                                        ; implicit-def: $vgpr6
.LBB190_29:
	s_andn2_saveexec_b64 s[10:11], s[10:11]
	s_cbranch_execz .LBB190_31
; %bb.30:
	v_mov_b32_e32 v7, 0x180
	v_mad_u64_u32 v[8:9], s[12:13], s24, v7, v[2:3]
	v_add_u32_e32 v9, s39, v9
	flat_load_dwordx4 v[8:11], v[8:9]
	v_add_u32_e32 v6, 0x3180, v6
	s_waitcnt vmcnt(0) lgkmcnt(0)
	ds_write2_b64 v6, v[8:9], v[10:11] offset1:1
.LBB190_31:
	s_or_b64 exec, exec, s[10:11]
	v_add_co_u32_e32 v2, vcc, v2, v13
	v_addc_co_u32_e32 v3, vcc, 0, v3, vcc
	v_mov_b32_e32 v6, s9
	v_subrev_co_u32_e32 v2, vcc, s8, v2
	v_subb_co_u32_e32 v3, vcc, v3, v6, vcc
	v_add_co_u32_e32 v2, vcc, 16, v2
	v_addc_co_u32_e32 v3, vcc, 0, v3, vcc
	v_cndmask_b32_e64 v7, v3, v1, s[2:3]
	v_cndmask_b32_e64 v6, v2, v0, s[2:3]
	s_branch .LBB190_34
.LBB190_32:
                                        ; implicit-def: $vgpr6_vgpr7
	s_cbranch_execz .LBB190_34
; %bb.33:
	flat_load_dwordx4 v[6:9], v[0:1]
	s_lshl_b64 s[2:3], s[24:25], 7
	v_add_lshl_u32 v10, v5, v4, 4
	v_mov_b32_e32 v11, s3
	v_add_co_u32_e32 v2, vcc, s2, v0
	v_addc_co_u32_e32 v3, vcc, v1, v11, vcc
	v_add_u32_e32 v14, 0x1080, v10
	s_waitcnt vmcnt(0) lgkmcnt(0)
	ds_write2_b64 v10, v[6:7], v[8:9] offset1:1
	flat_load_dwordx4 v[6:9], v[2:3]
	v_add_co_u32_e32 v2, vcc, s2, v2
	v_addc_co_u32_e32 v3, vcc, v3, v11, vcc
	v_add_u32_e32 v11, 0x2100, v10
	s_waitcnt vmcnt(0) lgkmcnt(0)
	ds_write2_b64 v14, v[6:7], v[8:9] offset1:1
	flat_load_dwordx4 v[6:9], v[2:3]
	v_mov_b32_e32 v2, 0x180
	v_mad_u64_u32 v[2:3], s[2:3], s24, v2, v[0:1]
	v_add_u32_e32 v3, s39, v3
	s_waitcnt vmcnt(0) lgkmcnt(0)
	ds_write2_b64 v11, v[6:7], v[8:9] offset1:1
	flat_load_dwordx4 v[6:9], v[2:3]
	v_add_u32_e32 v2, 0x3180, v10
	s_waitcnt vmcnt(0) lgkmcnt(0)
	ds_write2_b64 v2, v[6:7], v[8:9] offset1:1
	v_pk_mov_b32 v[6:7], v[0:1], v[0:1] op_sel:[0,1]
.LBB190_34:
	v_lshlrev_b32_e32 v0, 2, v12
	v_mul_u32_u24_e32 v14, 33, v4
	v_cmp_gt_u32_e64 s[16:17], v0, v4
	v_add_lshl_u32 v16, v0, v14, 4
	s_waitcnt lgkmcnt(0)
	s_barrier
	s_and_saveexec_b64 s[2:3], s[16:17]
	s_cbranch_execz .LBB190_36
; %bb.35:
	v_mul_u32_u24_e32 v1, 0x84, v12
	v_add_lshl_u32 v1, v1, v4, 4
	ds_read_b128 v[8:11], v1
	s_waitcnt lgkmcnt(0)
	ds_write_b128 v16, v[8:11]
.LBB190_36:
	s_or_b64 exec, exec, s[2:3]
	v_cmp_ge_u32_e64 s[8:9], v0, v4
	s_and_saveexec_b64 s[2:3], s[8:9]
	s_cbranch_execz .LBB190_38
; %bb.37:
	v_or_b32_e32 v1, 1, v0
	v_mul_u32_u24_e32 v1, 33, v1
	v_add_lshl_u32 v1, v1, v4, 4
	ds_read_b128 v[8:11], v1
	s_waitcnt lgkmcnt(0)
	ds_write_b128 v16, v[8:11] offset:16
.LBB190_38:
	s_or_b64 exec, exec, s[2:3]
	v_or_b32_e32 v1, 2, v0
	v_cmp_gt_u32_e64 s[10:11], v1, v4
	s_and_saveexec_b64 s[2:3], s[10:11]
	s_cbranch_execz .LBB190_40
; %bb.39:
	v_mul_u32_u24_e32 v1, 33, v1
	v_add_lshl_u32 v1, v1, v4, 4
	ds_read_b128 v[8:11], v1
	s_waitcnt lgkmcnt(0)
	ds_write_b128 v16, v[8:11] offset:32
.LBB190_40:
	s_or_b64 exec, exec, s[2:3]
	v_or_b32_e32 v1, 3, v0
	v_cmp_gt_u32_e64 s[12:13], v1, v4
	v_mad_u32_u24 v1, v1, 33, v4
	v_lshlrev_b32_e32 v15, 4, v1
	s_and_saveexec_b64 s[2:3], s[12:13]
	s_cbranch_execz .LBB190_42
; %bb.41:
	ds_read_b128 v[8:11], v15
	s_waitcnt lgkmcnt(0)
	ds_write_b128 v16, v[8:11] offset:48
.LBB190_42:
	s_or_b64 exec, exec, s[2:3]
	v_mul_u32_u24_e32 v1, 0x84, v12
	v_lshlrev_b32_e32 v17, 4, v0
	s_waitcnt lgkmcnt(0)
	s_barrier
	v_add_lshl_u32 v24, v1, v4, 4
	ds_read_b128 v[0:3], v17 offset:18176
	ds_read_b128 v[8:11], v24
	ds_read_b128 v[18:21], v17 offset:18192
	ds_read_b128 v[26:29], v17 offset:18208
	v_add_u32_e32 v25, 0xfffffbe0, v15
	ds_read_b128 v[30:33], v25
	ds_read_b128 v[44:47], v25 offset:528
	s_waitcnt lgkmcnt(4)
	v_mul_f64 v[22:23], v[2:3], v[10:11]
	v_fma_f64 v[22:23], v[0:1], v[8:9], -v[22:23]
	v_mul_f64 v[0:1], v[0:1], v[10:11]
	v_fmac_f64_e32 v[0:1], v[2:3], v[8:9]
	s_waitcnt lgkmcnt(1)
	v_mul_f64 v[10:11], v[18:19], v[32:33]
	v_add_f64 v[0:1], v[0:1], 0
	v_mul_f64 v[8:9], v[20:21], v[32:33]
	v_fmac_f64_e32 v[10:11], v[20:21], v[30:31]
	v_add_f64 v[2:3], v[22:23], 0
	v_fma_f64 v[8:9], v[18:19], v[30:31], -v[8:9]
	v_add_f64 v[20:21], v[0:1], v[10:11]
	s_waitcnt lgkmcnt(0)
	v_mul_f64 v[0:1], v[28:29], v[46:47]
	v_add_f64 v[18:19], v[2:3], v[8:9]
	v_fma_f64 v[22:23], v[26:27], v[44:45], -v[0:1]
	ds_read_b128 v[0:3], v17 offset:18224
	ds_read_b128 v[8:11], v15
	v_mul_f64 v[26:27], v[26:27], v[46:47]
	v_fmac_f64_e32 v[26:27], v[28:29], v[44:45]
	v_add_f64 v[18:19], v[18:19], v[22:23]
	v_add_f64 v[20:21], v[20:21], v[26:27]
	s_waitcnt lgkmcnt(0)
	v_mul_f64 v[22:23], v[2:3], v[10:11]
	v_mul_f64 v[10:11], v[0:1], v[10:11]
	v_fma_f64 v[22:23], v[0:1], v[8:9], -v[22:23]
	v_fmac_f64_e32 v[10:11], v[2:3], v[8:9]
	v_add_f64 v[0:1], v[18:19], v[22:23]
	v_add_f64 v[2:3], v[20:21], v[10:11]
	v_add_lshl_u32 v44, v12, v14, 4
	s_barrier
	ds_write_b128 v44, v[0:3]
	v_pk_mov_b32 v[0:1], 0, 0
	v_cmp_gt_u32_e64 s[2:3], 32, v42
	v_lshlrev_b32_e32 v43, 4, v14
	v_pk_mov_b32 v[2:3], v[0:1], v[0:1] op_sel:[0,1]
	s_waitcnt lgkmcnt(0)
	s_barrier
	s_and_saveexec_b64 s[14:15], s[2:3]
	s_cbranch_execz .LBB190_44
; %bb.43:
	ds_read_b128 v[0:3], v43
	ds_read_b128 v[8:11], v43 offset:16
	ds_read_b128 v[18:21], v43 offset:32
	;; [unrolled: 1-line block ×3, first 2 shown]
	s_waitcnt lgkmcnt(2)
	v_add_f64 v[0:1], v[8:9], v[0:1]
	v_add_f64 v[8:9], v[10:11], v[2:3]
	s_waitcnt lgkmcnt(1)
	v_add_f64 v[10:11], v[0:1], v[18:19]
	ds_read_b128 v[0:3], v43 offset:64
	v_add_f64 v[8:9], v[8:9], v[20:21]
	s_waitcnt lgkmcnt(1)
	v_add_f64 v[18:19], v[10:11], v[26:27]
	v_add_f64 v[22:23], v[8:9], v[28:29]
	ds_read_b128 v[8:11], v43 offset:80
	s_waitcnt lgkmcnt(1)
	v_add_f64 v[26:27], v[18:19], v[0:1]
	ds_read_b128 v[18:21], v43 offset:96
	v_add_f64 v[22:23], v[22:23], v[2:3]
	ds_read_b128 v[0:3], v43 offset:112
	s_waitcnt lgkmcnt(2)
	v_add_f64 v[8:9], v[26:27], v[8:9]
	v_add_f64 v[10:11], v[22:23], v[10:11]
	s_waitcnt lgkmcnt(1)
	v_add_f64 v[8:9], v[8:9], v[18:19]
	v_add_f64 v[10:11], v[10:11], v[20:21]
	s_waitcnt lgkmcnt(0)
	v_add_f64 v[0:1], v[8:9], v[0:1]
	v_add_f64 v[2:3], v[10:11], v[2:3]
.LBB190_44:
	s_or_b64 exec, exec, s[14:15]
	s_lshl_b64 s[14:15], s[24:25], 9
	v_mov_b32_e32 v8, s15
	v_add_co_u32_e32 v10, vcc, s14, v6
	v_addc_co_u32_e32 v11, vcc, v7, v8, vcc
	v_add_co_u32_e32 v8, vcc, 0x200, v10
	v_addc_co_u32_e32 v9, vcc, 0, v11, vcc
	s_and_b64 vcc, exec, s[30:31]
	s_barrier
	s_cbranch_vccz .LBB190_62
; %bb.45:
	v_or_b32_e32 v6, 32, v4
	v_lshlrev_b32_e32 v7, 4, v6
	v_sub_co_u32_e32 v7, vcc, v8, v7
	s_ashr_i32 s21, s20, 31
	v_subbrev_co_u32_e32 v18, vcc, 0, v9, vcc
	s_lshl_b64 s[34:35], s[20:21], 4
	v_mov_b32_e32 v19, s35
	v_add_co_u32_e32 v7, vcc, s34, v7
	v_addc_co_u32_e32 v18, vcc, v18, v19, vcc
	v_add_co_u32_e32 v19, vcc, -16, v7
	v_addc_co_u32_e32 v7, vcc, -1, v18, vcc
	v_cmp_gt_i32_e64 s[14:15], s20, v6
	s_sub_i32 s21, s20, 32
	v_cndmask_b32_e64 v7, v7, v9, s[14:15]
	v_cndmask_b32_e64 v6, v19, v8, s[14:15]
	v_cmp_le_i32_e32 vcc, s21, v12
	v_add_lshl_u32 v18, v5, v4, 4
	s_and_saveexec_b64 s[36:37], vcc
	s_xor_b64 s[36:37], exec, s[36:37]
	s_cbranch_execz .LBB190_47
; %bb.46:
	v_mov_b32_e32 v20, 0
	v_mov_b32_e32 v21, v20
	;; [unrolled: 1-line block ×4, first 2 shown]
	ds_write_b128 v18, v[20:23]
.LBB190_47:
	s_andn2_saveexec_b64 s[36:37], s[36:37]
	s_cbranch_execz .LBB190_49
; %bb.48:
	flat_load_dwordx4 v[20:23], v[6:7]
	s_waitcnt vmcnt(0) lgkmcnt(0)
	ds_write2_b64 v18, v[20:21], v[22:23] offset1:1
.LBB190_49:
	s_or_b64 exec, exec, s[36:37]
	v_add_u32_e32 v19, 8, v12
	v_cmp_le_i32_e32 vcc, s21, v19
	s_and_saveexec_b64 s[36:37], vcc
	s_xor_b64 s[36:37], exec, s[36:37]
	s_cbranch_execz .LBB190_51
; %bb.50:
	v_mul_u32_u24_e32 v19, 33, v19
	v_mov_b32_e32 v20, 0
	v_add_lshl_u32 v19, v19, v4, 4
	v_mov_b32_e32 v21, v20
	v_mov_b32_e32 v22, v20
	;; [unrolled: 1-line block ×3, first 2 shown]
	ds_write_b128 v19, v[20:23]
.LBB190_51:
	s_andn2_saveexec_b64 s[36:37], s[36:37]
	s_cbranch_execz .LBB190_53
; %bb.52:
	s_lshl_b64 s[40:41], s[24:25], 7
	v_mov_b32_e32 v19, s41
	v_add_co_u32_e32 v20, vcc, s40, v6
	v_addc_co_u32_e32 v21, vcc, v7, v19, vcc
	flat_load_dwordx4 v[20:23], v[20:21]
	v_add_u32_e32 v19, 0x1080, v18
	s_waitcnt vmcnt(0) lgkmcnt(0)
	ds_write2_b64 v19, v[20:21], v[22:23] offset1:1
.LBB190_53:
	s_or_b64 exec, exec, s[36:37]
	v_add_u32_e32 v19, 16, v12
	v_cmp_le_i32_e32 vcc, s21, v19
	s_and_saveexec_b64 s[36:37], vcc
	s_xor_b64 s[36:37], exec, s[36:37]
	s_cbranch_execz .LBB190_55
; %bb.54:
	v_mov_b32_e32 v20, 0
	v_mov_b32_e32 v21, v20
	;; [unrolled: 1-line block ×4, first 2 shown]
	ds_write_b128 v18, v[20:23] offset:8448
.LBB190_55:
	s_andn2_saveexec_b64 s[36:37], s[36:37]
	s_cbranch_execz .LBB190_57
; %bb.56:
	s_lshl_b64 s[40:41], s[24:25], 8
	v_mov_b32_e32 v19, s41
	v_add_co_u32_e32 v20, vcc, s40, v6
	v_addc_co_u32_e32 v21, vcc, v7, v19, vcc
	flat_load_dwordx4 v[20:23], v[20:21]
	v_add_u32_e32 v19, 0x2100, v18
	s_waitcnt vmcnt(0) lgkmcnt(0)
	ds_write2_b64 v19, v[20:21], v[22:23] offset1:1
.LBB190_57:
	s_or_b64 exec, exec, s[36:37]
	v_add_u32_e32 v19, 24, v12
	v_cmp_le_i32_e32 vcc, s21, v19
	s_and_saveexec_b64 s[36:37], vcc
	s_xor_b64 s[36:37], exec, s[36:37]
	s_cbranch_execz .LBB190_59
; %bb.58:
	v_mov_b32_e32 v20, 0
	v_mov_b32_e32 v21, v20
	;; [unrolled: 1-line block ×4, first 2 shown]
	ds_write_b128 v18, v[20:23] offset:12672
                                        ; implicit-def: $vgpr18
.LBB190_59:
	s_andn2_saveexec_b64 s[36:37], s[36:37]
	s_cbranch_execz .LBB190_61
; %bb.60:
	v_mov_b32_e32 v19, 0x180
	v_mad_u64_u32 v[20:21], s[40:41], s24, v19, v[6:7]
	v_add_u32_e32 v21, s39, v21
	flat_load_dwordx4 v[20:23], v[20:21]
	v_add_u32_e32 v18, 0x3180, v18
	s_waitcnt vmcnt(0) lgkmcnt(0)
	ds_write2_b64 v18, v[20:21], v[22:23] offset1:1
.LBB190_61:
	s_or_b64 exec, exec, s[36:37]
	v_add_co_u32_e32 v6, vcc, v6, v13
	v_addc_co_u32_e32 v7, vcc, 0, v7, vcc
	v_mov_b32_e32 v18, s35
	v_subrev_co_u32_e32 v6, vcc, s34, v6
	v_subb_co_u32_e32 v7, vcc, v7, v18, vcc
	v_add_co_u32_e32 v6, vcc, 0x210, v6
	v_addc_co_u32_e32 v7, vcc, 0, v7, vcc
	v_cndmask_b32_e64 v7, v7, v9, s[14:15]
	v_cndmask_b32_e64 v6, v6, v8, s[14:15]
	s_branch .LBB190_64
.LBB190_62:
                                        ; implicit-def: $vgpr6_vgpr7
	s_cbranch_execz .LBB190_64
; %bb.63:
	flat_load_dwordx4 v[18:21], v[8:9]
	s_lshl_b64 s[14:15], s[24:25], 7
	v_add_lshl_u32 v22, v5, v4, 4
	v_mov_b32_e32 v23, s15
	v_add_co_u32_e32 v6, vcc, s14, v10
	v_addc_co_u32_e32 v7, vcc, v11, v23, vcc
	v_add_u32_e32 v26, 0x1080, v22
	s_waitcnt vmcnt(0) lgkmcnt(0)
	ds_write2_b64 v22, v[18:19], v[20:21] offset1:1
	flat_load_dwordx4 v[18:21], v[6:7] offset:512
	v_add_co_u32_e32 v6, vcc, s14, v6
	v_addc_co_u32_e32 v7, vcc, v7, v23, vcc
	v_add_u32_e32 v23, 0x2100, v22
	s_waitcnt vmcnt(0) lgkmcnt(0)
	ds_write2_b64 v26, v[18:19], v[20:21] offset1:1
	flat_load_dwordx4 v[18:21], v[6:7] offset:512
	v_mov_b32_e32 v6, 0x180
	v_mad_u64_u32 v[6:7], s[14:15], s24, v6, v[10:11]
	v_add_u32_e32 v7, s39, v7
	s_waitcnt vmcnt(0) lgkmcnt(0)
	ds_write2_b64 v23, v[18:19], v[20:21] offset1:1
	flat_load_dwordx4 v[18:21], v[6:7] offset:512
	v_add_u32_e32 v6, 0x3180, v22
	s_waitcnt vmcnt(0) lgkmcnt(0)
	ds_write2_b64 v6, v[18:19], v[20:21] offset1:1
	v_pk_mov_b32 v[6:7], v[8:9], v[8:9] op_sel:[0,1]
.LBB190_64:
	s_waitcnt lgkmcnt(0)
	s_barrier
	s_and_saveexec_b64 s[14:15], s[16:17]
	s_cbranch_execnz .LBB190_89
; %bb.65:
	s_or_b64 exec, exec, s[14:15]
	s_and_saveexec_b64 s[14:15], s[8:9]
	s_cbranch_execnz .LBB190_90
.LBB190_66:
	s_or_b64 exec, exec, s[14:15]
	s_and_saveexec_b64 s[8:9], s[10:11]
	s_cbranch_execnz .LBB190_91
.LBB190_67:
	s_or_b64 exec, exec, s[8:9]
	v_add_u32_e32 v26, 0x4700, v17
	s_and_saveexec_b64 s[8:9], s[12:13]
	s_cbranch_execz .LBB190_69
.LBB190_68:
	ds_read_b128 v[8:11], v15
	s_waitcnt lgkmcnt(0)
	ds_write_b128 v16, v[8:11] offset:48
.LBB190_69:
	s_or_b64 exec, exec, s[8:9]
	s_waitcnt lgkmcnt(0)
	s_barrier
	ds_read_b128 v[8:11], v26 offset:512
	ds_read_b128 v[16:19], v24
	ds_read_b128 v[20:23], v26 offset:528
	ds_read_b128 v[28:31], v26 offset:544
	v_cmp_eq_u32_e64 s[8:9], 1, v12
	s_waitcnt lgkmcnt(2)
	v_mul_f64 v[32:33], v[10:11], v[18:19]
	v_fma_f64 v[40:41], v[8:9], v[16:17], -v[32:33]
	ds_read_b128 v[32:35], v26 offset:560
	ds_read_b128 v[46:49], v25
	v_mul_f64 v[8:9], v[8:9], v[18:19]
	v_fmac_f64_e32 v[8:9], v[10:11], v[16:17]
	v_add_f64 v[18:19], v[8:9], 0
	v_add_f64 v[16:17], v[40:41], 0
	s_waitcnt lgkmcnt(0)
	v_mul_f64 v[8:9], v[22:23], v[48:49]
	v_fma_f64 v[40:41], v[20:21], v[46:47], -v[8:9]
	v_mul_f64 v[20:21], v[20:21], v[48:49]
	ds_read_b128 v[8:11], v25 offset:528
	v_fmac_f64_e32 v[20:21], v[22:23], v[46:47]
	v_add_f64 v[22:23], v[16:17], v[40:41]
	v_add_f64 v[20:21], v[18:19], v[20:21]
	ds_read_b128 v[16:19], v15
	s_waitcnt lgkmcnt(1)
	v_mul_f64 v[40:41], v[30:31], v[10:11]
	v_mul_f64 v[10:11], v[28:29], v[10:11]
	v_fmac_f64_e32 v[10:11], v[30:31], v[8:9]
	v_fma_f64 v[40:41], v[28:29], v[8:9], -v[40:41]
	v_add_f64 v[10:11], v[20:21], v[10:11]
	s_waitcnt lgkmcnt(0)
	v_mul_f64 v[20:21], v[34:35], v[18:19]
	v_mul_f64 v[18:19], v[32:33], v[18:19]
	v_add_f64 v[8:9], v[22:23], v[40:41]
	v_fma_f64 v[20:21], v[32:33], v[16:17], -v[20:21]
	v_fmac_f64_e32 v[18:19], v[34:35], v[16:17]
	v_add_f64 v[8:9], v[8:9], v[20:21]
	v_add_f64 v[10:11], v[10:11], v[18:19]
	s_barrier
	ds_write_b128 v44, v[8:11]
	s_waitcnt lgkmcnt(0)
	s_barrier
	s_and_saveexec_b64 s[10:11], s[8:9]
	s_cbranch_execz .LBB190_71
; %bb.70:
	ds_read_b128 v[0:3], v43
	ds_read_b128 v[8:11], v43 offset:16
	ds_read_b128 v[16:19], v43 offset:32
	;; [unrolled: 1-line block ×3, first 2 shown]
	s_waitcnt lgkmcnt(2)
	v_add_f64 v[0:1], v[8:9], v[0:1]
	v_add_f64 v[8:9], v[10:11], v[2:3]
	s_waitcnt lgkmcnt(1)
	v_add_f64 v[10:11], v[0:1], v[16:17]
	ds_read_b128 v[0:3], v43 offset:64
	v_add_f64 v[8:9], v[8:9], v[18:19]
	s_waitcnt lgkmcnt(1)
	v_add_f64 v[16:17], v[10:11], v[20:21]
	v_add_f64 v[20:21], v[8:9], v[22:23]
	ds_read_b128 v[8:11], v43 offset:80
	s_waitcnt lgkmcnt(1)
	v_add_f64 v[22:23], v[16:17], v[0:1]
	ds_read_b128 v[16:19], v43 offset:96
	v_add_f64 v[20:21], v[20:21], v[2:3]
	ds_read_b128 v[0:3], v43 offset:112
	s_waitcnt lgkmcnt(2)
	v_add_f64 v[8:9], v[22:23], v[8:9]
	v_add_f64 v[10:11], v[20:21], v[10:11]
	s_waitcnt lgkmcnt(1)
	v_add_f64 v[8:9], v[8:9], v[16:17]
	v_add_f64 v[10:11], v[10:11], v[18:19]
	s_waitcnt lgkmcnt(0)
	v_add_f64 v[0:1], v[8:9], v[0:1]
	v_add_f64 v[2:3], v[10:11], v[2:3]
.LBB190_71:
	s_or_b64 exec, exec, s[10:11]
	v_add_co_u32_e32 v6, vcc, 0xfffffe00, v6
	v_addc_co_u32_e32 v7, vcc, -1, v7, vcc
	s_and_b64 vcc, exec, s[30:31]
	s_barrier
	s_cbranch_vccz .LBB190_92
; %bb.72:
	v_sub_co_u32_e32 v8, vcc, v6, v13
	s_ashr_i32 s21, s20, 31
	v_subbrev_co_u32_e32 v9, vcc, 0, v7, vcc
	s_lshl_b64 s[12:13], s[20:21], 4
	v_mov_b32_e32 v10, s13
	v_add_co_u32_e32 v8, vcc, s12, v8
	v_addc_co_u32_e32 v9, vcc, v9, v10, vcc
	v_add_co_u32_e32 v8, vcc, -16, v8
	v_addc_co_u32_e32 v9, vcc, -1, v9, vcc
	v_cmp_gt_i32_e32 vcc, s20, v4
	s_sub_i32 s16, s20, 32
	v_cndmask_b32_e32 v9, v9, v7, vcc
	v_cndmask_b32_e32 v8, v8, v6, vcc
	v_cmp_le_i32_e64 s[10:11], s16, v12
	v_add_lshl_u32 v17, v5, v4, 4
	s_and_saveexec_b64 s[14:15], s[10:11]
	s_xor_b64 s[10:11], exec, s[14:15]
	s_cbranch_execz .LBB190_74
; %bb.73:
	v_mov_b32_e32 v18, 0
	v_mov_b32_e32 v19, v18
	;; [unrolled: 1-line block ×4, first 2 shown]
	ds_write_b128 v17, v[18:21]
.LBB190_74:
	s_andn2_saveexec_b64 s[10:11], s[10:11]
	s_cbranch_execz .LBB190_76
; %bb.75:
	flat_load_dwordx4 v[18:21], v[8:9]
	s_waitcnt vmcnt(0) lgkmcnt(0)
	ds_write2_b64 v17, v[18:19], v[20:21] offset1:1
.LBB190_76:
	s_or_b64 exec, exec, s[10:11]
	v_add_u32_e32 v10, 8, v12
	v_cmp_le_i32_e64 s[10:11], s16, v10
	s_and_saveexec_b64 s[14:15], s[10:11]
	s_xor_b64 s[10:11], exec, s[14:15]
	s_cbranch_execz .LBB190_78
; %bb.77:
	v_mul_u32_u24_e32 v11, 33, v10
	v_mov_b32_e32 v18, 0
	v_add_lshl_u32 v11, v11, v4, 4
	v_mov_b32_e32 v19, v18
	v_mov_b32_e32 v20, v18
	v_mov_b32_e32 v21, v18
	ds_write_b128 v11, v[18:21]
.LBB190_78:
	s_andn2_saveexec_b64 s[14:15], s[10:11]
	s_cbranch_execz .LBB190_80
; %bb.79:
	s_lshl_b64 s[10:11], s[24:25], 7
	v_mov_b32_e32 v11, s11
	v_add_co_u32_e64 v18, s[10:11], s10, v8
	v_addc_co_u32_e64 v19, s[10:11], v9, v11, s[10:11]
	flat_load_dwordx4 v[18:21], v[18:19]
	v_add_u32_e32 v11, 0x1080, v17
	s_waitcnt vmcnt(0) lgkmcnt(0)
	ds_write2_b64 v11, v[18:19], v[20:21] offset1:1
.LBB190_80:
	s_or_b64 exec, exec, s[14:15]
	v_add_u32_e32 v11, 16, v12
	v_cmp_le_i32_e64 s[10:11], s16, v11
	s_and_saveexec_b64 s[14:15], s[10:11]
	s_xor_b64 s[10:11], exec, s[14:15]
	s_cbranch_execz .LBB190_82
; %bb.81:
	v_mov_b32_e32 v18, 0
	v_mov_b32_e32 v19, v18
	;; [unrolled: 1-line block ×4, first 2 shown]
	ds_write_b128 v17, v[18:21] offset:8448
.LBB190_82:
	s_andn2_saveexec_b64 s[14:15], s[10:11]
	s_cbranch_execz .LBB190_84
; %bb.83:
	s_lshl_b64 s[10:11], s[24:25], 8
	v_mov_b32_e32 v16, s11
	v_add_co_u32_e64 v18, s[10:11], s10, v8
	v_addc_co_u32_e64 v19, s[10:11], v9, v16, s[10:11]
	flat_load_dwordx4 v[18:21], v[18:19]
	v_add_u32_e32 v16, 0x2100, v17
	s_waitcnt vmcnt(0) lgkmcnt(0)
	ds_write2_b64 v16, v[18:19], v[20:21] offset1:1
.LBB190_84:
	s_or_b64 exec, exec, s[14:15]
	v_add_u32_e32 v16, 24, v12
	v_cmp_le_i32_e64 s[10:11], s16, v16
	s_and_saveexec_b64 s[14:15], s[10:11]
	s_xor_b64 s[10:11], exec, s[14:15]
	s_cbranch_execz .LBB190_86
; %bb.85:
	v_mov_b32_e32 v18, 0
	v_mov_b32_e32 v19, v18
	;; [unrolled: 1-line block ×4, first 2 shown]
	ds_write_b128 v17, v[18:21] offset:12672
                                        ; implicit-def: $vgpr17
.LBB190_86:
	s_andn2_saveexec_b64 s[10:11], s[10:11]
	s_cbranch_execz .LBB190_88
; %bb.87:
	v_mov_b32_e32 v18, 0x180
	v_mad_u64_u32 v[18:19], s[14:15], s24, v18, v[8:9]
	v_add_u32_e32 v19, s39, v19
	flat_load_dwordx4 v[18:21], v[18:19]
	v_add_u32_e32 v17, 0x3180, v17
	s_waitcnt vmcnt(0) lgkmcnt(0)
	ds_write2_b64 v17, v[18:19], v[20:21] offset1:1
.LBB190_88:
	s_or_b64 exec, exec, s[10:11]
	v_add_co_u32_e64 v8, s[10:11], v8, v13
	v_addc_co_u32_e64 v9, s[10:11], 0, v9, s[10:11]
	v_mov_b32_e32 v13, s13
	v_subrev_co_u32_e64 v8, s[10:11], s12, v8
	v_subb_co_u32_e64 v9, s[10:11], v9, v13, s[10:11]
	v_add_co_u32_e64 v8, s[10:11], 16, v8
	v_addc_co_u32_e64 v9, s[10:11], 0, v9, s[10:11]
	v_cndmask_b32_e32 v41, v9, v7, vcc
	v_cndmask_b32_e32 v40, v8, v6, vcc
	s_branch .LBB190_94
.LBB190_89:
	ds_read_b128 v[8:11], v24
	s_waitcnt lgkmcnt(0)
	ds_write_b128 v16, v[8:11]
	s_or_b64 exec, exec, s[14:15]
	s_and_saveexec_b64 s[14:15], s[8:9]
	s_cbranch_execz .LBB190_66
.LBB190_90:
	ds_read_b128 v[8:11], v25
	s_waitcnt lgkmcnt(0)
	ds_write_b128 v16, v[8:11] offset:16
	s_or_b64 exec, exec, s[14:15]
	s_and_saveexec_b64 s[8:9], s[10:11]
	s_cbranch_execz .LBB190_67
.LBB190_91:
	v_add_u32_e32 v8, 0x210, v25
	ds_read_b128 v[8:11], v8
	s_waitcnt lgkmcnt(0)
	ds_write_b128 v16, v[8:11] offset:32
	s_or_b64 exec, exec, s[8:9]
	v_add_u32_e32 v26, 0x4700, v17
	s_and_saveexec_b64 s[8:9], s[12:13]
	s_cbranch_execnz .LBB190_68
	s_branch .LBB190_69
.LBB190_92:
                                        ; implicit-def: $vgpr40_vgpr41
                                        ; implicit-def: $vgpr10
                                        ; implicit-def: $vgpr11
                                        ; implicit-def: $vgpr16
	s_cbranch_execz .LBB190_94
; %bb.93:
	flat_load_dwordx4 v[8:11], v[6:7]
	s_lshl_b64 s[10:11], s[24:25], 7
	v_add_lshl_u32 v13, v5, v4, 4
	v_mov_b32_e32 v16, s11
	v_add_co_u32_e32 v4, vcc, s10, v6
	v_addc_co_u32_e32 v5, vcc, v7, v16, vcc
	v_add_u32_e32 v17, 0x1080, v13
	v_pk_mov_b32 v[40:41], v[6:7], v[6:7] op_sel:[0,1]
	s_waitcnt vmcnt(0) lgkmcnt(0)
	ds_write2_b64 v13, v[8:9], v[10:11] offset1:1
	flat_load_dwordx4 v[8:11], v[4:5]
	v_add_co_u32_e32 v4, vcc, s10, v4
	v_addc_co_u32_e32 v5, vcc, v5, v16, vcc
	v_add_u32_e32 v16, 0x2100, v13
	s_waitcnt vmcnt(0) lgkmcnt(0)
	ds_write2_b64 v17, v[8:9], v[10:11] offset1:1
	flat_load_dwordx4 v[8:11], v[4:5]
	v_mov_b32_e32 v4, 0x180
	v_mad_u64_u32 v[4:5], s[10:11], s24, v4, v[6:7]
	v_add_u32_e32 v5, s39, v5
	s_waitcnt vmcnt(0) lgkmcnt(0)
	ds_write2_b64 v16, v[8:9], v[10:11] offset1:1
	flat_load_dwordx4 v[18:21], v[4:5]
	v_add_u32_e32 v10, 8, v12
	v_add_u32_e32 v11, 16, v12
	;; [unrolled: 1-line block ×4, first 2 shown]
	s_waitcnt vmcnt(0) lgkmcnt(0)
	ds_write2_b64 v4, v[18:19], v[20:21] offset1:1
.LBB190_94:
	v_lshlrev_b32_e32 v4, 4, v12
	s_waitcnt lgkmcnt(0)
	s_barrier
	ds_read_b128 v[46:49], v44
	ds_read_b128 v[50:53], v4 offset:18176
	v_add_lshl_u32 v4, v10, v14, 4
	v_lshlrev_b32_e32 v10, 4, v10
	ds_read_b128 v[54:57], v4
	ds_read_b128 v[4:7], v25 offset:528
	ds_read_b128 v[58:61], v10 offset:18176
	s_waitcnt lgkmcnt(3)
	v_mul_f64 v[8:9], v[48:49], v[52:53]
	v_fma_f64 v[8:9], v[46:47], v[50:51], -v[8:9]
	v_add_f64 v[8:9], v[8:9], 0
	v_add_lshl_u32 v10, v11, v14, 4
	s_waitcnt lgkmcnt(0)
	v_mul_f64 v[12:13], v[56:57], v[60:61]
	v_fma_f64 v[12:13], v[54:55], v[58:59], -v[12:13]
	v_add_f64 v[8:9], v[8:9], v[12:13]
	v_lshlrev_b32_e32 v12, 4, v16
	ds_read_b128 v[62:65], v10
	ds_read_b128 v[70:73], v12 offset:18176
	v_lshlrev_b32_e32 v10, 4, v11
	ds_read_b128 v[66:69], v10 offset:18176
	v_add_lshl_u32 v10, v16, v14, 4
	v_mul_f64 v[74:75], v[46:47], v[52:53]
	v_mul_f64 v[60:61], v[54:55], v[60:61]
	ds_read_b128 v[52:55], v10
	s_waitcnt lgkmcnt(1)
	v_mul_f64 v[10:11], v[64:65], v[68:69]
	v_fma_f64 v[10:11], v[62:63], v[66:67], -v[10:11]
	v_add_f64 v[12:13], v[8:9], v[10:11]
	ds_read_b128 v[8:11], v15
	s_waitcnt lgkmcnt(1)
	v_mul_f64 v[14:15], v[54:55], v[72:73]
	v_fma_f64 v[14:15], v[52:53], v[70:71], -v[14:15]
	v_add_f64 v[46:47], v[12:13], v[14:15]
	ds_read_b128 v[20:23], v26 offset:528
	ds_read_b128 v[16:19], v26 offset:544
	;; [unrolled: 1-line block ×3, first 2 shown]
	ds_read_b128 v[32:35], v24
	ds_read_b128 v[12:15], v26 offset:560
	ds_read_b128 v[24:27], v25
	v_fmac_f64_e32 v[74:75], v[48:49], v[50:51]
	v_mul_f64 v[62:63], v[62:63], v[68:69]
	v_add_f64 v[48:49], v[74:75], 0
	v_fmac_f64_e32 v[60:61], v[56:57], v[58:59]
	v_mul_f64 v[52:53], v[52:53], v[72:73]
	v_add_f64 v[48:49], v[48:49], v[60:61]
	v_fmac_f64_e32 v[62:63], v[64:65], v[66:67]
	v_add_f64 v[48:49], v[48:49], v[62:63]
	v_fmac_f64_e32 v[52:53], v[54:55], v[70:71]
	v_add_f64 v[48:49], v[48:49], v[52:53]
	s_waitcnt lgkmcnt(0)
	s_barrier
	ds_write_b128 v44, v[46:49]
	s_waitcnt lgkmcnt(0)
	s_barrier
	s_and_saveexec_b64 s[10:11], s[8:9]
	s_cbranch_execz .LBB190_96
; %bb.95:
	ds_read_b128 v[46:49], v43
	ds_read_b128 v[50:53], v43 offset:16
	ds_read_b128 v[54:57], v43 offset:32
	;; [unrolled: 1-line block ×3, first 2 shown]
	s_waitcnt lgkmcnt(3)
	v_add_f64 v[0:1], v[0:1], v[46:47]
	v_add_f64 v[2:3], v[2:3], v[48:49]
	s_waitcnt lgkmcnt(2)
	v_add_f64 v[0:1], v[0:1], v[50:51]
	v_add_f64 v[46:47], v[2:3], v[52:53]
	s_waitcnt lgkmcnt(1)
	v_add_f64 v[48:49], v[0:1], v[54:55]
	ds_read_b128 v[0:3], v43 offset:64
	v_add_f64 v[46:47], v[46:47], v[56:57]
	s_waitcnt lgkmcnt(1)
	v_add_f64 v[50:51], v[48:49], v[58:59]
	v_add_f64 v[54:55], v[46:47], v[60:61]
	ds_read_b128 v[46:49], v43 offset:80
	s_waitcnt lgkmcnt(1)
	v_add_f64 v[56:57], v[50:51], v[0:1]
	ds_read_b128 v[50:53], v43 offset:96
	v_add_f64 v[54:55], v[54:55], v[2:3]
	ds_read_b128 v[0:3], v43 offset:112
	s_waitcnt lgkmcnt(2)
	v_add_f64 v[46:47], v[56:57], v[46:47]
	v_add_f64 v[48:49], v[54:55], v[48:49]
	s_waitcnt lgkmcnt(1)
	v_add_f64 v[46:47], v[46:47], v[50:51]
	v_add_f64 v[48:49], v[48:49], v[52:53]
	s_waitcnt lgkmcnt(0)
	v_add_f64 v[0:1], v[46:47], v[0:1]
	v_add_f64 v[2:3], v[48:49], v[2:3]
.LBB190_96:
	s_or_b64 exec, exec, s[10:11]
	v_mul_f64 v[46:47], v[30:31], v[34:35]
	v_fma_f64 v[46:47], v[28:29], v[32:33], -v[46:47]
	v_mul_f64 v[28:29], v[28:29], v[34:35]
	v_fmac_f64_e32 v[28:29], v[30:31], v[32:33]
	v_mul_f64 v[32:33], v[22:23], v[26:27]
	v_fma_f64 v[32:33], v[20:21], v[24:25], -v[32:33]
	v_mul_f64 v[20:21], v[20:21], v[26:27]
	v_add_f64 v[30:31], v[46:47], 0
	v_add_f64 v[28:29], v[28:29], 0
	v_fmac_f64_e32 v[20:21], v[22:23], v[24:25]
	v_mul_f64 v[24:25], v[18:19], v[6:7]
	v_mul_f64 v[6:7], v[16:17], v[6:7]
	v_add_f64 v[22:23], v[30:31], v[32:33]
	v_add_f64 v[20:21], v[28:29], v[20:21]
	v_fma_f64 v[24:25], v[16:17], v[4:5], -v[24:25]
	v_fmac_f64_e32 v[6:7], v[18:19], v[4:5]
	v_mul_f64 v[16:17], v[14:15], v[10:11]
	v_mul_f64 v[10:11], v[12:13], v[10:11]
	v_add_f64 v[4:5], v[22:23], v[24:25]
	v_add_f64 v[6:7], v[20:21], v[6:7]
	v_fma_f64 v[16:17], v[12:13], v[8:9], -v[16:17]
	v_fmac_f64_e32 v[10:11], v[14:15], v[8:9]
	v_add_f64 v[4:5], v[4:5], v[16:17]
	v_add_f64 v[6:7], v[6:7], v[10:11]
	s_barrier
	ds_write_b128 v44, v[4:7]
	s_waitcnt lgkmcnt(0)
	s_barrier
	s_and_saveexec_b64 s[8:9], s[2:3]
	s_cbranch_execz .LBB190_98
; %bb.97:
	ds_read_b128 v[4:7], v43
	ds_read_b128 v[8:11], v43 offset:16
	ds_read_b128 v[12:15], v43 offset:32
	;; [unrolled: 1-line block ×3, first 2 shown]
	s_waitcnt lgkmcnt(3)
	v_add_f64 v[0:1], v[0:1], v[4:5]
	v_add_f64 v[2:3], v[2:3], v[6:7]
	s_waitcnt lgkmcnt(2)
	v_add_f64 v[0:1], v[0:1], v[8:9]
	v_add_f64 v[4:5], v[2:3], v[10:11]
	s_waitcnt lgkmcnt(1)
	v_add_f64 v[6:7], v[0:1], v[12:13]
	ds_read_b128 v[0:3], v43 offset:64
	v_add_f64 v[4:5], v[4:5], v[14:15]
	s_waitcnt lgkmcnt(1)
	v_add_f64 v[8:9], v[6:7], v[16:17]
	v_add_f64 v[12:13], v[4:5], v[18:19]
	ds_read_b128 v[4:7], v43 offset:80
	s_waitcnt lgkmcnt(1)
	v_add_f64 v[14:15], v[8:9], v[0:1]
	ds_read_b128 v[8:11], v43 offset:96
	v_add_f64 v[12:13], v[12:13], v[2:3]
	ds_read_b128 v[0:3], v43 offset:112
	s_waitcnt lgkmcnt(2)
	v_add_f64 v[4:5], v[14:15], v[4:5]
	v_add_f64 v[6:7], v[12:13], v[6:7]
	s_waitcnt lgkmcnt(1)
	v_add_f64 v[4:5], v[4:5], v[8:9]
	v_add_f64 v[6:7], v[6:7], v[10:11]
	s_waitcnt lgkmcnt(0)
	v_add_f64 v[0:1], v[4:5], v[0:1]
	v_add_f64 v[2:3], v[6:7], v[2:3]
.LBB190_98:
	s_or_b64 exec, exec, s[8:9]
	s_load_dwordx2 s[2:3], s[4:5], 0x78
	s_mul_hi_u32 s4, s33, s26
	s_mul_i32 s38, s38, s26
	s_add_i32 s4, s4, s38
	s_mul_i32 s8, s33, s26
	s_mul_i32 s4, s4, s7
	s_mul_hi_u32 s5, s8, s7
	s_add_i32 s5, s5, s4
	s_mul_i32 s4, s8, s7
	s_lshl_b64 s[4:5], s[4:5], 4
	s_waitcnt lgkmcnt(0)
	s_add_u32 s4, s2, s4
	s_addc_u32 s5, s3, s5
	s_mul_hi_i32 s3, s33, s6
	s_mul_i32 s2, s33, s6
	s_lshl_b64 s[2:3], s[2:3], 4
	s_add_u32 s21, s4, s2
	s_addc_u32 s26, s5, s3
	s_add_i32 s2, s6, 1
	s_cmp_ge_u32 s2, s7
	v_lshlrev_b32_e32 v168, 4, v201
	s_barrier
	s_cbranch_scc1 .LBB190_156
; %bb.99:
	s_mul_i32 s2, s28, s19
	s_mul_hi_u32 s3, s28, s18
	s_add_i32 s2, s3, s2
	s_mul_i32 s3, s29, s18
	s_add_i32 s3, s2, s3
	s_mul_i32 s2, s28, s18
	s_lshl_b64 s[2:3], s[2:3], 4
	v_mov_b32_e32 v4, s3
	v_subrev_co_u32_e32 v204, vcc, s2, v38
	v_and_b32_e32 v6, 48, v201
	v_subb_co_u32_e32 v205, vcc, v39, v4, vcc
	v_and_b32_e32 v4, 15, v201
	v_lshlrev_b32_e32 v7, 4, v6
	s_movk_i32 s4, 0x430
	v_lshrrev_b32_e32 v5, 4, v42
	v_mad_u32_u24 v208, v4, s4, v7
	v_or_b32_e32 v7, 0xf0, v168
	v_mad_u32_u24 v209, v4, s4, v7
	v_lshlrev_b32_e32 v7, 6, v5
	v_lshlrev_b32_e32 v10, 6, v202
	v_mad_u32_u24 v210, v4, s4, v7
	s_movk_i32 s4, 0x10c0
	v_mul_i32_i24_e32 v11, 0xffffffd0, v5
	v_add_u32_e32 v5, 0x220, v10
	v_mad_u32_u24 v215, v202, s4, v168
	v_or_b32_e32 v228, v6, v4
	v_mad_u64_u32 v[6:7], s[4:5], s24, v5, 0
	v_mov_b32_e32 v8, v7
	v_mad_u64_u32 v[8:9], s[4:5], s25, v5, v[8:9]
	v_mov_b32_e32 v5, v8
	v_sub_co_u32_e32 v6, vcc, v6, v36
	v_subb_co_u32_e32 v5, vcc, v5, v37, vcc
	v_add_co_u32_e32 v170, vcc, v40, v6
	v_addc_co_u32_e32 v169, vcc, v41, v5, vcc
	v_add_u32_e32 v5, 0x530, v10
	v_mad_u64_u32 v[6:7], s[4:5], s24, v5, 0
	v_mov_b32_e32 v8, v7
	v_mad_u64_u32 v[8:9], s[4:5], s25, v5, v[8:9]
	v_mov_b32_e32 v5, v8
	v_sub_co_u32_e32 v6, vcc, v6, v36
	v_subb_co_u32_e32 v5, vcc, v5, v37, vcc
	v_add_co_u32_e32 v172, vcc, v40, v6
	v_addc_co_u32_e32 v171, vcc, v41, v5, vcc
	v_add_u32_e32 v5, 0x210, v10
	;; [unrolled: 9-line block ×15, first 2 shown]
	v_mad_u64_u32 v[6:7], s[4:5], s24, v5, 0
	v_mov_b32_e32 v8, v7
	v_mad_u64_u32 v[8:9], s[4:5], s25, v5, v[8:9]
	v_mov_b32_e32 v5, v8
	v_sub_co_u32_e32 v6, vcc, v6, v36
	v_subb_co_u32_e32 v5, vcc, v5, v37, vcc
	v_lshlrev_b32_e32 v203, 2, v202
	v_add_co_u32_e32 v200, vcc, v40, v6
	s_add_i32 s29, s7, -2
	v_add_u32_e32 v206, 0x4300, v168
	v_add_u32_e32 v207, 0x4700, v168
	v_cmp_gt_u32_e64 s[2:3], 64, v42
	v_or_b32_e32 v211, 1, v203
	v_or_b32_e32 v212, 2, v203
	;; [unrolled: 1-line block ×3, first 2 shown]
	v_add_u32_e32 v214, 0x4300, v10
	v_add_u32_e32 v216, 16, v203
	;; [unrolled: 1-line block ×13, first 2 shown]
	s_add_i32 s28, s28, 64
	v_mov_b32_e32 v4, 0
	s_lshl_b64 s[10:11], s[24:25], 10
	v_addc_co_u32_e32 v199, vcc, v41, v5, vcc
	v_add_u32_e32 v229, v210, v11
	s_cmp_eq_u32 s29, s6
	s_cselect_b32 s24, s27, 0
	s_and_saveexec_b64 s[4:5], s[0:1]
	s_cbranch_execz .LBB190_104
.LBB190_100:
	s_cmp_lg_u32 s24, 0
	s_cselect_b64 s[8:9], -1, 0
	v_cmp_le_i32_e32 vcc, s24, v201
	s_and_b64 s[8:9], s[8:9], vcc
	s_and_saveexec_b64 s[12:13], s[8:9]
	s_xor_b64 s[8:9], exec, s[12:13]
	s_cbranch_execz .LBB190_102
; %bb.101:
	v_mov_b32_e32 v5, v4
	v_mov_b32_e32 v6, v4
	;; [unrolled: 1-line block ×3, first 2 shown]
	ds_write_b128 v206, v[4:7]
.LBB190_102:
	s_andn2_saveexec_b64 s[8:9], s[8:9]
	s_cbranch_execz .LBB190_104
; %bb.103:
	s_ashr_i32 s8, s28, 31
	s_mul_i32 s9, s28, s19
	s_mul_hi_u32 s12, s28, s18
	s_add_i32 s9, s12, s9
	s_mul_i32 s8, s8, s18
	s_add_i32 s9, s9, s8
	s_mul_i32 s8, s28, s18
	s_lshl_b64 s[8:9], s[8:9], 4
	v_mov_b32_e32 v5, s9
	v_add_co_u32_e32 v6, vcc, s8, v204
	v_addc_co_u32_e32 v7, vcc, v205, v5, vcc
	flat_load_dwordx4 v[6:9], v[6:7]
	s_waitcnt vmcnt(0) lgkmcnt(0)
	ds_write2_b64 v206, v[6:7], v[8:9] offset1:1
.LBB190_104:                            ; =>This Inner Loop Header: Depth=1
	s_or_b64 exec, exec, s[4:5]
	s_cmp_eq_u32 s24, 0
	v_add_co_u32_e32 v18, vcc, v178, v168
	s_cselect_b64 s[12:13], -1, 0
	s_cmp_lg_u32 s24, 0
	v_addc_co_u32_e32 v19, vcc, 0, v177, vcc
	s_cselect_b64 s[8:9], -1, 0
	s_and_b64 vcc, exec, s[8:9]
	s_waitcnt lgkmcnt(0)
	s_barrier
	s_cbranch_vccz .LBB190_112
; %bb.105:                              ;   in Loop: Header=BB190_104 Depth=1
	v_pk_mov_b32 v[10:11], 0, 0
	v_cmp_gt_i32_e32 vcc, s24, v203
	v_pk_mov_b32 v[6:7], v[10:11], v[10:11] op_sel:[0,1]
	v_pk_mov_b32 v[8:9], v[10:11], v[10:11] op_sel:[0,1]
	s_and_saveexec_b64 s[4:5], vcc
	s_cbranch_execz .LBB190_107
; %bb.106:                              ;   in Loop: Header=BB190_104 Depth=1
	flat_load_dwordx4 v[6:9], v[18:19]
.LBB190_107:                            ;   in Loop: Header=BB190_104 Depth=1
	s_or_b64 exec, exec, s[4:5]
	v_cmp_gt_i32_e32 vcc, s24, v211
	v_pk_mov_b32 v[12:13], v[10:11], v[10:11] op_sel:[0,1]
	s_and_saveexec_b64 s[4:5], vcc
	s_cbranch_execz .LBB190_109
; %bb.108:                              ;   in Loop: Header=BB190_104 Depth=1
	v_add_co_u32_e32 v10, vcc, v174, v168
	v_addc_co_u32_e32 v11, vcc, 0, v173, vcc
	flat_load_dwordx4 v[10:13], v[10:11]
.LBB190_109:                            ;   in Loop: Header=BB190_104 Depth=1
	s_or_b64 exec, exec, s[4:5]
	v_pk_mov_b32 v[14:15], 0, 0
	v_cmp_gt_i32_e32 vcc, s24, v212
	s_mov_b64 s[16:17], 0
	v_pk_mov_b32 v[16:17], v[14:15], v[14:15] op_sel:[0,1]
	s_and_saveexec_b64 s[4:5], vcc
	s_cbranch_execz .LBB190_111
; %bb.110:                              ;   in Loop: Header=BB190_104 Depth=1
	v_add_co_u32_e32 v14, vcc, v170, v168
	v_addc_co_u32_e32 v15, vcc, 0, v169, vcc
	flat_load_dwordx4 v[14:17], v[14:15]
.LBB190_111:                            ;   in Loop: Header=BB190_104 Depth=1
	s_or_b64 exec, exec, s[4:5]
	v_cmp_gt_i32_e64 s[4:5], s24, v213
	s_mov_b64 s[14:15], 0
	s_and_b64 vcc, exec, s[16:17]
	s_cbranch_vccnz .LBB190_113
	s_branch .LBB190_114
.LBB190_112:                            ;   in Loop: Header=BB190_104 Depth=1
	s_mov_b64 s[4:5], 0
                                        ; implicit-def: $sgpr14_sgpr15
                                        ; implicit-def: $vgpr16_vgpr17
                                        ; implicit-def: $vgpr12_vgpr13
                                        ; implicit-def: $vgpr8_vgpr9
	s_cbranch_execz .LBB190_114
.LBB190_113:                            ;   in Loop: Header=BB190_104 Depth=1
	s_waitcnt vmcnt(0) lgkmcnt(0)
	v_add_co_u32_e32 v10, vcc, v174, v168
	v_addc_co_u32_e32 v11, vcc, 0, v173, vcc
	v_add_co_u32_e32 v14, vcc, v170, v168
	v_addc_co_u32_e32 v15, vcc, 0, v169, vcc
	flat_load_dwordx4 v[6:9], v[18:19]
	s_or_b64 s[4:5], s[4:5], exec
	flat_load_dwordx4 v[10:13], v[10:11]
                                        ; implicit-def: $sgpr14_sgpr15
	s_nop 0
	flat_load_dwordx4 v[14:17], v[14:15]
.LBB190_114:                            ;   in Loop: Header=BB190_104 Depth=1
	v_pk_mov_b32 v[18:19], s[14:15], s[14:15] op_sel:[0,1]
	v_pk_mov_b32 v[20:21], s[14:15], s[14:15] op_sel:[0,1]
	s_and_saveexec_b64 s[14:15], s[4:5]
	s_cbranch_execz .LBB190_116
; %bb.115:                              ;   in Loop: Header=BB190_104 Depth=1
	v_add_co_u32_e32 v18, vcc, v182, v168
	v_addc_co_u32_e32 v19, vcc, 0, v181, vcc
	flat_load_dwordx4 v[18:21], v[18:19]
.LBB190_116:                            ;   in Loop: Header=BB190_104 Depth=1
	s_or_b64 exec, exec, s[14:15]
	ds_read_b128 v[34:37], v207
	ds_read_b128 v[22:25], v214
	v_cndmask_b32_e64 v5, 0, 1, s[8:9]
	s_andn2_b64 vcc, exec, s[8:9]
	v_add_co_u32_e64 v50, s[8:9], v194, v168
	s_waitcnt vmcnt(0) lgkmcnt(0)
	v_mul_f64 v[26:27], v[8:9], v[36:37]
	v_mul_f64 v[28:29], v[6:7], v[36:37]
	;; [unrolled: 1-line block ×3, first 2 shown]
	v_fma_f64 v[26:27], v[6:7], v[34:35], -v[26:27]
	v_fmac_f64_e32 v[28:29], v[8:9], v[34:35]
	v_mul_f64 v[32:33], v[10:11], v[36:37]
	ds_write_b128 v215, v[26:29]
	v_fma_f64 v[30:31], v[10:11], v[34:35], -v[30:31]
	v_fmac_f64_e32 v[32:33], v[12:13], v[34:35]
	v_mul_f64 v[38:39], v[16:17], v[36:37]
	v_mul_f64 v[40:41], v[14:15], v[36:37]
	ds_read_b128 v[26:29], v214 offset:16
	ds_write_b128 v215, v[30:33] offset:1072
	v_fma_f64 v[38:39], v[14:15], v[34:35], -v[38:39]
	v_fmac_f64_e32 v[40:41], v[16:17], v[34:35]
	v_mul_f64 v[42:43], v[20:21], v[36:37]
	v_mul_f64 v[44:45], v[18:19], v[36:37]
	ds_read_b128 v[30:33], v214 offset:32
	ds_write_b128 v215, v[38:41] offset:2144
	v_fma_f64 v[42:43], v[18:19], v[34:35], -v[42:43]
	v_fmac_f64_e32 v[44:45], v[20:21], v[34:35]
	ds_read_b128 v[38:41], v214 offset:48
	ds_write_b128 v215, v[42:45] offset:3216
	s_waitcnt lgkmcnt(0)
	s_barrier
	ds_read_b128 v[94:97], v210
	ds_read_b128 v[90:93], v210 offset:16
	ds_read_b128 v[86:89], v210 offset:32
	;; [unrolled: 1-line block ×3, first 2 shown]
	v_cmp_ne_u32_e64 s[4:5], 1, v5
	v_addc_co_u32_e64 v51, s[8:9], 0, v193, s[8:9]
	s_waitcnt lgkmcnt(0)
	s_barrier
	s_cbranch_vccnz .LBB190_124
; %bb.117:                              ;   in Loop: Header=BB190_104 Depth=1
	v_pk_mov_b32 v[42:43], 0, 0
	v_cmp_gt_i32_e32 vcc, s24, v216
	v_pk_mov_b32 v[34:35], v[42:43], v[42:43] op_sel:[0,1]
	v_pk_mov_b32 v[36:37], v[42:43], v[42:43] op_sel:[0,1]
	s_and_saveexec_b64 s[8:9], vcc
	s_cbranch_execz .LBB190_119
; %bb.118:                              ;   in Loop: Header=BB190_104 Depth=1
	flat_load_dwordx4 v[34:37], v[50:51]
.LBB190_119:                            ;   in Loop: Header=BB190_104 Depth=1
	s_or_b64 exec, exec, s[8:9]
	v_cmp_gt_i32_e32 vcc, s24, v217
	v_pk_mov_b32 v[44:45], v[42:43], v[42:43] op_sel:[0,1]
	s_and_saveexec_b64 s[8:9], vcc
	s_cbranch_execz .LBB190_121
; %bb.120:                              ;   in Loop: Header=BB190_104 Depth=1
	v_add_co_u32_e32 v42, vcc, v190, v168
	v_addc_co_u32_e32 v43, vcc, 0, v189, vcc
	flat_load_dwordx4 v[42:45], v[42:43]
.LBB190_121:                            ;   in Loop: Header=BB190_104 Depth=1
	s_or_b64 exec, exec, s[8:9]
	v_pk_mov_b32 v[46:47], 0, 0
	v_cmp_gt_i32_e32 vcc, s24, v218
	s_mov_b64 s[16:17], 0
	v_pk_mov_b32 v[48:49], v[46:47], v[46:47] op_sel:[0,1]
	s_and_saveexec_b64 s[8:9], vcc
	s_cbranch_execz .LBB190_123
; %bb.122:                              ;   in Loop: Header=BB190_104 Depth=1
	v_add_co_u32_e32 v46, vcc, v184, v168
	v_addc_co_u32_e32 v47, vcc, 0, v183, vcc
	flat_load_dwordx4 v[46:49], v[46:47]
.LBB190_123:                            ;   in Loop: Header=BB190_104 Depth=1
	s_or_b64 exec, exec, s[8:9]
	v_cmp_gt_i32_e64 s[8:9], s24, v219
	s_mov_b64 s[14:15], 0
	s_and_b64 vcc, exec, s[16:17]
	s_cbranch_vccnz .LBB190_125
	s_branch .LBB190_126
.LBB190_124:                            ;   in Loop: Header=BB190_104 Depth=1
	s_mov_b64 s[8:9], 0
                                        ; implicit-def: $sgpr14_sgpr15
                                        ; implicit-def: $vgpr48_vgpr49
                                        ; implicit-def: $vgpr44_vgpr45
                                        ; implicit-def: $vgpr36_vgpr37
	s_cbranch_execz .LBB190_126
.LBB190_125:                            ;   in Loop: Header=BB190_104 Depth=1
	s_waitcnt vmcnt(0) lgkmcnt(0)
	v_add_co_u32_e32 v42, vcc, v190, v168
	v_addc_co_u32_e32 v43, vcc, 0, v189, vcc
	v_add_co_u32_e32 v46, vcc, v184, v168
	v_addc_co_u32_e32 v47, vcc, 0, v183, vcc
	flat_load_dwordx4 v[34:37], v[50:51]
	s_or_b64 s[8:9], s[8:9], exec
	flat_load_dwordx4 v[42:45], v[42:43]
                                        ; implicit-def: $sgpr14_sgpr15
	s_nop 0
	flat_load_dwordx4 v[46:49], v[46:47]
.LBB190_126:                            ;   in Loop: Header=BB190_104 Depth=1
	v_pk_mov_b32 v[50:51], s[14:15], s[14:15] op_sel:[0,1]
	v_pk_mov_b32 v[52:53], s[14:15], s[14:15] op_sel:[0,1]
	s_and_saveexec_b64 s[14:15], s[8:9]
	s_cbranch_execz .LBB190_128
; %bb.127:                              ;   in Loop: Header=BB190_104 Depth=1
	v_add_co_u32_e32 v50, vcc, v198, v168
	v_addc_co_u32_e32 v51, vcc, 0, v197, vcc
	flat_load_dwordx4 v[50:53], v[50:51]
.LBB190_128:                            ;   in Loop: Header=BB190_104 Depth=1
	s_or_b64 exec, exec, s[14:15]
	ds_read_b128 v[66:69], v207
	ds_read_b128 v[54:57], v214 offset:256
	v_add_co_u32_e64 v98, s[8:9], v192, v168
	s_and_b64 vcc, exec, s[4:5]
	s_waitcnt vmcnt(0) lgkmcnt(0)
	v_mul_f64 v[58:59], v[36:37], v[68:69]
	v_mul_f64 v[60:61], v[34:35], v[68:69]
	;; [unrolled: 1-line block ×3, first 2 shown]
	v_fma_f64 v[58:59], v[34:35], v[66:67], -v[58:59]
	v_fmac_f64_e32 v[60:61], v[36:37], v[66:67]
	v_mul_f64 v[64:65], v[42:43], v[68:69]
	ds_write_b128 v215, v[58:61]
	v_fma_f64 v[62:63], v[42:43], v[66:67], -v[62:63]
	v_fmac_f64_e32 v[64:65], v[44:45], v[66:67]
	v_mul_f64 v[70:71], v[48:49], v[68:69]
	v_mul_f64 v[72:73], v[46:47], v[68:69]
	ds_read_b128 v[58:61], v214 offset:272
	ds_write_b128 v215, v[62:65] offset:1072
	v_fma_f64 v[70:71], v[46:47], v[66:67], -v[70:71]
	v_fmac_f64_e32 v[72:73], v[48:49], v[66:67]
	v_mul_f64 v[74:75], v[52:53], v[68:69]
	v_mul_f64 v[76:77], v[50:51], v[68:69]
	ds_read_b128 v[62:65], v214 offset:288
	ds_write_b128 v215, v[70:73] offset:2144
	v_fma_f64 v[74:75], v[50:51], v[66:67], -v[74:75]
	v_fmac_f64_e32 v[76:77], v[52:53], v[66:67]
	ds_read_b128 v[70:73], v214 offset:304
	ds_write_b128 v215, v[74:77] offset:3216
	s_waitcnt lgkmcnt(0)
	s_barrier
	ds_read_b128 v[146:149], v210
	ds_read_b128 v[142:145], v210 offset:16
	ds_read_b128 v[138:141], v210 offset:32
	;; [unrolled: 1-line block ×3, first 2 shown]
	v_addc_co_u32_e64 v99, s[8:9], 0, v191, s[8:9]
	s_waitcnt lgkmcnt(0)
	s_barrier
	s_cbranch_vccnz .LBB190_136
; %bb.129:                              ;   in Loop: Header=BB190_104 Depth=1
	v_pk_mov_b32 v[74:75], 0, 0
	v_cmp_gt_i32_e32 vcc, s24, v220
	v_pk_mov_b32 v[66:67], v[74:75], v[74:75] op_sel:[0,1]
	v_pk_mov_b32 v[68:69], v[74:75], v[74:75] op_sel:[0,1]
	s_and_saveexec_b64 s[8:9], vcc
	s_cbranch_execz .LBB190_131
; %bb.130:                              ;   in Loop: Header=BB190_104 Depth=1
	flat_load_dwordx4 v[66:69], v[98:99]
.LBB190_131:                            ;   in Loop: Header=BB190_104 Depth=1
	s_or_b64 exec, exec, s[8:9]
	v_cmp_gt_i32_e32 vcc, s24, v221
	v_pk_mov_b32 v[76:77], v[74:75], v[74:75] op_sel:[0,1]
	s_and_saveexec_b64 s[8:9], vcc
	s_cbranch_execz .LBB190_133
; %bb.132:                              ;   in Loop: Header=BB190_104 Depth=1
	v_add_co_u32_e32 v74, vcc, v196, v168
	v_addc_co_u32_e32 v75, vcc, 0, v195, vcc
	flat_load_dwordx4 v[74:77], v[74:75]
.LBB190_133:                            ;   in Loop: Header=BB190_104 Depth=1
	s_or_b64 exec, exec, s[8:9]
	v_pk_mov_b32 v[78:79], 0, 0
	v_cmp_gt_i32_e32 vcc, s24, v222
	s_mov_b64 s[16:17], 0
	v_pk_mov_b32 v[80:81], v[78:79], v[78:79] op_sel:[0,1]
	s_and_saveexec_b64 s[8:9], vcc
	s_cbranch_execz .LBB190_135
; %bb.134:                              ;   in Loop: Header=BB190_104 Depth=1
	v_add_co_u32_e32 v78, vcc, v200, v168
	v_addc_co_u32_e32 v79, vcc, 0, v199, vcc
	flat_load_dwordx4 v[78:81], v[78:79]
.LBB190_135:                            ;   in Loop: Header=BB190_104 Depth=1
	s_or_b64 exec, exec, s[8:9]
	v_cmp_gt_i32_e64 s[8:9], s24, v223
	s_mov_b64 s[14:15], 0
	s_and_b64 vcc, exec, s[16:17]
	s_cbranch_vccnz .LBB190_137
	s_branch .LBB190_138
.LBB190_136:                            ;   in Loop: Header=BB190_104 Depth=1
	s_mov_b64 s[8:9], 0
                                        ; implicit-def: $sgpr14_sgpr15
                                        ; implicit-def: $vgpr80_vgpr81
                                        ; implicit-def: $vgpr76_vgpr77
                                        ; implicit-def: $vgpr68_vgpr69
	s_cbranch_execz .LBB190_138
.LBB190_137:                            ;   in Loop: Header=BB190_104 Depth=1
	s_waitcnt vmcnt(0) lgkmcnt(0)
	v_add_co_u32_e32 v74, vcc, v196, v168
	v_addc_co_u32_e32 v75, vcc, 0, v195, vcc
	v_add_co_u32_e32 v78, vcc, v200, v168
	v_addc_co_u32_e32 v79, vcc, 0, v199, vcc
	flat_load_dwordx4 v[66:69], v[98:99]
	s_or_b64 s[8:9], s[8:9], exec
	flat_load_dwordx4 v[74:77], v[74:75]
                                        ; implicit-def: $sgpr14_sgpr15
	s_nop 0
	flat_load_dwordx4 v[78:81], v[78:79]
.LBB190_138:                            ;   in Loop: Header=BB190_104 Depth=1
	v_pk_mov_b32 v[98:99], s[14:15], s[14:15] op_sel:[0,1]
	v_pk_mov_b32 v[100:101], s[14:15], s[14:15] op_sel:[0,1]
	s_and_saveexec_b64 s[14:15], s[8:9]
	s_cbranch_execz .LBB190_140
; %bb.139:                              ;   in Loop: Header=BB190_104 Depth=1
	v_add_co_u32_e32 v98, vcc, v188, v168
	v_addc_co_u32_e32 v99, vcc, 0, v187, vcc
	flat_load_dwordx4 v[98:101], v[98:99]
.LBB190_140:                            ;   in Loop: Header=BB190_104 Depth=1
	s_or_b64 exec, exec, s[14:15]
	ds_read_b128 v[114:117], v207
	ds_read_b128 v[102:105], v214 offset:512
	s_and_b64 vcc, exec, s[4:5]
	v_add_co_u32_e64 v130, s[4:5], v176, v168
	s_waitcnt vmcnt(0) lgkmcnt(0)
	v_mul_f64 v[106:107], v[68:69], v[116:117]
	v_mul_f64 v[108:109], v[66:67], v[116:117]
	;; [unrolled: 1-line block ×3, first 2 shown]
	v_fma_f64 v[106:107], v[66:67], v[114:115], -v[106:107]
	v_fmac_f64_e32 v[108:109], v[68:69], v[114:115]
	v_mul_f64 v[112:113], v[74:75], v[116:117]
	ds_write_b128 v215, v[106:109]
	v_fma_f64 v[110:111], v[74:75], v[114:115], -v[110:111]
	v_fmac_f64_e32 v[112:113], v[76:77], v[114:115]
	v_mul_f64 v[118:119], v[80:81], v[116:117]
	v_mul_f64 v[120:121], v[78:79], v[116:117]
	ds_read_b128 v[106:109], v214 offset:528
	ds_write_b128 v215, v[110:113] offset:1072
	v_fma_f64 v[118:119], v[78:79], v[114:115], -v[118:119]
	v_fmac_f64_e32 v[120:121], v[80:81], v[114:115]
	v_mul_f64 v[122:123], v[100:101], v[116:117]
	v_mul_f64 v[124:125], v[98:99], v[116:117]
	ds_read_b128 v[110:113], v214 offset:544
	ds_write_b128 v215, v[118:121] offset:2144
	v_fma_f64 v[122:123], v[98:99], v[114:115], -v[122:123]
	v_fmac_f64_e32 v[124:125], v[100:101], v[114:115]
	ds_read_b128 v[118:121], v214 offset:560
	ds_write_b128 v215, v[122:125] offset:3216
	s_waitcnt lgkmcnt(0)
	s_barrier
	ds_read_b128 v[162:165], v210
	ds_read_b128 v[158:161], v210 offset:16
	ds_read_b128 v[154:157], v210 offset:32
	;; [unrolled: 1-line block ×3, first 2 shown]
	v_addc_co_u32_e64 v131, s[4:5], 0, v175, s[4:5]
	s_waitcnt lgkmcnt(0)
	s_barrier
	s_cbranch_vccnz .LBB190_148
; %bb.141:                              ;   in Loop: Header=BB190_104 Depth=1
	v_pk_mov_b32 v[122:123], 0, 0
	v_cmp_gt_i32_e32 vcc, s24, v224
	v_pk_mov_b32 v[114:115], v[122:123], v[122:123] op_sel:[0,1]
	v_pk_mov_b32 v[116:117], v[122:123], v[122:123] op_sel:[0,1]
	s_and_saveexec_b64 s[4:5], vcc
	s_cbranch_execz .LBB190_143
; %bb.142:                              ;   in Loop: Header=BB190_104 Depth=1
	flat_load_dwordx4 v[114:117], v[130:131]
.LBB190_143:                            ;   in Loop: Header=BB190_104 Depth=1
	s_or_b64 exec, exec, s[4:5]
	v_cmp_gt_i32_e32 vcc, s24, v225
	v_pk_mov_b32 v[124:125], v[122:123], v[122:123] op_sel:[0,1]
	s_and_saveexec_b64 s[4:5], vcc
	s_cbranch_execz .LBB190_145
; %bb.144:                              ;   in Loop: Header=BB190_104 Depth=1
	v_add_co_u32_e32 v122, vcc, v180, v168
	v_addc_co_u32_e32 v123, vcc, 0, v179, vcc
	flat_load_dwordx4 v[122:125], v[122:123]
.LBB190_145:                            ;   in Loop: Header=BB190_104 Depth=1
	s_or_b64 exec, exec, s[4:5]
	v_pk_mov_b32 v[126:127], 0, 0
	v_cmp_gt_i32_e32 vcc, s24, v226
	s_mov_b64 s[14:15], 0
	v_pk_mov_b32 v[128:129], v[126:127], v[126:127] op_sel:[0,1]
	s_and_saveexec_b64 s[4:5], vcc
	s_cbranch_execz .LBB190_147
; %bb.146:                              ;   in Loop: Header=BB190_104 Depth=1
	v_add_co_u32_e32 v126, vcc, v186, v168
	v_addc_co_u32_e32 v127, vcc, 0, v185, vcc
	flat_load_dwordx4 v[126:129], v[126:127]
.LBB190_147:                            ;   in Loop: Header=BB190_104 Depth=1
	s_or_b64 exec, exec, s[4:5]
	v_cmp_gt_i32_e64 s[4:5], s24, v227
	s_mov_b64 s[8:9], 0
	s_and_b64 vcc, exec, s[14:15]
	s_cbranch_vccnz .LBB190_149
	s_branch .LBB190_150
.LBB190_148:                            ;   in Loop: Header=BB190_104 Depth=1
	s_mov_b64 s[4:5], 0
                                        ; implicit-def: $sgpr8_sgpr9
                                        ; implicit-def: $vgpr128_vgpr129
                                        ; implicit-def: $vgpr124_vgpr125
                                        ; implicit-def: $vgpr116_vgpr117
	s_cbranch_execz .LBB190_150
.LBB190_149:                            ;   in Loop: Header=BB190_104 Depth=1
	s_waitcnt vmcnt(0) lgkmcnt(0)
	v_add_co_u32_e32 v122, vcc, v180, v168
	v_addc_co_u32_e32 v123, vcc, 0, v179, vcc
	v_add_co_u32_e32 v126, vcc, v186, v168
	v_addc_co_u32_e32 v127, vcc, 0, v185, vcc
	flat_load_dwordx4 v[114:117], v[130:131]
	s_or_b64 s[4:5], s[4:5], exec
	flat_load_dwordx4 v[122:125], v[122:123]
                                        ; implicit-def: $sgpr8_sgpr9
	s_nop 0
	flat_load_dwordx4 v[126:129], v[126:127]
.LBB190_150:                            ;   in Loop: Header=BB190_104 Depth=1
	v_pk_mov_b32 v[130:131], s[8:9], s[8:9] op_sel:[0,1]
	v_pk_mov_b32 v[132:133], s[8:9], s[8:9] op_sel:[0,1]
	s_and_saveexec_b64 s[8:9], s[4:5]
	s_cbranch_execz .LBB190_152
; %bb.151:                              ;   in Loop: Header=BB190_104 Depth=1
	v_add_co_u32_e32 v130, vcc, v172, v168
	v_addc_co_u32_e32 v131, vcc, 0, v171, vcc
	flat_load_dwordx4 v[130:133], v[130:131]
.LBB190_152:                            ;   in Loop: Header=BB190_104 Depth=1
	s_or_b64 exec, exec, s[8:9]
	v_add_f64 v[146:147], v[146:147], 0
	v_add_f64 v[148:149], v[148:149], 0
	;; [unrolled: 1-line block ×6, first 2 shown]
	ds_read_b128 v[142:145], v207
	v_add_f64 v[162:163], v[162:163], 0
	v_add_f64 v[94:95], v[94:95], 0
	;; [unrolled: 1-line block ×11, first 2 shown]
	ds_read_b128 v[86:89], v214 offset:768
	s_waitcnt vmcnt(0) lgkmcnt(0)
	v_mul_f64 v[90:91], v[116:117], v[144:145]
	v_mul_f64 v[92:93], v[114:115], v[144:145]
	v_fma_f64 v[90:91], v[114:115], v[142:143], -v[90:91]
	v_fmac_f64_e32 v[92:93], v[116:117], v[142:143]
	v_mul_f64 v[94:95], v[124:125], v[144:145]
	v_mul_f64 v[96:97], v[122:123], v[144:145]
	v_add_f64 v[138:139], v[138:139], v[134:135]
	v_add_f64 v[140:141], v[140:141], v[136:137]
	ds_write_b128 v215, v[90:93]
	v_fma_f64 v[94:95], v[122:123], v[142:143], -v[94:95]
	v_fmac_f64_e32 v[96:97], v[124:125], v[142:143]
	v_mul_f64 v[134:135], v[128:129], v[144:145]
	v_mul_f64 v[136:137], v[126:127], v[144:145]
	ds_read_b128 v[90:93], v214 offset:784
	ds_write_b128 v215, v[94:97] offset:1072
	v_fma_f64 v[134:135], v[126:127], v[142:143], -v[134:135]
	v_fmac_f64_e32 v[136:137], v[128:129], v[142:143]
	v_mul_f64 v[146:147], v[132:133], v[144:145]
	v_mul_f64 v[148:149], v[130:131], v[144:145]
	ds_read_b128 v[94:97], v214 offset:800
	ds_write_b128 v215, v[134:137] offset:2144
	v_fma_f64 v[146:147], v[130:131], v[142:143], -v[146:147]
	v_fmac_f64_e32 v[148:149], v[132:133], v[142:143]
	v_add_f64 v[164:165], v[164:165], 0
	ds_read_b128 v[134:137], v214 offset:816
	ds_write_b128 v215, v[146:149] offset:3216
	s_waitcnt lgkmcnt(0)
	s_barrier
	ds_read_b128 v[142:145], v210
	v_add_f64 v[160:161], v[164:165], v[160:161]
	v_add_f64 v[156:157], v[160:161], v[156:157]
	;; [unrolled: 1-line block ×4, first 2 shown]
	ds_read_b128 v[146:149], v210 offset:16
	ds_read_b128 v[154:157], v210 offset:32
	;; [unrolled: 1-line block ×3, first 2 shown]
	s_waitcnt lgkmcnt(3)
	v_add_f64 v[142:143], v[142:143], 0
	v_add_f64 v[144:145], v[144:145], 0
	v_cmp_gt_i32_e32 vcc, s24, v201
	s_waitcnt lgkmcnt(2)
	v_add_f64 v[142:143], v[142:143], v[146:147]
	v_add_f64 v[144:145], v[144:145], v[148:149]
	s_or_b64 s[4:5], s[12:13], vcc
	s_waitcnt lgkmcnt(1)
	v_add_f64 v[142:143], v[142:143], v[154:155]
	v_add_f64 v[144:145], v[144:145], v[156:157]
	s_and_b64 s[8:9], s[2:3], s[4:5]
	s_waitcnt lgkmcnt(0)
	v_add_f64 v[142:143], v[142:143], v[158:159]
	v_add_f64 v[144:145], v[144:145], v[160:161]
	s_barrier
	ds_write_b128 v229, v[82:85]
	ds_write_b128 v229, v[138:141] offset:256
	ds_write_b128 v229, v[150:153] offset:512
	;; [unrolled: 1-line block ×3, first 2 shown]
	s_waitcnt lgkmcnt(0)
	s_barrier
	s_and_saveexec_b64 s[4:5], s[8:9]
	s_cbranch_execz .LBB190_154
; %bb.153:                              ;   in Loop: Header=BB190_104 Depth=1
	ds_read_b128 v[82:85], v208
	ds_read_b128 v[138:141], v208 offset:16
	ds_read_b128 v[142:145], v208 offset:32
	;; [unrolled: 1-line block ×3, first 2 shown]
	v_mov_b32_e32 v5, s26
	s_waitcnt lgkmcnt(2)
	v_add_f64 v[82:83], v[138:139], v[82:83]
	v_add_f64 v[138:139], v[140:141], v[84:85]
	s_waitcnt lgkmcnt(1)
	v_add_f64 v[140:141], v[82:83], v[142:143]
	ds_read_b128 v[82:85], v208 offset:64
	v_add_f64 v[142:143], v[138:139], v[144:145]
	s_waitcnt lgkmcnt(1)
	v_add_f64 v[144:145], v[140:141], v[146:147]
	ds_read_b128 v[138:141], v208 offset:80
	;; [unrolled: 4-line block ×9, first 2 shown]
	v_add_f64 v[84:85], v[146:147], v[84:85]
	s_waitcnt lgkmcnt(1)
	v_add_f64 v[138:139], v[82:83], v[138:139]
	v_add_f64 v[146:147], v[84:85], v[140:141]
	ds_read_b128 v[82:85], v208 offset:208
	s_waitcnt lgkmcnt(1)
	v_add_f64 v[148:149], v[138:139], v[142:143]
	ds_read_b128 v[138:141], v208 offset:224
	v_add_f64 v[146:147], v[146:147], v[144:145]
	ds_read_b128 v[142:145], v209
	s_waitcnt lgkmcnt(2)
	v_add_f64 v[82:83], v[148:149], v[82:83]
	v_add_f64 v[84:85], v[146:147], v[84:85]
	s_waitcnt lgkmcnt(1)
	v_add_f64 v[82:83], v[82:83], v[138:139]
	v_add_u32_e32 v138, s28, v228
	v_ashrrev_i32_e32 v139, 31, v138
	v_lshlrev_b64 v[138:139], 4, v[138:139]
	v_add_f64 v[84:85], v[84:85], v[140:141]
	v_add_co_u32_e32 v138, vcc, s21, v138
	s_waitcnt lgkmcnt(0)
	v_add_f64 v[82:83], v[82:83], v[142:143]
	v_add_f64 v[84:85], v[84:85], v[144:145]
	v_addc_co_u32_e32 v139, vcc, v5, v139, vcc
	global_store_dwordx4 v[138:139], v[82:85], off
.LBB190_154:                            ;   in Loop: Header=BB190_104 Depth=1
	s_or_b64 exec, exec, s[4:5]
	v_mov_b32_e32 v5, s11
	v_add_co_u32_e32 v170, vcc, s10, v170
	v_mul_f64 v[82:83], v[8:9], v[24:25]
	v_addc_co_u32_e32 v169, vcc, v169, v5, vcc
	v_fma_f64 v[82:83], v[6:7], v[22:23], -v[82:83]
	v_mul_f64 v[6:7], v[6:7], v[24:25]
	v_mul_f64 v[24:25], v[12:13], v[28:29]
	v_add_co_u32_e32 v172, vcc, s10, v172
	v_add_f64 v[0:1], v[0:1], v[82:83]
	v_fma_f64 v[24:25], v[10:11], v[26:27], -v[24:25]
	v_addc_co_u32_e32 v171, vcc, v171, v5, vcc
	v_add_f64 v[0:1], v[0:1], v[24:25]
	v_mul_f64 v[24:25], v[16:17], v[32:33]
	v_add_co_u32_e32 v174, vcc, s10, v174
	v_fma_f64 v[24:25], v[14:15], v[30:31], -v[24:25]
	v_addc_co_u32_e32 v173, vcc, v173, v5, vcc
	v_add_f64 v[0:1], v[0:1], v[24:25]
	v_mul_f64 v[24:25], v[20:21], v[40:41]
	v_fmac_f64_e32 v[6:7], v[8:9], v[22:23]
	v_add_co_u32_e32 v176, vcc, s10, v176
	v_fma_f64 v[24:25], v[18:19], v[38:39], -v[24:25]
	v_add_f64 v[2:3], v[2:3], v[6:7]
	v_mul_f64 v[6:7], v[36:37], v[56:57]
	v_addc_co_u32_e32 v175, vcc, v175, v5, vcc
	v_add_f64 v[0:1], v[0:1], v[24:25]
	v_fma_f64 v[6:7], v[34:35], v[54:55], -v[6:7]
	v_add_co_u32_e32 v178, vcc, s10, v178
	v_add_f64 v[0:1], v[0:1], v[6:7]
	v_mul_f64 v[6:7], v[44:45], v[60:61]
	v_addc_co_u32_e32 v177, vcc, v177, v5, vcc
	v_fma_f64 v[6:7], v[42:43], v[58:59], -v[6:7]
	v_add_co_u32_e32 v180, vcc, s10, v180
	v_add_f64 v[0:1], v[0:1], v[6:7]
	v_mul_f64 v[6:7], v[48:49], v[64:65]
	v_addc_co_u32_e32 v179, vcc, v179, v5, vcc
	;; [unrolled: 5-line block ×3, first 2 shown]
	v_fma_f64 v[6:7], v[50:51], v[70:71], -v[6:7]
	v_add_co_u32_e32 v184, vcc, s10, v184
	v_mul_f64 v[10:11], v[10:11], v[28:29]
	v_add_f64 v[0:1], v[0:1], v[6:7]
	v_mul_f64 v[6:7], v[68:69], v[104:105]
	v_addc_co_u32_e32 v183, vcc, v183, v5, vcc
	v_mul_f64 v[14:15], v[14:15], v[32:33]
	v_fmac_f64_e32 v[10:11], v[12:13], v[26:27]
	v_fma_f64 v[6:7], v[66:67], v[102:103], -v[6:7]
	v_add_co_u32_e32 v186, vcc, s10, v186
	v_mul_f64 v[18:19], v[18:19], v[40:41]
	v_add_f64 v[2:3], v[2:3], v[10:11]
	v_fmac_f64_e32 v[14:15], v[16:17], v[30:31]
	v_add_f64 v[0:1], v[0:1], v[6:7]
	v_mul_f64 v[6:7], v[76:77], v[108:109]
	v_addc_co_u32_e32 v185, vcc, v185, v5, vcc
	v_add_f64 v[2:3], v[2:3], v[14:15]
	v_fmac_f64_e32 v[18:19], v[20:21], v[38:39]
	v_mul_f64 v[8:9], v[34:35], v[56:57]
	v_fma_f64 v[6:7], v[74:75], v[106:107], -v[6:7]
	v_add_co_u32_e32 v188, vcc, s10, v188
	v_add_f64 v[2:3], v[2:3], v[18:19]
	v_mul_f64 v[10:11], v[42:43], v[60:61]
	v_fmac_f64_e32 v[8:9], v[36:37], v[54:55]
	v_add_f64 v[0:1], v[0:1], v[6:7]
	v_mul_f64 v[6:7], v[80:81], v[112:113]
	v_addc_co_u32_e32 v187, vcc, v187, v5, vcc
	v_mul_f64 v[12:13], v[46:47], v[64:65]
	v_add_f64 v[2:3], v[2:3], v[8:9]
	v_fmac_f64_e32 v[10:11], v[44:45], v[58:59]
	v_fma_f64 v[6:7], v[78:79], v[110:111], -v[6:7]
	v_add_co_u32_e32 v190, vcc, s10, v190
	v_mul_f64 v[14:15], v[50:51], v[72:73]
	v_add_f64 v[2:3], v[2:3], v[10:11]
	v_fmac_f64_e32 v[12:13], v[48:49], v[62:63]
	v_add_f64 v[0:1], v[0:1], v[6:7]
	v_mul_f64 v[6:7], v[100:101], v[120:121]
	v_addc_co_u32_e32 v189, vcc, v189, v5, vcc
	v_add_f64 v[2:3], v[2:3], v[12:13]
	v_fmac_f64_e32 v[14:15], v[52:53], v[70:71]
	v_mul_f64 v[8:9], v[66:67], v[104:105]
	v_fma_f64 v[6:7], v[98:99], v[118:119], -v[6:7]
	v_add_co_u32_e32 v192, vcc, s10, v192
	v_add_f64 v[2:3], v[2:3], v[14:15]
	v_mul_f64 v[10:11], v[74:75], v[108:109]
	v_add_f64 v[0:1], v[0:1], v[6:7]
	v_fmac_f64_e32 v[8:9], v[68:69], v[102:103]
	v_mul_f64 v[6:7], v[116:117], v[88:89]
	v_addc_co_u32_e32 v191, vcc, v191, v5, vcc
	v_mul_f64 v[12:13], v[78:79], v[112:113]
	v_add_f64 v[2:3], v[2:3], v[8:9]
	v_fmac_f64_e32 v[10:11], v[76:77], v[106:107]
	v_fma_f64 v[6:7], v[114:115], v[86:87], -v[6:7]
	v_add_co_u32_e32 v194, vcc, s10, v194
	v_mul_f64 v[14:15], v[98:99], v[120:121]
	v_add_f64 v[2:3], v[2:3], v[10:11]
	v_fmac_f64_e32 v[12:13], v[80:81], v[110:111]
	v_add_f64 v[0:1], v[0:1], v[6:7]
	v_mul_f64 v[6:7], v[124:125], v[92:93]
	v_addc_co_u32_e32 v193, vcc, v193, v5, vcc
	v_add_f64 v[2:3], v[2:3], v[12:13]
	v_fmac_f64_e32 v[14:15], v[100:101], v[118:119]
	v_mul_f64 v[8:9], v[114:115], v[88:89]
	v_fma_f64 v[6:7], v[122:123], v[90:91], -v[6:7]
	v_add_co_u32_e32 v196, vcc, s10, v196
	v_add_f64 v[2:3], v[2:3], v[14:15]
	v_mul_f64 v[10:11], v[122:123], v[92:93]
	v_add_f64 v[0:1], v[0:1], v[6:7]
	v_mul_f64 v[6:7], v[128:129], v[96:97]
	v_fmac_f64_e32 v[8:9], v[116:117], v[86:87]
	v_addc_co_u32_e32 v195, vcc, v195, v5, vcc
	v_fma_f64 v[6:7], v[126:127], v[94:95], -v[6:7]
	v_mul_f64 v[12:13], v[126:127], v[96:97]
	v_fmac_f64_e32 v[10:11], v[124:125], v[90:91]
	v_add_f64 v[2:3], v[2:3], v[8:9]
	v_add_co_u32_e32 v198, vcc, s10, v198
	v_add_f64 v[0:1], v[0:1], v[6:7]
	v_mul_f64 v[6:7], v[132:133], v[136:137]
	v_mul_f64 v[14:15], v[130:131], v[136:137]
	v_fmac_f64_e32 v[12:13], v[128:129], v[94:95]
	v_add_f64 v[2:3], v[2:3], v[10:11]
	v_addc_co_u32_e32 v197, vcc, v197, v5, vcc
	v_fma_f64 v[6:7], v[130:131], v[134:135], -v[6:7]
	v_fmac_f64_e32 v[14:15], v[132:133], v[134:135]
	v_add_f64 v[2:3], v[2:3], v[12:13]
	s_add_i32 s4, s6, 1
	s_add_i32 s28, s28, 64
	;; [unrolled: 1-line block ×3, first 2 shown]
	v_add_co_u32_e32 v200, vcc, s10, v200
	v_add_f64 v[0:1], v[0:1], v[6:7]
	v_add_f64 v[2:3], v[2:3], v[14:15]
	s_cmp_ge_u32 s5, s7
	v_addc_co_u32_e32 v199, vcc, v199, v5, vcc
	s_barrier
	s_cbranch_scc1 .LBB190_156
; %bb.155:                              ;   in Loop: Header=BB190_104 Depth=1
	s_mov_b32 s6, s4
	s_cmp_eq_u32 s29, s6
	s_cselect_b32 s24, s27, 0
	s_and_saveexec_b64 s[4:5], s[0:1]
	s_cbranch_execnz .LBB190_100
	s_branch .LBB190_104
.LBB190_156:
	s_movk_i32 s2, 0x430
	v_cmp_gt_i32_e32 vcc, s20, v201
	v_mad_u32_u24 v4, v202, s2, v168
	s_or_b64 s[2:3], s[22:23], vcc
	s_and_b64 s[0:1], s[0:1], s[2:3]
	ds_write_b128 v4, v[0:3]
	s_waitcnt lgkmcnt(0)
	s_barrier
	s_and_saveexec_b64 s[2:3], s[0:1]
	s_cbranch_execz .LBB190_158
; %bb.157:
	ds_read_b128 v[0:3], v168 offset:1072
	ds_read_b128 v[4:7], v168
	ds_read_b128 v[8:11], v168 offset:2144
	ds_read_b128 v[12:15], v168 offset:3216
	s_waitcnt lgkmcnt(2)
	v_add_f64 v[0:1], v[0:1], v[4:5]
	v_add_f64 v[2:3], v[2:3], v[6:7]
	v_lshlrev_b64 v[4:5], 4, v[166:167]
	s_waitcnt lgkmcnt(1)
	v_add_f64 v[0:1], v[0:1], v[8:9]
	v_add_f64 v[2:3], v[2:3], v[10:11]
	v_mov_b32_e32 v6, s26
	v_add_co_u32_e32 v4, vcc, s21, v4
	s_waitcnt lgkmcnt(0)
	v_add_f64 v[0:1], v[0:1], v[12:13]
	v_add_f64 v[2:3], v[2:3], v[14:15]
	v_addc_co_u32_e32 v5, vcc, v6, v5, vcc
	global_store_dwordx4 v[4:5], v[0:3], off
.LBB190_158:
	s_endpgm
	.section	.rodata,"a",@progbits
	.p2align	6, 0x0
	.amdhsa_kernel _ZL26rocblas_hemvn_kernel_upperILb0ELi64ELi4ELi33ELi32ELi16El19rocblas_complex_numIdEPKPKS1_PS1_EviT6_lT7_lT5_lS8_lS9_lS7_lT8_i
		.amdhsa_group_segment_fixed_size 19200
		.amdhsa_private_segment_fixed_size 0
		.amdhsa_kernarg_size 392
		.amdhsa_user_sgpr_count 6
		.amdhsa_user_sgpr_private_segment_buffer 1
		.amdhsa_user_sgpr_dispatch_ptr 0
		.amdhsa_user_sgpr_queue_ptr 0
		.amdhsa_user_sgpr_kernarg_segment_ptr 1
		.amdhsa_user_sgpr_dispatch_id 0
		.amdhsa_user_sgpr_flat_scratch_init 0
		.amdhsa_user_sgpr_kernarg_preload_length 0
		.amdhsa_user_sgpr_kernarg_preload_offset 0
		.amdhsa_user_sgpr_private_segment_size 0
		.amdhsa_uses_dynamic_stack 0
		.amdhsa_system_sgpr_private_segment_wavefront_offset 0
		.amdhsa_system_sgpr_workgroup_id_x 1
		.amdhsa_system_sgpr_workgroup_id_y 0
		.amdhsa_system_sgpr_workgroup_id_z 1
		.amdhsa_system_sgpr_workgroup_info 0
		.amdhsa_system_vgpr_workitem_id 1
		.amdhsa_next_free_vgpr 230
		.amdhsa_next_free_sgpr 42
		.amdhsa_accum_offset 232
		.amdhsa_reserve_vcc 1
		.amdhsa_reserve_flat_scratch 0
		.amdhsa_float_round_mode_32 0
		.amdhsa_float_round_mode_16_64 0
		.amdhsa_float_denorm_mode_32 3
		.amdhsa_float_denorm_mode_16_64 3
		.amdhsa_dx10_clamp 1
		.amdhsa_ieee_mode 1
		.amdhsa_fp16_overflow 0
		.amdhsa_tg_split 0
		.amdhsa_exception_fp_ieee_invalid_op 0
		.amdhsa_exception_fp_denorm_src 0
		.amdhsa_exception_fp_ieee_div_zero 0
		.amdhsa_exception_fp_ieee_overflow 0
		.amdhsa_exception_fp_ieee_underflow 0
		.amdhsa_exception_fp_ieee_inexact 0
		.amdhsa_exception_int_div_zero 0
	.end_amdhsa_kernel
	.section	.text._ZL26rocblas_hemvn_kernel_upperILb0ELi64ELi4ELi33ELi32ELi16El19rocblas_complex_numIdEPKPKS1_PS1_EviT6_lT7_lT5_lS8_lS9_lS7_lT8_i,"axG",@progbits,_ZL26rocblas_hemvn_kernel_upperILb0ELi64ELi4ELi33ELi32ELi16El19rocblas_complex_numIdEPKPKS1_PS1_EviT6_lT7_lT5_lS8_lS9_lS7_lT8_i,comdat
.Lfunc_end190:
	.size	_ZL26rocblas_hemvn_kernel_upperILb0ELi64ELi4ELi33ELi32ELi16El19rocblas_complex_numIdEPKPKS1_PS1_EviT6_lT7_lT5_lS8_lS9_lS7_lT8_i, .Lfunc_end190-_ZL26rocblas_hemvn_kernel_upperILb0ELi64ELi4ELi33ELi32ELi16El19rocblas_complex_numIdEPKPKS1_PS1_EviT6_lT7_lT5_lS8_lS9_lS7_lT8_i
                                        ; -- End function
	.section	.AMDGPU.csdata,"",@progbits
; Kernel info:
; codeLenInByte = 10692
; NumSgprs: 46
; NumVgprs: 230
; NumAgprs: 0
; TotalNumVgprs: 230
; ScratchSize: 0
; MemoryBound: 1
; FloatMode: 240
; IeeeMode: 1
; LDSByteSize: 19200 bytes/workgroup (compile time only)
; SGPRBlocks: 5
; VGPRBlocks: 28
; NumSGPRsForWavesPerEU: 46
; NumVGPRsForWavesPerEU: 230
; AccumOffset: 232
; Occupancy: 2
; WaveLimiterHint : 0
; COMPUTE_PGM_RSRC2:SCRATCH_EN: 0
; COMPUTE_PGM_RSRC2:USER_SGPR: 6
; COMPUTE_PGM_RSRC2:TRAP_HANDLER: 0
; COMPUTE_PGM_RSRC2:TGID_X_EN: 1
; COMPUTE_PGM_RSRC2:TGID_Y_EN: 0
; COMPUTE_PGM_RSRC2:TGID_Z_EN: 1
; COMPUTE_PGM_RSRC2:TIDIG_COMP_CNT: 1
; COMPUTE_PGM_RSRC3_GFX90A:ACCUM_OFFSET: 57
; COMPUTE_PGM_RSRC3_GFX90A:TG_SPLIT: 0
	.section	.text._ZL26rocblas_hemvn_kernel_upperILb0ELi64ELi4ELi33ELi32ELi16Ei19rocblas_complex_numIdEPKPKS1_PS1_EviT6_lT7_lT5_lS8_lS9_lS7_lT8_i,"axG",@progbits,_ZL26rocblas_hemvn_kernel_upperILb0ELi64ELi4ELi33ELi32ELi16Ei19rocblas_complex_numIdEPKPKS1_PS1_EviT6_lT7_lT5_lS8_lS9_lS7_lT8_i,comdat
	.globl	_ZL26rocblas_hemvn_kernel_upperILb0ELi64ELi4ELi33ELi32ELi16Ei19rocblas_complex_numIdEPKPKS1_PS1_EviT6_lT7_lT5_lS8_lS9_lS7_lT8_i ; -- Begin function _ZL26rocblas_hemvn_kernel_upperILb0ELi64ELi4ELi33ELi32ELi16Ei19rocblas_complex_numIdEPKPKS1_PS1_EviT6_lT7_lT5_lS8_lS9_lS7_lT8_i
	.p2align	8
	.type	_ZL26rocblas_hemvn_kernel_upperILb0ELi64ELi4ELi33ELi32ELi16Ei19rocblas_complex_numIdEPKPKS1_PS1_EviT6_lT7_lT5_lS8_lS9_lS7_lT8_i,@function
_ZL26rocblas_hemvn_kernel_upperILb0ELi64ELi4ELi33ELi32ELi16Ei19rocblas_complex_numIdEPKPKS1_PS1_EviT6_lT7_lT5_lS8_lS9_lS7_lT8_i: ; @_ZL26rocblas_hemvn_kernel_upperILb0ELi64ELi4ELi33ELi32ELi16Ei19rocblas_complex_numIdEPKPKS1_PS1_EviT6_lT7_lT5_lS8_lS9_lS7_lT8_i
; %bb.0:
	s_load_dwordx2 s[0:1], s[4:5], 0x94
	s_add_u32 s8, s4, 0x88
	s_addc_u32 s9, s5, 0
	s_waitcnt lgkmcnt(0)
	s_lshr_b32 s2, s0, 16
	s_and_b32 s0, s0, 0xffff
	s_and_b32 s1, s1, 0xffff
	s_mul_i32 s0, s2, s0
	s_mul_i32 s0, s0, s1
	s_cmpk_lg_i32 s0, 0x100
	s_cbranch_scc1 .LBB191_158
; %bb.1:
	s_load_dwordx4 s[12:15], s[4:5], 0x8
	s_mov_b32 s22, s7
	s_mov_b64 s[0:1], 0
	s_waitcnt lgkmcnt(0)
	v_cmp_neq_f64_e64 s[2:3], s[12:13], 0
	v_cmp_neq_f64_e64 s[10:11], s[14:15], 0
	s_or_b64 s[10:11], s[2:3], s[10:11]
	s_and_b64 vcc, exec, s[10:11]
	s_cbranch_vccnz .LBB191_3
; %bb.2:
	s_load_dwordx4 s[12:15], s[4:5], 0x60
	s_mov_b64 s[2:3], 0
	s_waitcnt lgkmcnt(0)
	v_cmp_neq_f64_e64 s[0:1], s[12:13], 1.0
	v_cmp_neq_f64_e64 s[12:13], s[14:15], 0
	s_or_b64 s[0:1], s[0:1], s[12:13]
	s_cbranch_execz .LBB191_4
	s_branch .LBB191_5
.LBB191_3:
	s_mov_b64 s[2:3], -1
.LBB191_4:
	s_load_dwordx4 s[0:3], s[4:5], 0x20
	s_mov_b32 s23, 0
	s_lshl_b64 s[12:13], s[22:23], 3
	s_waitcnt lgkmcnt(0)
	s_add_u32 s0, s0, s12
	s_addc_u32 s1, s1, s13
	s_load_dwordx2 s[0:1], s[0:1], 0x0
	s_lshl_b64 s[2:3], s[2:3], 4
	s_waitcnt lgkmcnt(0)
	s_add_u32 s2, s0, s2
	s_addc_u32 s3, s1, s3
	s_mov_b64 s[0:1], -1
.LBB191_5:
	s_andn2_b64 vcc, exec, s[0:1]
	s_cbranch_vccnz .LBB191_158
; %bb.6:
	v_cndmask_b32_e64 v1, 0, 1, s[10:11]
	v_cmp_ne_u32_e64 s[0:1], 1, v1
	s_andn2_b64 vcc, exec, s[10:11]
	s_mov_b64 s[10:11], 0
	s_cbranch_vccnz .LBB191_8
; %bb.7:
	s_load_dwordx4 s[12:15], s[4:5], 0x40
	s_mov_b32 s23, 0
	s_lshl_b64 s[10:11], s[22:23], 3
	s_waitcnt lgkmcnt(0)
	s_add_u32 s10, s12, s10
	s_addc_u32 s11, s13, s11
	s_load_dwordx2 s[10:11], s[10:11], 0x0
	s_lshl_b64 s[12:13], s[14:15], 4
	s_waitcnt lgkmcnt(0)
	s_add_u32 s10, s10, s12
	s_addc_u32 s11, s11, s13
.LBB191_8:
	s_and_b64 vcc, exec, s[0:1]
	s_cbranch_vccnz .LBB191_158
; %bb.9:
	s_load_dword s7, s[8:9], 0x0
	s_load_dword s40, s[4:5], 0x0
	;; [unrolled: 1-line block ×3, first 2 shown]
	v_and_b32_e32 v168, 0x3ff, v0
	s_lshl_b32 s24, s6, 6
	v_add_u32_e32 v166, s24, v168
	s_waitcnt lgkmcnt(0)
	s_ashr_i32 s41, s40, 31
	s_lshr_b32 s1, s41, 26
	v_bfe_u32 v209, v0, 10, 10
	s_add_i32 s1, s40, s1
	v_mul_lo_u32 v0, v166, s23
	s_andn2_b32 s1, s1, 63
	v_ashrrev_i32_e32 v1, 31, v0
	s_add_i32 s0, s7, -1
	s_sub_i32 s33, s40, s1
	v_lshlrev_b64 v[0:1], 4, v[0:1]
	s_cmp_eq_u32 s6, s0
	v_mov_b32_e32 v2, s11
	v_add_co_u32_e32 v36, vcc, s10, v0
	s_cselect_b32 s18, s33, 0
	v_addc_co_u32_e32 v37, vcc, v2, v1, vcc
	v_cmp_eq_u32_e64 s[0:1], 0, v209
	s_and_saveexec_b64 s[8:9], s[0:1]
	s_cbranch_execz .LBB191_14
; %bb.10:
	s_cmp_lg_u32 s18, 0
	s_cselect_b64 s[10:11], -1, 0
	v_cmp_le_i32_e32 vcc, s18, v168
	v_mov_b32_e32 v0, 0x4700
	s_and_b64 s[10:11], s[10:11], vcc
	v_lshl_add_u32 v0, v168, 4, v0
	s_and_saveexec_b64 s[12:13], s[10:11]
	s_xor_b64 s[10:11], exec, s[12:13]
	s_cbranch_execz .LBB191_12
; %bb.11:
	v_mov_b32_e32 v2, 0
	v_mov_b32_e32 v3, v2
	;; [unrolled: 1-line block ×4, first 2 shown]
	ds_write_b128 v0, v[2:5]
                                        ; implicit-def: $vgpr0
.LBB191_12:
	s_andn2_saveexec_b64 s[10:11], s[10:11]
	s_cbranch_execz .LBB191_14
; %bb.13:
	flat_load_dwordx4 v[2:5], v[36:37]
	s_waitcnt vmcnt(0) lgkmcnt(0)
	ds_write2_b64 v0, v[2:3], v[4:5] offset1:1
.LBB191_14:
	s_or_b64 exec, exec, s[8:9]
	s_load_dword s26, s[4:5], 0x30
	s_ashr_i32 s25, s24, 31
	v_lshl_add_u32 v42, v209, 6, v168
	s_lshl_b64 s[8:9], s[24:25], 4
	v_and_b32_e32 v4, 31, v168
	v_lshrrev_b32_e32 v5, 5, v42
	s_add_u32 s8, s2, s8
	s_addc_u32 s9, s3, s9
	s_waitcnt lgkmcnt(0)
	v_mad_u64_u32 v[0:1], s[2:3], v5, s26, v[4:5]
	s_mul_i32 s2, s24, s26
	s_ashr_i32 s3, s2, 31
	s_lshl_b64 s[2:3], s[2:3], 4
	s_add_u32 s2, s2, s8
	v_ashrrev_i32_e32 v1, 31, v0
	s_addc_u32 s3, s3, s9
	v_lshlrev_b64 v[38:39], 4, v[0:1]
	s_cmp_eq_u32 s18, 0
	v_mov_b32_e32 v1, s3
	v_add_co_u32_e32 v0, vcc, s2, v38
	s_cselect_b64 s[20:21], -1, 0
	s_cmp_lg_u32 s18, 0
	v_addc_co_u32_e32 v1, vcc, v1, v39, vcc
	s_cselect_b64 s[34:35], -1, 0
	s_and_b64 vcc, exec, s[34:35]
	v_cmp_gt_i32_e64 s[2:3], s18, v4
	v_lshlrev_b32_e32 v11, 4, v4
	v_mul_u32_u24_e32 v10, 33, v5
	s_cbranch_vccz .LBB191_32
; %bb.15:
	v_sub_co_u32_e32 v2, vcc, v0, v11
	s_ashr_i32 s19, s18, 31
	v_subbrev_co_u32_e32 v3, vcc, 0, v1, vcc
	s_lshl_b64 s[8:9], s[18:19], 4
	v_mov_b32_e32 v6, s9
	v_add_co_u32_e32 v2, vcc, s8, v2
	v_addc_co_u32_e32 v3, vcc, v3, v6, vcc
	v_add_co_u32_e32 v2, vcc, -16, v2
	v_addc_co_u32_e32 v3, vcc, -1, v3, vcc
	v_cndmask_b32_e64 v3, v3, v1, s[2:3]
	v_cndmask_b32_e64 v2, v2, v0, s[2:3]
	v_cmp_le_i32_e32 vcc, s18, v5
	v_add_lshl_u32 v6, v10, v4, 4
	s_and_saveexec_b64 s[10:11], vcc
	s_xor_b64 s[10:11], exec, s[10:11]
	s_cbranch_execz .LBB191_17
; %bb.16:
	v_mov_b32_e32 v12, 0
	v_mov_b32_e32 v13, v12
	;; [unrolled: 1-line block ×4, first 2 shown]
	ds_write_b128 v6, v[12:15]
.LBB191_17:
	s_andn2_saveexec_b64 s[10:11], s[10:11]
	s_cbranch_execz .LBB191_19
; %bb.18:
	flat_load_dwordx4 v[12:15], v[2:3]
	s_waitcnt vmcnt(0) lgkmcnt(0)
	ds_write2_b64 v6, v[12:13], v[14:15] offset1:1
.LBB191_19:
	s_or_b64 exec, exec, s[10:11]
	v_add_u32_e32 v7, 8, v5
	v_cmp_le_i32_e32 vcc, s18, v7
	s_and_saveexec_b64 s[10:11], vcc
	s_xor_b64 s[10:11], exec, s[10:11]
	s_cbranch_execz .LBB191_21
; %bb.20:
	v_mul_u32_u24_e32 v7, 33, v7
	v_mov_b32_e32 v12, 0
	v_add_lshl_u32 v7, v7, v4, 4
	v_mov_b32_e32 v13, v12
	v_mov_b32_e32 v14, v12
	;; [unrolled: 1-line block ×3, first 2 shown]
	ds_write_b128 v7, v[12:15]
.LBB191_21:
	s_andn2_saveexec_b64 s[10:11], s[10:11]
	s_cbranch_execz .LBB191_23
; %bb.22:
	s_lshl_b32 s12, s26, 3
	s_ashr_i32 s13, s12, 31
	s_lshl_b64 s[12:13], s[12:13], 4
	v_mov_b32_e32 v7, s13
	v_add_co_u32_e32 v8, vcc, s12, v2
	v_addc_co_u32_e32 v9, vcc, v3, v7, vcc
	flat_load_dwordx4 v[12:15], v[8:9]
	v_add_u32_e32 v7, 0x1080, v6
	s_waitcnt vmcnt(0) lgkmcnt(0)
	ds_write2_b64 v7, v[12:13], v[14:15] offset1:1
.LBB191_23:
	s_or_b64 exec, exec, s[10:11]
	v_add_u32_e32 v7, 16, v5
	v_cmp_le_i32_e32 vcc, s18, v7
	s_and_saveexec_b64 s[10:11], vcc
	s_xor_b64 s[10:11], exec, s[10:11]
	s_cbranch_execz .LBB191_25
; %bb.24:
	v_mul_u32_u24_e32 v7, 33, v7
	v_mov_b32_e32 v12, 0
	v_add_lshl_u32 v7, v7, v4, 4
	v_mov_b32_e32 v13, v12
	v_mov_b32_e32 v14, v12
	;; [unrolled: 1-line block ×3, first 2 shown]
	ds_write_b128 v7, v[12:15]
.LBB191_25:
	s_andn2_saveexec_b64 s[10:11], s[10:11]
	s_cbranch_execz .LBB191_27
; %bb.26:
	s_lshl_b32 s12, s26, 4
	s_ashr_i32 s13, s12, 31
	s_lshl_b64 s[12:13], s[12:13], 4
	v_mov_b32_e32 v7, s13
	v_add_co_u32_e32 v8, vcc, s12, v2
	v_addc_co_u32_e32 v9, vcc, v3, v7, vcc
	flat_load_dwordx4 v[12:15], v[8:9]
	v_add_u32_e32 v7, 0x2100, v6
	s_waitcnt vmcnt(0) lgkmcnt(0)
	ds_write2_b64 v7, v[12:13], v[14:15] offset1:1
.LBB191_27:
	s_or_b64 exec, exec, s[10:11]
	v_add_u32_e32 v7, 24, v5
	v_cmp_le_i32_e32 vcc, s18, v7
	s_and_saveexec_b64 s[10:11], vcc
	s_xor_b64 s[10:11], exec, s[10:11]
	s_cbranch_execz .LBB191_29
; %bb.28:
	v_mov_b32_e32 v12, 0
	v_mov_b32_e32 v13, v12
	;; [unrolled: 1-line block ×4, first 2 shown]
	ds_write_b128 v6, v[12:15] offset:12672
                                        ; implicit-def: $vgpr6
.LBB191_29:
	s_andn2_saveexec_b64 s[10:11], s[10:11]
	s_cbranch_execz .LBB191_31
; %bb.30:
	s_mul_i32 s12, s26, 24
	s_ashr_i32 s13, s12, 31
	s_lshl_b64 s[12:13], s[12:13], 4
	v_mov_b32_e32 v7, s13
	v_add_co_u32_e32 v8, vcc, s12, v2
	v_addc_co_u32_e32 v9, vcc, v3, v7, vcc
	flat_load_dwordx4 v[12:15], v[8:9]
	v_add_u32_e32 v6, 0x3180, v6
	s_waitcnt vmcnt(0) lgkmcnt(0)
	ds_write2_b64 v6, v[12:13], v[14:15] offset1:1
.LBB191_31:
	s_or_b64 exec, exec, s[10:11]
	v_add_co_u32_e32 v2, vcc, v2, v11
	v_addc_co_u32_e32 v3, vcc, 0, v3, vcc
	v_mov_b32_e32 v6, s9
	v_subrev_co_u32_e32 v2, vcc, s8, v2
	v_subb_co_u32_e32 v3, vcc, v3, v6, vcc
	v_add_co_u32_e32 v2, vcc, 16, v2
	v_addc_co_u32_e32 v3, vcc, 0, v3, vcc
	v_cndmask_b32_e64 v7, v3, v1, s[2:3]
	v_cndmask_b32_e64 v6, v2, v0, s[2:3]
	s_branch .LBB191_34
.LBB191_32:
                                        ; implicit-def: $vgpr6_vgpr7
	s_cbranch_execz .LBB191_34
; %bb.33:
	flat_load_dwordx4 v[6:9], v[0:1]
	s_lshl_b32 s2, s26, 3
	s_ashr_i32 s3, s2, 31
	s_lshl_b64 s[2:3], s[2:3], 4
	v_add_lshl_u32 v12, v10, v4, 4
	v_mov_b32_e32 v3, s3
	v_add_co_u32_e32 v2, vcc, s2, v0
	v_addc_co_u32_e32 v3, vcc, v1, v3, vcc
	s_ashr_i32 s27, s26, 31
	s_lshl_b64 s[2:3], s[26:27], 7
	v_add_u32_e32 v13, 0x1080, v12
	v_mov_b32_e32 v14, s3
	s_waitcnt vmcnt(0) lgkmcnt(0)
	ds_write2_b64 v12, v[6:7], v[8:9] offset1:1
	flat_load_dwordx4 v[6:9], v[2:3]
	v_add_co_u32_e32 v2, vcc, s2, v2
	v_addc_co_u32_e32 v3, vcc, v3, v14, vcc
	s_waitcnt vmcnt(0) lgkmcnt(0)
	ds_write2_b64 v13, v[6:7], v[8:9] offset1:1
	flat_load_dwordx4 v[6:9], v[2:3]
	v_add_u32_e32 v13, 0x2100, v12
	v_add_co_u32_e32 v2, vcc, s2, v2
	v_addc_co_u32_e32 v3, vcc, v3, v14, vcc
	s_waitcnt vmcnt(0) lgkmcnt(0)
	ds_write2_b64 v13, v[6:7], v[8:9] offset1:1
	flat_load_dwordx4 v[6:9], v[2:3]
	v_add_u32_e32 v2, 0x3180, v12
	s_waitcnt vmcnt(0) lgkmcnt(0)
	ds_write2_b64 v2, v[6:7], v[8:9] offset1:1
	v_pk_mov_b32 v[6:7], v[0:1], v[0:1] op_sel:[0,1]
.LBB191_34:
	v_lshlrev_b32_e32 v0, 2, v5
	v_mul_u32_u24_e32 v12, 33, v4
	v_cmp_gt_u32_e64 s[16:17], v0, v4
	v_add_lshl_u32 v16, v0, v12, 4
	s_waitcnt lgkmcnt(0)
	s_barrier
	s_and_saveexec_b64 s[2:3], s[16:17]
	s_cbranch_execz .LBB191_36
; %bb.35:
	v_mul_u32_u24_e32 v1, 0x84, v5
	v_add_lshl_u32 v1, v1, v4, 4
	ds_read_b128 v[18:21], v1
	s_waitcnt lgkmcnt(0)
	ds_write_b128 v16, v[18:21]
.LBB191_36:
	s_or_b64 exec, exec, s[2:3]
	v_cmp_ge_u32_e64 s[8:9], v0, v4
	s_and_saveexec_b64 s[2:3], s[8:9]
	s_cbranch_execz .LBB191_38
; %bb.37:
	v_or_b32_e32 v1, 1, v0
	v_mul_u32_u24_e32 v1, 33, v1
	v_add_lshl_u32 v1, v1, v4, 4
	ds_read_b128 v[18:21], v1
	s_waitcnt lgkmcnt(0)
	ds_write_b128 v16, v[18:21] offset:16
.LBB191_38:
	s_or_b64 exec, exec, s[2:3]
	v_or_b32_e32 v1, 2, v0
	v_cmp_gt_u32_e64 s[10:11], v1, v4
	s_and_saveexec_b64 s[2:3], s[10:11]
	s_cbranch_execz .LBB191_40
; %bb.39:
	v_mul_u32_u24_e32 v1, 33, v1
	v_add_lshl_u32 v1, v1, v4, 4
	ds_read_b128 v[18:21], v1
	s_waitcnt lgkmcnt(0)
	ds_write_b128 v16, v[18:21] offset:32
.LBB191_40:
	s_or_b64 exec, exec, s[2:3]
	v_or_b32_e32 v1, 3, v0
	v_cmp_gt_u32_e64 s[12:13], v1, v4
	v_mad_u32_u24 v1, v1, 33, v4
	v_lshlrev_b32_e32 v13, 4, v1
	s_and_saveexec_b64 s[2:3], s[12:13]
	s_cbranch_execz .LBB191_42
; %bb.41:
	ds_read_b128 v[18:21], v13
	s_waitcnt lgkmcnt(0)
	ds_write_b128 v16, v[18:21] offset:48
.LBB191_42:
	s_or_b64 exec, exec, s[2:3]
	v_mul_u32_u24_e32 v1, 0x84, v5
	v_lshlrev_b32_e32 v15, 4, v0
	s_waitcnt lgkmcnt(0)
	s_barrier
	v_add_lshl_u32 v14, v1, v4, 4
	ds_read_b128 v[0:3], v15 offset:18176
	ds_read_b128 v[18:21], v14
	ds_read_b128 v[26:29], v15 offset:18192
	ds_read_b128 v[30:33], v15 offset:18208
	v_add_u32_e32 v24, 0xfffffbe0, v13
	ds_read_b128 v[44:47], v24
	ds_read_b128 v[48:51], v24 offset:528
	s_waitcnt lgkmcnt(4)
	v_mul_f64 v[8:9], v[2:3], v[20:21]
	v_fma_f64 v[8:9], v[0:1], v[18:19], -v[8:9]
	v_mul_f64 v[0:1], v[0:1], v[20:21]
	v_fmac_f64_e32 v[0:1], v[2:3], v[18:19]
	s_waitcnt lgkmcnt(1)
	v_mul_f64 v[18:19], v[26:27], v[46:47]
	v_add_f64 v[2:3], v[8:9], 0
	v_add_f64 v[0:1], v[0:1], 0
	v_mul_f64 v[8:9], v[28:29], v[46:47]
	v_fmac_f64_e32 v[18:19], v[28:29], v[44:45]
	v_fma_f64 v[8:9], v[26:27], v[44:45], -v[8:9]
	v_add_f64 v[22:23], v[0:1], v[18:19]
	s_waitcnt lgkmcnt(0)
	v_mul_f64 v[0:1], v[32:33], v[50:51]
	v_add_f64 v[8:9], v[2:3], v[8:9]
	v_fma_f64 v[26:27], v[30:31], v[48:49], -v[0:1]
	ds_read_b128 v[0:3], v15 offset:18224
	ds_read_b128 v[18:21], v13
	v_mul_f64 v[28:29], v[30:31], v[50:51]
	v_fmac_f64_e32 v[28:29], v[32:33], v[48:49]
	v_add_f64 v[8:9], v[8:9], v[26:27]
	v_add_f64 v[22:23], v[22:23], v[28:29]
	s_waitcnt lgkmcnt(0)
	v_mul_f64 v[26:27], v[2:3], v[20:21]
	v_mul_f64 v[20:21], v[0:1], v[20:21]
	v_fma_f64 v[26:27], v[0:1], v[18:19], -v[26:27]
	v_fmac_f64_e32 v[20:21], v[2:3], v[18:19]
	v_add_f64 v[0:1], v[8:9], v[26:27]
	v_add_f64 v[2:3], v[22:23], v[20:21]
	v_add_lshl_u32 v44, v5, v12, 4
	s_barrier
	ds_write_b128 v44, v[0:3]
	v_pk_mov_b32 v[0:1], 0, 0
	v_cmp_gt_u32_e64 s[2:3], 32, v42
	v_lshlrev_b32_e32 v43, 4, v12
	v_pk_mov_b32 v[2:3], v[0:1], v[0:1] op_sel:[0,1]
	s_waitcnt lgkmcnt(0)
	s_barrier
	s_and_saveexec_b64 s[14:15], s[2:3]
	s_cbranch_execz .LBB191_44
; %bb.43:
	ds_read_b128 v[0:3], v43
	ds_read_b128 v[18:21], v43 offset:16
	ds_read_b128 v[26:29], v43 offset:32
	;; [unrolled: 1-line block ×3, first 2 shown]
	s_waitcnt lgkmcnt(2)
	v_add_f64 v[0:1], v[18:19], v[0:1]
	v_add_f64 v[8:9], v[20:21], v[2:3]
	s_waitcnt lgkmcnt(1)
	v_add_f64 v[18:19], v[0:1], v[26:27]
	ds_read_b128 v[0:3], v43 offset:64
	v_add_f64 v[8:9], v[8:9], v[28:29]
	s_waitcnt lgkmcnt(1)
	v_add_f64 v[22:23], v[18:19], v[30:31]
	ds_read_b128 v[18:21], v43 offset:80
	v_add_f64 v[8:9], v[8:9], v[32:33]
	ds_read_b128 v[26:29], v43 offset:96
	s_waitcnt lgkmcnt(2)
	v_add_f64 v[22:23], v[22:23], v[0:1]
	v_add_f64 v[8:9], v[8:9], v[2:3]
	ds_read_b128 v[0:3], v43 offset:112
	s_waitcnt lgkmcnt(2)
	v_add_f64 v[18:19], v[22:23], v[18:19]
	v_add_f64 v[8:9], v[8:9], v[20:21]
	s_waitcnt lgkmcnt(1)
	v_add_f64 v[18:19], v[18:19], v[26:27]
	v_add_f64 v[8:9], v[8:9], v[28:29]
	;; [unrolled: 3-line block ×3, first 2 shown]
.LBB191_44:
	s_or_b64 exec, exec, s[14:15]
	s_lshl_b32 s30, s26, 5
	s_ashr_i32 s31, s30, 31
	s_lshl_b64 s[28:29], s[30:31], 4
	v_mov_b32_e32 v8, s29
	v_add_co_u32_e32 v17, vcc, s28, v6
	v_addc_co_u32_e32 v18, vcc, v7, v8, vcc
	v_add_co_u32_e32 v8, vcc, 0x200, v17
	v_addc_co_u32_e32 v9, vcc, 0, v18, vcc
	s_and_b64 vcc, exec, s[34:35]
	s_barrier
	s_cbranch_vccz .LBB191_62
; %bb.45:
	v_or_b32_e32 v6, 32, v4
	v_lshlrev_b32_e32 v7, 4, v6
	v_sub_co_u32_e32 v7, vcc, v8, v7
	s_ashr_i32 s19, s18, 31
	v_subbrev_co_u32_e32 v19, vcc, 0, v9, vcc
	s_lshl_b64 s[36:37], s[18:19], 4
	v_mov_b32_e32 v20, s37
	v_add_co_u32_e32 v7, vcc, s36, v7
	v_addc_co_u32_e32 v19, vcc, v19, v20, vcc
	v_add_co_u32_e32 v20, vcc, -16, v7
	v_addc_co_u32_e32 v7, vcc, -1, v19, vcc
	v_cmp_gt_i32_e64 s[14:15], s18, v6
	s_sub_i32 s19, s18, 32
	v_cndmask_b32_e64 v7, v7, v9, s[14:15]
	v_cndmask_b32_e64 v6, v20, v8, s[14:15]
	v_cmp_le_i32_e32 vcc, s19, v5
	v_add_lshl_u32 v19, v10, v4, 4
	s_and_saveexec_b64 s[38:39], vcc
	s_xor_b64 s[38:39], exec, s[38:39]
	s_cbranch_execz .LBB191_47
; %bb.46:
	v_mov_b32_e32 v20, 0
	v_mov_b32_e32 v21, v20
	;; [unrolled: 1-line block ×4, first 2 shown]
	ds_write_b128 v19, v[20:23]
.LBB191_47:
	s_andn2_saveexec_b64 s[38:39], s[38:39]
	s_cbranch_execz .LBB191_49
; %bb.48:
	flat_load_dwordx4 v[20:23], v[6:7]
	s_waitcnt vmcnt(0) lgkmcnt(0)
	ds_write2_b64 v19, v[20:21], v[22:23] offset1:1
.LBB191_49:
	s_or_b64 exec, exec, s[38:39]
	v_add_u32_e32 v20, 8, v5
	v_cmp_le_i32_e32 vcc, s19, v20
	s_and_saveexec_b64 s[38:39], vcc
	s_xor_b64 s[38:39], exec, s[38:39]
	s_cbranch_execz .LBB191_51
; %bb.50:
	v_mul_u32_u24_e32 v20, 33, v20
	v_add_lshl_u32 v25, v20, v4, 4
	v_mov_b32_e32 v20, 0
	v_mov_b32_e32 v21, v20
	;; [unrolled: 1-line block ×4, first 2 shown]
	ds_write_b128 v25, v[20:23]
.LBB191_51:
	s_andn2_saveexec_b64 s[38:39], s[38:39]
	s_cbranch_execz .LBB191_53
; %bb.52:
	s_lshl_b32 s42, s26, 3
	s_ashr_i32 s43, s42, 31
	s_lshl_b64 s[42:43], s[42:43], 4
	v_mov_b32_e32 v21, s43
	v_add_co_u32_e32 v20, vcc, s42, v6
	v_addc_co_u32_e32 v21, vcc, v7, v21, vcc
	flat_load_dwordx4 v[20:23], v[20:21]
	v_add_u32_e32 v25, 0x1080, v19
	s_waitcnt vmcnt(0) lgkmcnt(0)
	ds_write2_b64 v25, v[20:21], v[22:23] offset1:1
.LBB191_53:
	s_or_b64 exec, exec, s[38:39]
	v_add_u32_e32 v20, 16, v5
	v_cmp_le_i32_e32 vcc, s19, v20
	s_and_saveexec_b64 s[38:39], vcc
	s_xor_b64 s[38:39], exec, s[38:39]
	s_cbranch_execz .LBB191_55
; %bb.54:
	v_mul_u32_u24_e32 v20, 33, v20
	v_add_lshl_u32 v25, v20, v4, 4
	v_mov_b32_e32 v20, 0
	v_mov_b32_e32 v21, v20
	;; [unrolled: 1-line block ×4, first 2 shown]
	ds_write_b128 v25, v[20:23]
.LBB191_55:
	s_andn2_saveexec_b64 s[38:39], s[38:39]
	s_cbranch_execz .LBB191_57
; %bb.56:
	s_lshl_b32 s42, s26, 4
	s_ashr_i32 s43, s42, 31
	s_lshl_b64 s[42:43], s[42:43], 4
	v_mov_b32_e32 v21, s43
	v_add_co_u32_e32 v20, vcc, s42, v6
	v_addc_co_u32_e32 v21, vcc, v7, v21, vcc
	flat_load_dwordx4 v[20:23], v[20:21]
	v_add_u32_e32 v25, 0x2100, v19
	s_waitcnt vmcnt(0) lgkmcnt(0)
	ds_write2_b64 v25, v[20:21], v[22:23] offset1:1
.LBB191_57:
	s_or_b64 exec, exec, s[38:39]
	v_add_u32_e32 v20, 24, v5
	v_cmp_le_i32_e32 vcc, s19, v20
	s_and_saveexec_b64 s[38:39], vcc
	s_xor_b64 s[38:39], exec, s[38:39]
	s_cbranch_execz .LBB191_59
; %bb.58:
	v_mov_b32_e32 v20, 0
	v_mov_b32_e32 v21, v20
	;; [unrolled: 1-line block ×4, first 2 shown]
	ds_write_b128 v19, v[20:23] offset:12672
                                        ; implicit-def: $vgpr19
.LBB191_59:
	s_andn2_saveexec_b64 s[38:39], s[38:39]
	s_cbranch_execz .LBB191_61
; %bb.60:
	s_mul_i32 s42, s26, 24
	s_ashr_i32 s43, s42, 31
	s_lshl_b64 s[42:43], s[42:43], 4
	v_mov_b32_e32 v21, s43
	v_add_co_u32_e32 v20, vcc, s42, v6
	v_addc_co_u32_e32 v21, vcc, v7, v21, vcc
	flat_load_dwordx4 v[20:23], v[20:21]
	v_add_u32_e32 v19, 0x3180, v19
	s_waitcnt vmcnt(0) lgkmcnt(0)
	ds_write2_b64 v19, v[20:21], v[22:23] offset1:1
.LBB191_61:
	s_or_b64 exec, exec, s[38:39]
	v_add_co_u32_e32 v6, vcc, v6, v11
	v_addc_co_u32_e32 v7, vcc, 0, v7, vcc
	v_mov_b32_e32 v19, s37
	v_subrev_co_u32_e32 v6, vcc, s36, v6
	v_subb_co_u32_e32 v7, vcc, v7, v19, vcc
	v_add_co_u32_e32 v6, vcc, 0x210, v6
	v_addc_co_u32_e32 v7, vcc, 0, v7, vcc
	v_cndmask_b32_e64 v7, v7, v9, s[14:15]
	v_cndmask_b32_e64 v6, v6, v8, s[14:15]
	s_branch .LBB191_64
.LBB191_62:
                                        ; implicit-def: $vgpr6_vgpr7
	s_cbranch_execz .LBB191_64
; %bb.63:
	flat_load_dwordx4 v[20:23], v[8:9]
	s_lshl_b32 s14, s26, 3
	s_ashr_i32 s15, s14, 31
	s_lshl_b64 s[14:15], s[14:15], 4
	v_add_lshl_u32 v25, v10, v4, 4
	v_mov_b32_e32 v7, s15
	v_add_co_u32_e32 v6, vcc, s14, v17
	v_addc_co_u32_e32 v7, vcc, v18, v7, vcc
	s_ashr_i32 s27, s26, 31
	s_lshl_b64 s[14:15], s[26:27], 7
	v_add_u32_e32 v17, 0x1080, v25
	s_waitcnt vmcnt(0) lgkmcnt(0)
	ds_write2_b64 v25, v[20:21], v[22:23] offset1:1
	flat_load_dwordx4 v[18:21], v[6:7] offset:512
	v_mov_b32_e32 v22, s15
	v_add_co_u32_e32 v6, vcc, s14, v6
	v_addc_co_u32_e32 v7, vcc, v7, v22, vcc
	s_waitcnt vmcnt(0) lgkmcnt(0)
	ds_write2_b64 v17, v[18:19], v[20:21] offset1:1
	flat_load_dwordx4 v[18:21], v[6:7] offset:512
	v_add_u32_e32 v17, 0x2100, v25
	v_add_co_u32_e32 v6, vcc, s14, v6
	v_addc_co_u32_e32 v7, vcc, v7, v22, vcc
	s_waitcnt vmcnt(0) lgkmcnt(0)
	ds_write2_b64 v17, v[18:19], v[20:21] offset1:1
	flat_load_dwordx4 v[18:21], v[6:7] offset:512
	v_add_u32_e32 v6, 0x3180, v25
	s_waitcnt vmcnt(0) lgkmcnt(0)
	ds_write2_b64 v6, v[18:19], v[20:21] offset1:1
	v_pk_mov_b32 v[6:7], v[8:9], v[8:9] op_sel:[0,1]
.LBB191_64:
	s_waitcnt lgkmcnt(0)
	s_barrier
	s_and_saveexec_b64 s[14:15], s[16:17]
	s_cbranch_execnz .LBB191_89
; %bb.65:
	s_or_b64 exec, exec, s[14:15]
	s_and_saveexec_b64 s[14:15], s[8:9]
	s_cbranch_execnz .LBB191_90
.LBB191_66:
	s_or_b64 exec, exec, s[14:15]
	s_and_saveexec_b64 s[8:9], s[10:11]
	s_cbranch_execnz .LBB191_91
.LBB191_67:
	s_or_b64 exec, exec, s[8:9]
	v_add_u32_e32 v15, 0x4700, v15
	s_and_saveexec_b64 s[8:9], s[12:13]
	s_cbranch_execz .LBB191_69
.LBB191_68:
	ds_read_b128 v[18:21], v13
	s_waitcnt lgkmcnt(0)
	ds_write_b128 v16, v[18:21] offset:48
.LBB191_69:
	s_or_b64 exec, exec, s[8:9]
	s_waitcnt lgkmcnt(0)
	s_barrier
	ds_read_b128 v[16:19], v15 offset:512
	ds_read_b128 v[20:23], v14
	ds_read_b128 v[26:29], v15 offset:528
	ds_read_b128 v[30:33], v15 offset:544
	;; [unrolled: 1-line block ×3, first 2 shown]
	ds_read_b128 v[50:53], v24
	v_cmp_eq_u32_e64 s[8:9], 1, v5
	s_waitcnt lgkmcnt(4)
	v_mul_f64 v[8:9], v[18:19], v[22:23]
	v_fma_f64 v[8:9], v[16:17], v[20:21], -v[8:9]
	v_mul_f64 v[16:17], v[16:17], v[22:23]
	v_fmac_f64_e32 v[16:17], v[18:19], v[20:21]
	v_add_f64 v[20:21], v[16:17], 0
	s_waitcnt lgkmcnt(0)
	v_mul_f64 v[16:17], v[28:29], v[52:53]
	v_fma_f64 v[22:23], v[26:27], v[50:51], -v[16:17]
	v_mul_f64 v[26:27], v[26:27], v[52:53]
	v_add_f64 v[8:9], v[8:9], 0
	ds_read_b128 v[16:19], v24 offset:528
	v_fmac_f64_e32 v[26:27], v[28:29], v[50:51]
	v_add_f64 v[8:9], v[8:9], v[22:23]
	v_add_f64 v[26:27], v[20:21], v[26:27]
	ds_read_b128 v[20:23], v13
	s_waitcnt lgkmcnt(1)
	v_mul_f64 v[28:29], v[32:33], v[18:19]
	v_mul_f64 v[18:19], v[30:31], v[18:19]
	v_fma_f64 v[28:29], v[30:31], v[16:17], -v[28:29]
	v_fmac_f64_e32 v[18:19], v[32:33], v[16:17]
	s_waitcnt lgkmcnt(0)
	v_mul_f64 v[16:17], v[48:49], v[22:23]
	v_mul_f64 v[22:23], v[46:47], v[22:23]
	v_add_f64 v[8:9], v[8:9], v[28:29]
	v_add_f64 v[18:19], v[26:27], v[18:19]
	v_fma_f64 v[16:17], v[46:47], v[20:21], -v[16:17]
	v_fmac_f64_e32 v[22:23], v[48:49], v[20:21]
	v_add_f64 v[16:17], v[8:9], v[16:17]
	v_add_f64 v[18:19], v[18:19], v[22:23]
	s_barrier
	ds_write_b128 v44, v[16:19]
	s_waitcnt lgkmcnt(0)
	s_barrier
	s_and_saveexec_b64 s[10:11], s[8:9]
	s_cbranch_execz .LBB191_71
; %bb.70:
	ds_read_b128 v[0:3], v43
	ds_read_b128 v[16:19], v43 offset:16
	ds_read_b128 v[20:23], v43 offset:32
	;; [unrolled: 1-line block ×3, first 2 shown]
	s_waitcnt lgkmcnt(2)
	v_add_f64 v[0:1], v[16:17], v[0:1]
	v_add_f64 v[8:9], v[18:19], v[2:3]
	s_waitcnt lgkmcnt(1)
	v_add_f64 v[16:17], v[0:1], v[20:21]
	ds_read_b128 v[0:3], v43 offset:64
	v_add_f64 v[8:9], v[8:9], v[22:23]
	s_waitcnt lgkmcnt(1)
	v_add_f64 v[20:21], v[16:17], v[26:27]
	ds_read_b128 v[16:19], v43 offset:80
	;; [unrolled: 4-line block ×3, first 2 shown]
	v_add_f64 v[8:9], v[8:9], v[2:3]
	ds_read_b128 v[0:3], v43 offset:112
	s_waitcnt lgkmcnt(2)
	v_add_f64 v[16:17], v[26:27], v[16:17]
	v_add_f64 v[8:9], v[8:9], v[18:19]
	s_waitcnt lgkmcnt(1)
	v_add_f64 v[16:17], v[16:17], v[20:21]
	v_add_f64 v[8:9], v[8:9], v[22:23]
	;; [unrolled: 3-line block ×3, first 2 shown]
.LBB191_71:
	s_or_b64 exec, exec, s[10:11]
	v_add_co_u32_e32 v6, vcc, 0xfffffe00, v6
	v_addc_co_u32_e32 v7, vcc, -1, v7, vcc
	s_and_b64 vcc, exec, s[34:35]
	s_barrier
	s_cbranch_vccz .LBB191_92
; %bb.72:
	v_sub_co_u32_e32 v8, vcc, v6, v11
	s_ashr_i32 s19, s18, 31
	v_subbrev_co_u32_e32 v9, vcc, 0, v7, vcc
	s_lshl_b64 s[12:13], s[18:19], 4
	v_mov_b32_e32 v16, s13
	v_add_co_u32_e32 v8, vcc, s12, v8
	v_addc_co_u32_e32 v9, vcc, v9, v16, vcc
	v_add_co_u32_e32 v8, vcc, -16, v8
	v_addc_co_u32_e32 v9, vcc, -1, v9, vcc
	v_cmp_gt_i32_e32 vcc, s18, v4
	s_sub_i32 s16, s18, 32
	v_cndmask_b32_e32 v9, v9, v7, vcc
	v_cndmask_b32_e32 v8, v8, v6, vcc
	v_cmp_le_i32_e64 s[10:11], s16, v5
	v_add_lshl_u32 v19, v10, v4, 4
	s_and_saveexec_b64 s[14:15], s[10:11]
	s_xor_b64 s[10:11], exec, s[14:15]
	s_cbranch_execz .LBB191_74
; %bb.73:
	v_mov_b32_e32 v20, 0
	v_mov_b32_e32 v21, v20
	v_mov_b32_e32 v22, v20
	v_mov_b32_e32 v23, v20
	ds_write_b128 v19, v[20:23]
.LBB191_74:
	s_andn2_saveexec_b64 s[10:11], s[10:11]
	s_cbranch_execz .LBB191_76
; %bb.75:
	flat_load_dwordx4 v[20:23], v[8:9]
	s_waitcnt vmcnt(0) lgkmcnt(0)
	ds_write2_b64 v19, v[20:21], v[22:23] offset1:1
.LBB191_76:
	s_or_b64 exec, exec, s[10:11]
	v_add_u32_e32 v16, 8, v5
	v_cmp_le_i32_e64 s[10:11], s16, v16
	s_and_saveexec_b64 s[14:15], s[10:11]
	s_xor_b64 s[10:11], exec, s[14:15]
	s_cbranch_execz .LBB191_78
; %bb.77:
	v_mul_u32_u24_e32 v17, 33, v16
	v_mov_b32_e32 v20, 0
	v_add_lshl_u32 v17, v17, v4, 4
	v_mov_b32_e32 v21, v20
	v_mov_b32_e32 v22, v20
	;; [unrolled: 1-line block ×3, first 2 shown]
	ds_write_b128 v17, v[20:23]
.LBB191_78:
	s_andn2_saveexec_b64 s[14:15], s[10:11]
	s_cbranch_execz .LBB191_80
; %bb.79:
	s_lshl_b32 s10, s26, 3
	s_ashr_i32 s11, s10, 31
	s_lshl_b64 s[10:11], s[10:11], 4
	v_mov_b32_e32 v17, s11
	v_add_co_u32_e64 v20, s[10:11], s10, v8
	v_addc_co_u32_e64 v21, s[10:11], v9, v17, s[10:11]
	flat_load_dwordx4 v[20:23], v[20:21]
	v_add_u32_e32 v17, 0x1080, v19
	s_waitcnt vmcnt(0) lgkmcnt(0)
	ds_write2_b64 v17, v[20:21], v[22:23] offset1:1
.LBB191_80:
	s_or_b64 exec, exec, s[14:15]
	v_add_u32_e32 v17, 16, v5
	v_cmp_le_i32_e64 s[10:11], s16, v17
	s_and_saveexec_b64 s[14:15], s[10:11]
	s_xor_b64 s[10:11], exec, s[14:15]
	s_cbranch_execz .LBB191_82
; %bb.81:
	v_mul_u32_u24_e32 v18, 33, v17
	v_mov_b32_e32 v20, 0
	v_add_lshl_u32 v18, v18, v4, 4
	v_mov_b32_e32 v21, v20
	v_mov_b32_e32 v22, v20
	;; [unrolled: 1-line block ×3, first 2 shown]
	ds_write_b128 v18, v[20:23]
.LBB191_82:
	s_andn2_saveexec_b64 s[14:15], s[10:11]
	s_cbranch_execz .LBB191_84
; %bb.83:
	s_lshl_b32 s10, s26, 4
	s_ashr_i32 s11, s10, 31
	s_lshl_b64 s[10:11], s[10:11], 4
	v_mov_b32_e32 v18, s11
	v_add_co_u32_e64 v20, s[10:11], s10, v8
	v_addc_co_u32_e64 v21, s[10:11], v9, v18, s[10:11]
	flat_load_dwordx4 v[20:23], v[20:21]
	v_add_u32_e32 v18, 0x2100, v19
	s_waitcnt vmcnt(0) lgkmcnt(0)
	ds_write2_b64 v18, v[20:21], v[22:23] offset1:1
.LBB191_84:
	s_or_b64 exec, exec, s[14:15]
	v_add_u32_e32 v18, 24, v5
	v_cmp_le_i32_e64 s[10:11], s16, v18
	s_and_saveexec_b64 s[14:15], s[10:11]
	s_xor_b64 s[10:11], exec, s[14:15]
	s_cbranch_execz .LBB191_86
; %bb.85:
	v_mov_b32_e32 v20, 0
	v_mov_b32_e32 v21, v20
	;; [unrolled: 1-line block ×4, first 2 shown]
	ds_write_b128 v19, v[20:23] offset:12672
                                        ; implicit-def: $vgpr19
.LBB191_86:
	s_andn2_saveexec_b64 s[14:15], s[10:11]
	s_cbranch_execz .LBB191_88
; %bb.87:
	s_mul_i32 s10, s26, 24
	s_ashr_i32 s11, s10, 31
	s_lshl_b64 s[10:11], s[10:11], 4
	v_mov_b32_e32 v21, s11
	v_add_co_u32_e64 v20, s[10:11], s10, v8
	v_addc_co_u32_e64 v21, s[10:11], v9, v21, s[10:11]
	flat_load_dwordx4 v[20:23], v[20:21]
	v_add_u32_e32 v19, 0x3180, v19
	s_waitcnt vmcnt(0) lgkmcnt(0)
	ds_write2_b64 v19, v[20:21], v[22:23] offset1:1
.LBB191_88:
	s_or_b64 exec, exec, s[14:15]
	v_add_co_u32_e64 v8, s[10:11], v8, v11
	v_addc_co_u32_e64 v9, s[10:11], 0, v9, s[10:11]
	v_mov_b32_e32 v11, s13
	v_subrev_co_u32_e64 v8, s[10:11], s12, v8
	v_subb_co_u32_e64 v9, s[10:11], v9, v11, s[10:11]
	v_add_co_u32_e64 v8, s[10:11], 16, v8
	v_addc_co_u32_e64 v9, s[10:11], 0, v9, s[10:11]
	v_cndmask_b32_e32 v41, v9, v7, vcc
	v_cndmask_b32_e32 v40, v8, v6, vcc
	s_branch .LBB191_94
.LBB191_89:
	ds_read_b128 v[18:21], v14
	s_waitcnt lgkmcnt(0)
	ds_write_b128 v16, v[18:21]
	s_or_b64 exec, exec, s[14:15]
	s_and_saveexec_b64 s[14:15], s[8:9]
	s_cbranch_execz .LBB191_66
.LBB191_90:
	ds_read_b128 v[18:21], v24
	s_waitcnt lgkmcnt(0)
	ds_write_b128 v16, v[18:21] offset:16
	s_or_b64 exec, exec, s[14:15]
	s_and_saveexec_b64 s[8:9], s[10:11]
	s_cbranch_execz .LBB191_67
.LBB191_91:
	v_add_u32_e32 v8, 0x210, v24
	ds_read_b128 v[18:21], v8
	s_waitcnt lgkmcnt(0)
	ds_write_b128 v16, v[18:21] offset:32
	s_or_b64 exec, exec, s[8:9]
	v_add_u32_e32 v15, 0x4700, v15
	s_and_saveexec_b64 s[8:9], s[12:13]
	s_cbranch_execnz .LBB191_68
	s_branch .LBB191_69
.LBB191_92:
                                        ; implicit-def: $vgpr40_vgpr41
                                        ; implicit-def: $vgpr16
                                        ; implicit-def: $vgpr17
                                        ; implicit-def: $vgpr18
	s_cbranch_execz .LBB191_94
; %bb.93:
	flat_load_dwordx4 v[16:19], v[6:7]
	s_lshl_b32 s10, s26, 3
	s_ashr_i32 s11, s10, 31
	s_lshl_b64 s[10:11], s[10:11], 4
	v_add_lshl_u32 v4, v10, v4, 4
	v_mov_b32_e32 v8, s11
	v_add_co_u32_e32 v20, vcc, s10, v6
	v_addc_co_u32_e32 v21, vcc, v7, v8, vcc
	s_ashr_i32 s27, s26, 31
	s_lshl_b64 s[10:11], s[26:27], 7
	v_pk_mov_b32 v[40:41], v[6:7], v[6:7] op_sel:[0,1]
	s_waitcnt vmcnt(0) lgkmcnt(0)
	ds_write2_b64 v4, v[16:17], v[18:19] offset1:1
	flat_load_dwordx4 v[8:11], v[20:21]
	v_add_u32_e32 v18, 0x1080, v4
	v_mov_b32_e32 v19, s11
	v_add_co_u32_e32 v16, vcc, s10, v20
	v_addc_co_u32_e32 v17, vcc, v21, v19, vcc
	s_waitcnt vmcnt(0) lgkmcnt(0)
	ds_write2_b64 v18, v[8:9], v[10:11] offset1:1
	flat_load_dwordx4 v[8:11], v[16:17]
	v_add_u32_e32 v18, 0x2100, v4
	v_add_co_u32_e32 v16, vcc, s10, v16
	v_addc_co_u32_e32 v17, vcc, v17, v19, vcc
	v_add_u32_e32 v4, 0x3180, v4
	s_waitcnt vmcnt(0) lgkmcnt(0)
	ds_write2_b64 v18, v[8:9], v[10:11] offset1:1
	flat_load_dwordx4 v[8:11], v[16:17]
	v_add_u32_e32 v16, 8, v5
	v_add_u32_e32 v17, 16, v5
	v_add_u32_e32 v18, 24, v5
	s_waitcnt vmcnt(0) lgkmcnt(0)
	ds_write2_b64 v4, v[8:9], v[10:11] offset1:1
.LBB191_94:
	v_lshlrev_b32_e32 v4, 4, v5
	s_waitcnt lgkmcnt(0)
	s_barrier
	ds_read_b128 v[46:49], v44
	ds_read_b128 v[50:53], v4 offset:18176
	v_add_lshl_u32 v4, v16, v12, 4
	v_lshlrev_b32_e32 v10, 4, v16
	ds_read_b128 v[54:57], v4
	ds_read_b128 v[4:7], v24 offset:528
	ds_read_b128 v[58:61], v10 offset:18176
	s_waitcnt lgkmcnt(3)
	v_mul_f64 v[8:9], v[48:49], v[52:53]
	v_add_lshl_u32 v10, v17, v12, 4
	v_lshlrev_b32_e32 v16, 4, v17
	v_fma_f64 v[8:9], v[46:47], v[50:51], -v[8:9]
	ds_read_b128 v[62:65], v10
	ds_read_b128 v[66:69], v16 offset:18176
	s_waitcnt lgkmcnt(2)
	v_mul_f64 v[10:11], v[56:57], v[60:61]
	v_add_f64 v[8:9], v[8:9], 0
	v_fma_f64 v[10:11], v[54:55], v[58:59], -v[10:11]
	v_add_f64 v[8:9], v[8:9], v[10:11]
	v_add_lshl_u32 v10, v18, v12, 4
	v_lshlrev_b32_e32 v12, 4, v18
	v_mul_f64 v[74:75], v[46:47], v[52:53]
	v_mul_f64 v[60:61], v[54:55], v[60:61]
	ds_read_b128 v[52:55], v10
	ds_read_b128 v[70:73], v12 offset:18176
	s_waitcnt lgkmcnt(2)
	v_mul_f64 v[10:11], v[64:65], v[68:69]
	v_fma_f64 v[10:11], v[62:63], v[66:67], -v[10:11]
	v_add_f64 v[16:17], v[8:9], v[10:11]
	ds_read_b128 v[8:11], v13
	s_waitcnt lgkmcnt(1)
	v_mul_f64 v[12:13], v[54:55], v[72:73]
	v_fma_f64 v[12:13], v[52:53], v[70:71], -v[12:13]
	v_add_f64 v[46:47], v[16:17], v[12:13]
	ds_read_b128 v[20:23], v15 offset:528
	ds_read_b128 v[16:19], v15 offset:544
	;; [unrolled: 1-line block ×3, first 2 shown]
	ds_read_b128 v[32:35], v14
	ds_read_b128 v[12:15], v15 offset:560
	ds_read_b128 v[24:27], v24
	v_fmac_f64_e32 v[74:75], v[48:49], v[50:51]
	v_mul_f64 v[62:63], v[62:63], v[68:69]
	v_add_f64 v[48:49], v[74:75], 0
	v_fmac_f64_e32 v[60:61], v[56:57], v[58:59]
	v_mul_f64 v[52:53], v[52:53], v[72:73]
	v_add_f64 v[48:49], v[48:49], v[60:61]
	v_fmac_f64_e32 v[62:63], v[64:65], v[66:67]
	v_add_f64 v[48:49], v[48:49], v[62:63]
	v_fmac_f64_e32 v[52:53], v[54:55], v[70:71]
	v_add_f64 v[48:49], v[48:49], v[52:53]
	s_waitcnt lgkmcnt(0)
	s_barrier
	ds_write_b128 v44, v[46:49]
	s_waitcnt lgkmcnt(0)
	s_barrier
	s_and_saveexec_b64 s[10:11], s[8:9]
	s_cbranch_execz .LBB191_96
; %bb.95:
	ds_read_b128 v[46:49], v43
	ds_read_b128 v[50:53], v43 offset:16
	ds_read_b128 v[54:57], v43 offset:32
	;; [unrolled: 1-line block ×3, first 2 shown]
	s_waitcnt lgkmcnt(3)
	v_add_f64 v[0:1], v[0:1], v[46:47]
	v_add_f64 v[2:3], v[2:3], v[48:49]
	s_waitcnt lgkmcnt(2)
	v_add_f64 v[0:1], v[0:1], v[50:51]
	v_add_f64 v[46:47], v[2:3], v[52:53]
	s_waitcnt lgkmcnt(1)
	v_add_f64 v[48:49], v[0:1], v[54:55]
	ds_read_b128 v[0:3], v43 offset:64
	v_add_f64 v[46:47], v[46:47], v[56:57]
	s_waitcnt lgkmcnt(1)
	v_add_f64 v[50:51], v[48:49], v[58:59]
	v_add_f64 v[54:55], v[46:47], v[60:61]
	ds_read_b128 v[46:49], v43 offset:80
	s_waitcnt lgkmcnt(1)
	v_add_f64 v[56:57], v[50:51], v[0:1]
	ds_read_b128 v[50:53], v43 offset:96
	v_add_f64 v[54:55], v[54:55], v[2:3]
	ds_read_b128 v[0:3], v43 offset:112
	s_waitcnt lgkmcnt(2)
	v_add_f64 v[46:47], v[56:57], v[46:47]
	v_add_f64 v[48:49], v[54:55], v[48:49]
	s_waitcnt lgkmcnt(1)
	v_add_f64 v[46:47], v[46:47], v[50:51]
	v_add_f64 v[48:49], v[48:49], v[52:53]
	s_waitcnt lgkmcnt(0)
	v_add_f64 v[0:1], v[46:47], v[0:1]
	v_add_f64 v[2:3], v[48:49], v[2:3]
.LBB191_96:
	s_or_b64 exec, exec, s[10:11]
	v_mul_f64 v[46:47], v[30:31], v[34:35]
	v_fma_f64 v[46:47], v[28:29], v[32:33], -v[46:47]
	v_mul_f64 v[28:29], v[28:29], v[34:35]
	v_fmac_f64_e32 v[28:29], v[30:31], v[32:33]
	v_mul_f64 v[32:33], v[22:23], v[26:27]
	v_fma_f64 v[32:33], v[20:21], v[24:25], -v[32:33]
	v_mul_f64 v[20:21], v[20:21], v[26:27]
	v_add_f64 v[30:31], v[46:47], 0
	v_add_f64 v[28:29], v[28:29], 0
	v_fmac_f64_e32 v[20:21], v[22:23], v[24:25]
	v_mul_f64 v[24:25], v[18:19], v[6:7]
	v_mul_f64 v[6:7], v[16:17], v[6:7]
	v_add_f64 v[22:23], v[30:31], v[32:33]
	v_add_f64 v[20:21], v[28:29], v[20:21]
	v_fma_f64 v[24:25], v[16:17], v[4:5], -v[24:25]
	v_fmac_f64_e32 v[6:7], v[18:19], v[4:5]
	v_mul_f64 v[16:17], v[14:15], v[10:11]
	v_mul_f64 v[10:11], v[12:13], v[10:11]
	v_add_f64 v[4:5], v[22:23], v[24:25]
	v_add_f64 v[6:7], v[20:21], v[6:7]
	v_fma_f64 v[16:17], v[12:13], v[8:9], -v[16:17]
	v_fmac_f64_e32 v[10:11], v[14:15], v[8:9]
	v_add_f64 v[4:5], v[4:5], v[16:17]
	v_add_f64 v[6:7], v[6:7], v[10:11]
	s_barrier
	ds_write_b128 v44, v[4:7]
	s_waitcnt lgkmcnt(0)
	s_barrier
	s_and_saveexec_b64 s[8:9], s[2:3]
	s_cbranch_execz .LBB191_98
; %bb.97:
	ds_read_b128 v[4:7], v43
	ds_read_b128 v[8:11], v43 offset:16
	ds_read_b128 v[12:15], v43 offset:32
	;; [unrolled: 1-line block ×3, first 2 shown]
	s_waitcnt lgkmcnt(3)
	v_add_f64 v[0:1], v[0:1], v[4:5]
	v_add_f64 v[2:3], v[2:3], v[6:7]
	s_waitcnt lgkmcnt(2)
	v_add_f64 v[0:1], v[0:1], v[8:9]
	v_add_f64 v[4:5], v[2:3], v[10:11]
	s_waitcnt lgkmcnt(1)
	v_add_f64 v[6:7], v[0:1], v[12:13]
	ds_read_b128 v[0:3], v43 offset:64
	v_add_f64 v[4:5], v[4:5], v[14:15]
	s_waitcnt lgkmcnt(1)
	v_add_f64 v[8:9], v[6:7], v[16:17]
	v_add_f64 v[12:13], v[4:5], v[18:19]
	ds_read_b128 v[4:7], v43 offset:80
	s_waitcnt lgkmcnt(1)
	v_add_f64 v[14:15], v[8:9], v[0:1]
	ds_read_b128 v[8:11], v43 offset:96
	v_add_f64 v[12:13], v[12:13], v[2:3]
	ds_read_b128 v[0:3], v43 offset:112
	s_waitcnt lgkmcnt(2)
	v_add_f64 v[4:5], v[14:15], v[4:5]
	v_add_f64 v[6:7], v[12:13], v[6:7]
	s_waitcnt lgkmcnt(1)
	v_add_f64 v[4:5], v[4:5], v[8:9]
	v_add_f64 v[6:7], v[6:7], v[10:11]
	;; [unrolled: 3-line block ×3, first 2 shown]
.LBB191_98:
	s_or_b64 exec, exec, s[8:9]
	s_load_dwordx2 s[2:3], s[4:5], 0x78
	s_mul_hi_u32 s4, s40, s22
	s_mul_i32 s41, s41, s22
	s_add_i32 s4, s4, s41
	s_mul_i32 s8, s40, s22
	s_mul_i32 s4, s4, s7
	s_mul_hi_u32 s5, s8, s7
	s_add_i32 s5, s5, s4
	s_mul_i32 s4, s8, s7
	s_lshl_b64 s[4:5], s[4:5], 4
	s_waitcnt lgkmcnt(0)
	s_add_u32 s4, s2, s4
	s_addc_u32 s5, s3, s5
	s_mul_hi_i32 s3, s40, s6
	s_mul_i32 s2, s40, s6
	s_lshl_b64 s[2:3], s[2:3], 4
	s_add_u32 s19, s4, s2
	s_addc_u32 s25, s5, s3
	s_add_i32 s10, s6, 1
	s_cmp_ge_u32 s10, s7
	v_lshlrev_b32_e32 v211, 4, v168
	s_barrier
	s_cbranch_scc1 .LBB191_156
; %bb.99:
	v_and_b32_e32 v8, 48, v168
	s_mul_i32 s2, s24, s23
	v_and_b32_e32 v6, 15, v168
	v_lshlrev_b32_e32 v9, 4, v8
	s_movk_i32 s4, 0x430
	s_ashr_i32 s3, s2, 31
	v_lshrrev_b32_e32 v7, 4, v42
	v_mad_u32_u24 v217, v6, s4, v9
	v_or_b32_e32 v9, 0xf0, v211
	s_lshl_b64 s[2:3], s[2:3], 4
	v_mad_u32_u24 v218, v6, s4, v9
	v_lshlrev_b32_e32 v9, 6, v7
	v_lshlrev_b32_e32 v212, 2, v209
	v_mov_b32_e32 v4, s3
	v_subrev_co_u32_e32 v213, vcc, s2, v36
	s_lshl_b32 s35, s23, 6
	s_lshl_b32 s8, s26, 4
	v_mad_u32_u24 v219, v6, s4, v9
	s_ashr_i32 s27, s26, 31
	s_lshl_b32 s16, s26, 1
	s_movk_i32 s4, 0x10c0
	s_mul_i32 s14, s26, 3
	s_mul_i32 s23, s23, s10
	v_subb_co_u32_e32 v214, vcc, v37, v4, vcc
	v_mad_u64_u32 v[4:5], s[2:3], v212, s26, v[168:169]
	s_add_i32 s34, s7, -2
	s_ashr_i32 s9, s8, 31
	s_ashr_i32 s17, s16, 31
	v_mad_u32_u24 v224, v209, s4, v211
	s_ashr_i32 s15, s14, 31
	s_lshl_b64 s[4:5], s[26:27], 4
	s_lshl_b32 s10, s23, 6
	s_lshl_b64 s[22:23], s[26:27], 5
	v_ashrrev_i32_e32 v5, 31, v4
	v_mul_i32_i24_e32 v10, 0xffffffd0, v7
	v_add_u32_e32 v7, s24, v8
	v_sub_co_u32_e32 v237, vcc, 0, v38
	s_add_u32 s11, s22, s28
	v_mov_b32_e32 v9, 0x4300
	v_add3_u32 v170, v7, v6, 64
	v_subb_co_u32_e32 v238, vcc, 0, v39, vcc
	s_addc_u32 s24, s23, s29
	v_lshlrev_b64 v[6:7], 4, v[4:5]
	v_lshl_add_u32 v223, v209, 6, v9
	v_mov_b32_e32 v8, s24
	v_add_co_u32_e32 v9, vcc, s11, v6
	v_addc_co_u32_e32 v8, vcc, v8, v7, vcc
	v_add_co_u32_e32 v172, vcc, v40, v9
	v_addc_co_u32_e32 v167, vcc, v41, v8, vcc
	v_mov_b32_e32 v8, s31
	v_add_co_u32_e32 v4, vcc, s30, v4
	v_addc_co_u32_e32 v5, vcc, v8, v5, vcc
	v_lshlrev_b64 v[4:5], 4, v[4:5]
	s_mul_i32 s36, s26, 0x300
	v_mad_i64_i32 v[8:9], s[26:27], s8, 48, v[4:5]
	s_lshl_b64 s[14:15], s[14:15], 4
	v_mov_b32_e32 v11, s15
	v_add_co_u32_e32 v12, vcc, s14, v8
	s_lshl_b64 s[12:13], s[8:9], 6
	v_addc_co_u32_e32 v11, vcc, v9, v11, vcc
	v_add_co_u32_e32 v174, vcc, v40, v12
	s_add_u32 s30, s4, s28
	v_addc_co_u32_e32 v169, vcc, v41, v11, vcc
	s_addc_u32 s31, s5, s29
	v_mov_b32_e32 v11, s31
	v_add_co_u32_e32 v12, vcc, s30, v6
	v_addc_co_u32_e32 v11, vcc, v11, v7, vcc
	v_add_co_u32_e32 v176, vcc, v40, v12
	v_addc_co_u32_e32 v173, vcc, v41, v11, vcc
	s_lshl_b64 s[16:17], s[16:17], 4
	v_mov_b32_e32 v11, s17
	v_add_co_u32_e32 v12, vcc, s16, v8
	v_addc_co_u32_e32 v11, vcc, v9, v11, vcc
	v_add_co_u32_e32 v178, vcc, v40, v12
	v_addc_co_u32_e32 v175, vcc, v41, v11, vcc
	v_mov_b32_e32 v11, s29
	v_add_co_u32_e32 v12, vcc, s28, v6
	v_addc_co_u32_e32 v11, vcc, v11, v7, vcc
	v_add_co_u32_e32 v180, vcc, v40, v12
	v_addc_co_u32_e32 v177, vcc, v41, v11, vcc
	v_add_co_u32_e32 v182, vcc, v40, v8
	s_add_u32 s26, s28, s16
	v_addc_co_u32_e32 v179, vcc, v41, v9, vcc
	s_addc_u32 s27, s29, s17
	v_mov_b32_e32 v11, s27
	v_add_co_u32_e32 v12, vcc, s26, v6
	v_addc_co_u32_e32 v11, vcc, v11, v7, vcc
	v_add_co_u32_e32 v184, vcc, v40, v12
	v_addc_co_u32_e32 v181, vcc, v41, v11, vcc
	v_mov_b32_e32 v11, s5
	v_add_co_u32_e32 v8, vcc, s4, v8
	v_addc_co_u32_e32 v9, vcc, v9, v11, vcc
	v_add_co_u32_e32 v186, vcc, v40, v8
	s_add_u32 s26, s28, s14
	v_addc_co_u32_e32 v183, vcc, v41, v9, vcc
	s_addc_u32 s27, s29, s15
	v_mov_b32_e32 v8, s27
	v_add_co_u32_e32 v9, vcc, s26, v6
	v_addc_co_u32_e32 v8, vcc, v8, v7, vcc
	s_lshl_b64 s[26:27], s[8:9], 4
	v_add_co_u32_e32 v188, vcc, v40, v9
	s_add_u32 s38, s11, s26
	v_addc_co_u32_e32 v185, vcc, v41, v8, vcc
	s_addc_u32 s39, s24, s27
	v_mov_b32_e32 v8, s39
	v_add_co_u32_e32 v9, vcc, s38, v6
	v_addc_co_u32_e32 v8, vcc, v8, v7, vcc
	s_mul_hi_i32 s37, s8, 48
	v_add_co_u32_e32 v190, vcc, v40, v9
	s_add_u32 s22, s36, s22
	v_addc_co_u32_e32 v187, vcc, v41, v8, vcc
	s_addc_u32 s23, s37, s23
	s_lshl_b64 s[8:9], s[8:9], 5
	v_mov_b32_e32 v8, s23
	v_add_co_u32_e32 v4, vcc, s22, v4
	s_add_u32 s22, s8, s28
	v_addc_co_u32_e32 v5, vcc, v8, v5, vcc
	s_addc_u32 s23, s9, s29
	v_add_co_u32_e32 v192, vcc, v40, v4
	s_add_u32 s36, s22, s14
	v_addc_co_u32_e32 v189, vcc, v41, v5, vcc
	s_addc_u32 s37, s23, s15
	v_mov_b32_e32 v4, s37
	v_add_co_u32_e32 v5, vcc, s36, v6
	v_addc_co_u32_e32 v4, vcc, v4, v7, vcc
	v_add_co_u32_e32 v194, vcc, v40, v5
	s_add_u32 s30, s30, s26
	v_addc_co_u32_e32 v191, vcc, v41, v4, vcc
	s_addc_u32 s31, s31, s27
	v_mov_b32_e32 v4, s31
	v_add_co_u32_e32 v5, vcc, s30, v6
	v_addc_co_u32_e32 v4, vcc, v4, v7, vcc
	;; [unrolled: 7-line block ×4, first 2 shown]
	v_add_co_u32_e32 v200, vcc, v40, v5
	v_addc_co_u32_e32 v197, vcc, v41, v4, vcc
	v_mov_b32_e32 v4, s23
	v_add_co_u32_e32 v5, vcc, s22, v6
	v_addc_co_u32_e32 v4, vcc, v4, v7, vcc
	v_add_co_u32_e32 v202, vcc, v40, v5
	s_add_u32 s16, s26, s16
	v_addc_co_u32_e32 v199, vcc, v41, v4, vcc
	s_addc_u32 s17, s27, s17
	v_mov_b32_e32 v4, s17
	v_add_co_u32_e32 v5, vcc, s16, v6
	v_addc_co_u32_e32 v4, vcc, v4, v7, vcc
	v_add_co_u32_e32 v204, vcc, v40, v5
	s_add_u32 s4, s22, s4
	v_addc_co_u32_e32 v201, vcc, v41, v4, vcc
	s_addc_u32 s5, s23, s5
	;; [unrolled: 7-line block ×4, first 2 shown]
	v_mov_b32_e32 v4, s5
	v_add_co_u32_e32 v5, vcc, s4, v6
	v_addc_co_u32_e32 v4, vcc, v4, v7, vcc
	v_add_co_u32_e32 v210, vcc, v40, v5
	v_add_u32_e32 v215, 0x4300, v211
	v_add_u32_e32 v216, 0x4700, v211
	v_cmp_gt_u32_e64 s[2:3], 64, v42
	v_or_b32_e32 v220, 1, v212
	v_or_b32_e32 v221, 2, v212
	;; [unrolled: 1-line block ×3, first 2 shown]
	v_add_u32_e32 v225, 16, v212
	v_add_u32_e32 v226, 17, v212
	;; [unrolled: 1-line block ×12, first 2 shown]
	v_addc_co_u32_e32 v207, vcc, v41, v4, vcc
	v_add_u32_e32 v239, v219, v10
	v_mov_b32_e32 v4, 0
	s_cmp_eq_u32 s34, s6
	s_cselect_b32 s24, s33, 0
	s_and_saveexec_b64 s[4:5], s[0:1]
	s_cbranch_execz .LBB191_104
.LBB191_100:
	s_cmp_lg_u32 s24, 0
	s_cselect_b64 s[8:9], -1, 0
	v_cmp_le_i32_e32 vcc, s24, v168
	s_and_b64 s[8:9], s[8:9], vcc
	s_and_saveexec_b64 s[14:15], s[8:9]
	s_xor_b64 s[8:9], exec, s[14:15]
	s_cbranch_execz .LBB191_102
; %bb.101:
	v_mov_b32_e32 v5, v4
	v_mov_b32_e32 v6, v4
	v_mov_b32_e32 v7, v4
	ds_write_b128 v215, v[4:7]
.LBB191_102:
	s_andn2_saveexec_b64 s[8:9], s[8:9]
	s_cbranch_execz .LBB191_104
; %bb.103:
	s_ashr_i32 s11, s10, 31
	s_lshl_b64 s[8:9], s[10:11], 4
	v_mov_b32_e32 v5, s9
	v_add_co_u32_e32 v6, vcc, s8, v213
	v_addc_co_u32_e32 v7, vcc, v214, v5, vcc
	flat_load_dwordx4 v[6:9], v[6:7]
	s_waitcnt vmcnt(0) lgkmcnt(0)
	ds_write2_b64 v215, v[6:7], v[8:9] offset1:1
.LBB191_104:                            ; =>This Inner Loop Header: Depth=1
	s_or_b64 exec, exec, s[4:5]
	s_cmp_eq_u32 s24, 0
	v_add_co_u32_e32 v18, vcc, v180, v237
	s_cselect_b64 s[14:15], -1, 0
	s_cmp_lg_u32 s24, 0
	v_addc_co_u32_e32 v19, vcc, v177, v238, vcc
	s_cselect_b64 s[8:9], -1, 0
	s_and_b64 vcc, exec, s[8:9]
	s_waitcnt lgkmcnt(0)
	s_barrier
	s_cbranch_vccz .LBB191_112
; %bb.105:                              ;   in Loop: Header=BB191_104 Depth=1
	v_pk_mov_b32 v[10:11], 0, 0
	v_cmp_gt_i32_e32 vcc, s24, v212
	v_pk_mov_b32 v[6:7], v[10:11], v[10:11] op_sel:[0,1]
	v_pk_mov_b32 v[8:9], v[10:11], v[10:11] op_sel:[0,1]
	s_and_saveexec_b64 s[4:5], vcc
	s_cbranch_execz .LBB191_107
; %bb.106:                              ;   in Loop: Header=BB191_104 Depth=1
	flat_load_dwordx4 v[6:9], v[18:19]
.LBB191_107:                            ;   in Loop: Header=BB191_104 Depth=1
	s_or_b64 exec, exec, s[4:5]
	v_cmp_gt_i32_e32 vcc, s24, v220
	v_pk_mov_b32 v[12:13], v[10:11], v[10:11] op_sel:[0,1]
	s_and_saveexec_b64 s[4:5], vcc
	s_cbranch_execz .LBB191_109
; %bb.108:                              ;   in Loop: Header=BB191_104 Depth=1
	v_add_co_u32_e32 v10, vcc, v176, v237
	v_addc_co_u32_e32 v11, vcc, v173, v238, vcc
	flat_load_dwordx4 v[10:13], v[10:11]
.LBB191_109:                            ;   in Loop: Header=BB191_104 Depth=1
	s_or_b64 exec, exec, s[4:5]
	v_pk_mov_b32 v[14:15], 0, 0
	v_cmp_gt_i32_e32 vcc, s24, v221
	s_mov_b64 s[22:23], 0
	v_pk_mov_b32 v[16:17], v[14:15], v[14:15] op_sel:[0,1]
	s_and_saveexec_b64 s[4:5], vcc
	s_cbranch_execz .LBB191_111
; %bb.110:                              ;   in Loop: Header=BB191_104 Depth=1
	v_add_co_u32_e32 v14, vcc, v184, v237
	v_addc_co_u32_e32 v15, vcc, v181, v238, vcc
	flat_load_dwordx4 v[14:17], v[14:15]
.LBB191_111:                            ;   in Loop: Header=BB191_104 Depth=1
	s_or_b64 exec, exec, s[4:5]
	v_cmp_gt_i32_e64 s[4:5], s24, v222
	s_mov_b64 s[16:17], 0
	s_and_b64 vcc, exec, s[22:23]
	s_cbranch_vccnz .LBB191_113
	s_branch .LBB191_114
.LBB191_112:                            ;   in Loop: Header=BB191_104 Depth=1
	s_mov_b64 s[4:5], 0
                                        ; implicit-def: $sgpr16_sgpr17
                                        ; implicit-def: $vgpr16_vgpr17
                                        ; implicit-def: $vgpr12_vgpr13
                                        ; implicit-def: $vgpr8_vgpr9
	s_cbranch_execz .LBB191_114
.LBB191_113:                            ;   in Loop: Header=BB191_104 Depth=1
	s_waitcnt vmcnt(0) lgkmcnt(0)
	v_add_co_u32_e32 v10, vcc, v176, v237
	v_addc_co_u32_e32 v11, vcc, v173, v238, vcc
	v_add_co_u32_e32 v14, vcc, v172, v237
	v_addc_co_u32_e32 v15, vcc, v167, v238, vcc
	flat_load_dwordx4 v[6:9], v[18:19]
	s_or_b64 s[4:5], s[4:5], exec
	flat_load_dwordx4 v[10:13], v[10:11]
                                        ; implicit-def: $sgpr16_sgpr17
	s_nop 0
	flat_load_dwordx4 v[14:17], v[14:15]
.LBB191_114:                            ;   in Loop: Header=BB191_104 Depth=1
	v_pk_mov_b32 v[18:19], s[16:17], s[16:17] op_sel:[0,1]
	v_pk_mov_b32 v[20:21], s[16:17], s[16:17] op_sel:[0,1]
	s_and_saveexec_b64 s[16:17], s[4:5]
	s_cbranch_execz .LBB191_116
; %bb.115:                              ;   in Loop: Header=BB191_104 Depth=1
	v_add_co_u32_e32 v18, vcc, v188, v237
	v_addc_co_u32_e32 v19, vcc, v185, v238, vcc
	flat_load_dwordx4 v[18:21], v[18:19]
.LBB191_116:                            ;   in Loop: Header=BB191_104 Depth=1
	s_or_b64 exec, exec, s[16:17]
	ds_read_b128 v[34:37], v216
	ds_read_b128 v[22:25], v223
	v_cndmask_b32_e64 v5, 0, 1, s[8:9]
	s_andn2_b64 vcc, exec, s[8:9]
	v_add_co_u32_e64 v50, s[8:9], v200, v237
	s_waitcnt vmcnt(0) lgkmcnt(0)
	v_mul_f64 v[26:27], v[8:9], v[36:37]
	v_mul_f64 v[28:29], v[6:7], v[36:37]
	;; [unrolled: 1-line block ×3, first 2 shown]
	v_fma_f64 v[26:27], v[6:7], v[34:35], -v[26:27]
	v_fmac_f64_e32 v[28:29], v[8:9], v[34:35]
	v_mul_f64 v[32:33], v[10:11], v[36:37]
	ds_write_b128 v224, v[26:29]
	v_fma_f64 v[30:31], v[10:11], v[34:35], -v[30:31]
	v_fmac_f64_e32 v[32:33], v[12:13], v[34:35]
	v_mul_f64 v[38:39], v[16:17], v[36:37]
	v_mul_f64 v[40:41], v[14:15], v[36:37]
	ds_read_b128 v[26:29], v223 offset:16
	ds_write_b128 v224, v[30:33] offset:1072
	v_fma_f64 v[38:39], v[14:15], v[34:35], -v[38:39]
	v_fmac_f64_e32 v[40:41], v[16:17], v[34:35]
	v_mul_f64 v[42:43], v[20:21], v[36:37]
	v_mul_f64 v[44:45], v[18:19], v[36:37]
	ds_read_b128 v[30:33], v223 offset:32
	ds_write_b128 v224, v[38:41] offset:2144
	v_fma_f64 v[42:43], v[18:19], v[34:35], -v[42:43]
	v_fmac_f64_e32 v[44:45], v[20:21], v[34:35]
	ds_read_b128 v[38:41], v223 offset:48
	ds_write_b128 v224, v[42:45] offset:3216
	s_waitcnt lgkmcnt(0)
	s_barrier
	ds_read_b128 v[94:97], v219
	ds_read_b128 v[90:93], v219 offset:16
	ds_read_b128 v[86:89], v219 offset:32
	;; [unrolled: 1-line block ×3, first 2 shown]
	v_cmp_ne_u32_e64 s[4:5], 1, v5
	v_addc_co_u32_e64 v51, s[8:9], v197, v238, s[8:9]
	s_waitcnt lgkmcnt(0)
	s_barrier
	s_cbranch_vccnz .LBB191_124
; %bb.117:                              ;   in Loop: Header=BB191_104 Depth=1
	v_pk_mov_b32 v[42:43], 0, 0
	v_cmp_gt_i32_e32 vcc, s24, v225
	v_pk_mov_b32 v[34:35], v[42:43], v[42:43] op_sel:[0,1]
	v_pk_mov_b32 v[36:37], v[42:43], v[42:43] op_sel:[0,1]
	s_and_saveexec_b64 s[8:9], vcc
	s_cbranch_execz .LBB191_119
; %bb.118:                              ;   in Loop: Header=BB191_104 Depth=1
	flat_load_dwordx4 v[34:37], v[50:51]
.LBB191_119:                            ;   in Loop: Header=BB191_104 Depth=1
	s_or_b64 exec, exec, s[8:9]
	v_cmp_gt_i32_e32 vcc, s24, v226
	v_pk_mov_b32 v[44:45], v[42:43], v[42:43] op_sel:[0,1]
	s_and_saveexec_b64 s[8:9], vcc
	s_cbranch_execz .LBB191_121
; %bb.120:                              ;   in Loop: Header=BB191_104 Depth=1
	v_add_co_u32_e32 v42, vcc, v196, v237
	v_addc_co_u32_e32 v43, vcc, v193, v238, vcc
	flat_load_dwordx4 v[42:45], v[42:43]
.LBB191_121:                            ;   in Loop: Header=BB191_104 Depth=1
	s_or_b64 exec, exec, s[8:9]
	v_pk_mov_b32 v[46:47], 0, 0
	v_cmp_gt_i32_e32 vcc, s24, v227
	s_mov_b64 s[22:23], 0
	v_pk_mov_b32 v[48:49], v[46:47], v[46:47] op_sel:[0,1]
	s_and_saveexec_b64 s[8:9], vcc
	s_cbranch_execz .LBB191_123
; %bb.122:                              ;   in Loop: Header=BB191_104 Depth=1
	v_add_co_u32_e32 v46, vcc, v204, v237
	v_addc_co_u32_e32 v47, vcc, v201, v238, vcc
	flat_load_dwordx4 v[46:49], v[46:47]
.LBB191_123:                            ;   in Loop: Header=BB191_104 Depth=1
	s_or_b64 exec, exec, s[8:9]
	v_cmp_gt_i32_e64 s[8:9], s24, v228
	s_mov_b64 s[16:17], 0
	s_and_b64 vcc, exec, s[22:23]
	s_cbranch_vccnz .LBB191_125
	s_branch .LBB191_126
.LBB191_124:                            ;   in Loop: Header=BB191_104 Depth=1
	s_mov_b64 s[8:9], 0
                                        ; implicit-def: $sgpr16_sgpr17
                                        ; implicit-def: $vgpr48_vgpr49
                                        ; implicit-def: $vgpr44_vgpr45
                                        ; implicit-def: $vgpr36_vgpr37
	s_cbranch_execz .LBB191_126
.LBB191_125:                            ;   in Loop: Header=BB191_104 Depth=1
	s_waitcnt vmcnt(0) lgkmcnt(0)
	v_add_co_u32_e32 v42, vcc, v196, v237
	v_addc_co_u32_e32 v43, vcc, v193, v238, vcc
	v_add_co_u32_e32 v46, vcc, v190, v237
	v_addc_co_u32_e32 v47, vcc, v187, v238, vcc
	flat_load_dwordx4 v[34:37], v[50:51]
	s_or_b64 s[8:9], s[8:9], exec
	flat_load_dwordx4 v[42:45], v[42:43]
                                        ; implicit-def: $sgpr16_sgpr17
	s_nop 0
	flat_load_dwordx4 v[46:49], v[46:47]
.LBB191_126:                            ;   in Loop: Header=BB191_104 Depth=1
	v_pk_mov_b32 v[50:51], s[16:17], s[16:17] op_sel:[0,1]
	v_pk_mov_b32 v[52:53], s[16:17], s[16:17] op_sel:[0,1]
	s_and_saveexec_b64 s[16:17], s[8:9]
	s_cbranch_execz .LBB191_128
; %bb.127:                              ;   in Loop: Header=BB191_104 Depth=1
	v_add_co_u32_e32 v50, vcc, v208, v237
	v_addc_co_u32_e32 v51, vcc, v205, v238, vcc
	flat_load_dwordx4 v[50:53], v[50:51]
.LBB191_128:                            ;   in Loop: Header=BB191_104 Depth=1
	s_or_b64 exec, exec, s[16:17]
	ds_read_b128 v[66:69], v216
	ds_read_b128 v[54:57], v223 offset:256
	v_add_co_u32_e64 v98, s[8:9], v202, v237
	s_and_b64 vcc, exec, s[4:5]
	s_waitcnt vmcnt(0) lgkmcnt(0)
	v_mul_f64 v[58:59], v[36:37], v[68:69]
	v_mul_f64 v[60:61], v[34:35], v[68:69]
	;; [unrolled: 1-line block ×3, first 2 shown]
	v_fma_f64 v[58:59], v[34:35], v[66:67], -v[58:59]
	v_fmac_f64_e32 v[60:61], v[36:37], v[66:67]
	v_mul_f64 v[64:65], v[42:43], v[68:69]
	ds_write_b128 v224, v[58:61]
	v_fma_f64 v[62:63], v[42:43], v[66:67], -v[62:63]
	v_fmac_f64_e32 v[64:65], v[44:45], v[66:67]
	v_mul_f64 v[70:71], v[48:49], v[68:69]
	v_mul_f64 v[72:73], v[46:47], v[68:69]
	ds_read_b128 v[58:61], v223 offset:272
	ds_write_b128 v224, v[62:65] offset:1072
	v_fma_f64 v[70:71], v[46:47], v[66:67], -v[70:71]
	v_fmac_f64_e32 v[72:73], v[48:49], v[66:67]
	v_mul_f64 v[74:75], v[52:53], v[68:69]
	v_mul_f64 v[76:77], v[50:51], v[68:69]
	ds_read_b128 v[62:65], v223 offset:288
	ds_write_b128 v224, v[70:73] offset:2144
	v_fma_f64 v[74:75], v[50:51], v[66:67], -v[74:75]
	v_fmac_f64_e32 v[76:77], v[52:53], v[66:67]
	ds_read_b128 v[70:73], v223 offset:304
	ds_write_b128 v224, v[74:77] offset:3216
	s_waitcnt lgkmcnt(0)
	s_barrier
	ds_read_b128 v[146:149], v219
	ds_read_b128 v[142:145], v219 offset:16
	ds_read_b128 v[138:141], v219 offset:32
	;; [unrolled: 1-line block ×3, first 2 shown]
	v_addc_co_u32_e64 v99, s[8:9], v199, v238, s[8:9]
	s_waitcnt lgkmcnt(0)
	s_barrier
	s_cbranch_vccnz .LBB191_136
; %bb.129:                              ;   in Loop: Header=BB191_104 Depth=1
	v_pk_mov_b32 v[74:75], 0, 0
	v_cmp_gt_i32_e32 vcc, s24, v229
	v_pk_mov_b32 v[66:67], v[74:75], v[74:75] op_sel:[0,1]
	v_pk_mov_b32 v[68:69], v[74:75], v[74:75] op_sel:[0,1]
	s_and_saveexec_b64 s[8:9], vcc
	s_cbranch_execz .LBB191_131
; %bb.130:                              ;   in Loop: Header=BB191_104 Depth=1
	flat_load_dwordx4 v[66:69], v[98:99]
.LBB191_131:                            ;   in Loop: Header=BB191_104 Depth=1
	s_or_b64 exec, exec, s[8:9]
	v_cmp_gt_i32_e32 vcc, s24, v230
	v_pk_mov_b32 v[76:77], v[74:75], v[74:75] op_sel:[0,1]
	s_and_saveexec_b64 s[8:9], vcc
	s_cbranch_execz .LBB191_133
; %bb.132:                              ;   in Loop: Header=BB191_104 Depth=1
	v_add_co_u32_e32 v74, vcc, v206, v237
	v_addc_co_u32_e32 v75, vcc, v203, v238, vcc
	flat_load_dwordx4 v[74:77], v[74:75]
.LBB191_133:                            ;   in Loop: Header=BB191_104 Depth=1
	s_or_b64 exec, exec, s[8:9]
	v_pk_mov_b32 v[78:79], 0, 0
	v_cmp_gt_i32_e32 vcc, s24, v231
	s_mov_b64 s[22:23], 0
	v_pk_mov_b32 v[80:81], v[78:79], v[78:79] op_sel:[0,1]
	s_and_saveexec_b64 s[8:9], vcc
	s_cbranch_execz .LBB191_135
; %bb.134:                              ;   in Loop: Header=BB191_104 Depth=1
	v_add_co_u32_e32 v78, vcc, v198, v237
	v_addc_co_u32_e32 v79, vcc, v195, v238, vcc
	flat_load_dwordx4 v[78:81], v[78:79]
.LBB191_135:                            ;   in Loop: Header=BB191_104 Depth=1
	s_or_b64 exec, exec, s[8:9]
	v_cmp_gt_i32_e64 s[8:9], s24, v232
	s_mov_b64 s[16:17], 0
	s_and_b64 vcc, exec, s[22:23]
	s_cbranch_vccnz .LBB191_137
	s_branch .LBB191_138
.LBB191_136:                            ;   in Loop: Header=BB191_104 Depth=1
	s_mov_b64 s[8:9], 0
                                        ; implicit-def: $sgpr16_sgpr17
                                        ; implicit-def: $vgpr80_vgpr81
                                        ; implicit-def: $vgpr76_vgpr77
                                        ; implicit-def: $vgpr68_vgpr69
	s_cbranch_execz .LBB191_138
.LBB191_137:                            ;   in Loop: Header=BB191_104 Depth=1
	s_waitcnt vmcnt(0) lgkmcnt(0)
	v_add_co_u32_e32 v74, vcc, v206, v237
	v_addc_co_u32_e32 v75, vcc, v203, v238, vcc
	v_add_co_u32_e32 v78, vcc, v210, v237
	v_addc_co_u32_e32 v79, vcc, v207, v238, vcc
	flat_load_dwordx4 v[66:69], v[98:99]
	s_or_b64 s[8:9], s[8:9], exec
	flat_load_dwordx4 v[74:77], v[74:75]
                                        ; implicit-def: $sgpr16_sgpr17
	s_nop 0
	flat_load_dwordx4 v[78:81], v[78:79]
.LBB191_138:                            ;   in Loop: Header=BB191_104 Depth=1
	v_pk_mov_b32 v[98:99], s[16:17], s[16:17] op_sel:[0,1]
	v_pk_mov_b32 v[100:101], s[16:17], s[16:17] op_sel:[0,1]
	s_and_saveexec_b64 s[16:17], s[8:9]
	s_cbranch_execz .LBB191_140
; %bb.139:                              ;   in Loop: Header=BB191_104 Depth=1
	v_add_co_u32_e32 v98, vcc, v194, v237
	v_addc_co_u32_e32 v99, vcc, v191, v238, vcc
	flat_load_dwordx4 v[98:101], v[98:99]
.LBB191_140:                            ;   in Loop: Header=BB191_104 Depth=1
	s_or_b64 exec, exec, s[16:17]
	ds_read_b128 v[114:117], v216
	ds_read_b128 v[102:105], v223 offset:512
	s_and_b64 vcc, exec, s[4:5]
	v_add_co_u32_e64 v130, s[4:5], v182, v237
	s_waitcnt vmcnt(0) lgkmcnt(0)
	v_mul_f64 v[106:107], v[68:69], v[116:117]
	v_mul_f64 v[108:109], v[66:67], v[116:117]
	;; [unrolled: 1-line block ×3, first 2 shown]
	v_fma_f64 v[106:107], v[66:67], v[114:115], -v[106:107]
	v_fmac_f64_e32 v[108:109], v[68:69], v[114:115]
	v_mul_f64 v[112:113], v[74:75], v[116:117]
	ds_write_b128 v224, v[106:109]
	v_fma_f64 v[110:111], v[74:75], v[114:115], -v[110:111]
	v_fmac_f64_e32 v[112:113], v[76:77], v[114:115]
	v_mul_f64 v[118:119], v[80:81], v[116:117]
	v_mul_f64 v[120:121], v[78:79], v[116:117]
	ds_read_b128 v[106:109], v223 offset:528
	ds_write_b128 v224, v[110:113] offset:1072
	v_fma_f64 v[118:119], v[78:79], v[114:115], -v[118:119]
	v_fmac_f64_e32 v[120:121], v[80:81], v[114:115]
	v_mul_f64 v[122:123], v[100:101], v[116:117]
	v_mul_f64 v[124:125], v[98:99], v[116:117]
	ds_read_b128 v[110:113], v223 offset:544
	ds_write_b128 v224, v[118:121] offset:2144
	v_fma_f64 v[122:123], v[98:99], v[114:115], -v[122:123]
	v_fmac_f64_e32 v[124:125], v[100:101], v[114:115]
	ds_read_b128 v[118:121], v223 offset:560
	ds_write_b128 v224, v[122:125] offset:3216
	s_waitcnt lgkmcnt(0)
	s_barrier
	ds_read_b128 v[162:165], v219
	ds_read_b128 v[158:161], v219 offset:16
	ds_read_b128 v[154:157], v219 offset:32
	;; [unrolled: 1-line block ×3, first 2 shown]
	v_addc_co_u32_e64 v131, s[4:5], v179, v238, s[4:5]
	s_waitcnt lgkmcnt(0)
	s_barrier
	s_cbranch_vccnz .LBB191_148
; %bb.141:                              ;   in Loop: Header=BB191_104 Depth=1
	v_pk_mov_b32 v[122:123], 0, 0
	v_cmp_gt_i32_e32 vcc, s24, v233
	v_pk_mov_b32 v[114:115], v[122:123], v[122:123] op_sel:[0,1]
	v_pk_mov_b32 v[116:117], v[122:123], v[122:123] op_sel:[0,1]
	s_and_saveexec_b64 s[4:5], vcc
	s_cbranch_execz .LBB191_143
; %bb.142:                              ;   in Loop: Header=BB191_104 Depth=1
	flat_load_dwordx4 v[114:117], v[130:131]
.LBB191_143:                            ;   in Loop: Header=BB191_104 Depth=1
	s_or_b64 exec, exec, s[4:5]
	v_cmp_gt_i32_e32 vcc, s24, v234
	v_pk_mov_b32 v[124:125], v[122:123], v[122:123] op_sel:[0,1]
	s_and_saveexec_b64 s[4:5], vcc
	s_cbranch_execz .LBB191_145
; %bb.144:                              ;   in Loop: Header=BB191_104 Depth=1
	v_add_co_u32_e32 v122, vcc, v186, v237
	v_addc_co_u32_e32 v123, vcc, v183, v238, vcc
	flat_load_dwordx4 v[122:125], v[122:123]
.LBB191_145:                            ;   in Loop: Header=BB191_104 Depth=1
	s_or_b64 exec, exec, s[4:5]
	v_pk_mov_b32 v[126:127], 0, 0
	v_cmp_gt_i32_e32 vcc, s24, v235
	s_mov_b64 s[16:17], 0
	v_pk_mov_b32 v[128:129], v[126:127], v[126:127] op_sel:[0,1]
	s_and_saveexec_b64 s[4:5], vcc
	s_cbranch_execz .LBB191_147
; %bb.146:                              ;   in Loop: Header=BB191_104 Depth=1
	v_add_co_u32_e32 v126, vcc, v178, v237
	v_addc_co_u32_e32 v127, vcc, v175, v238, vcc
	flat_load_dwordx4 v[126:129], v[126:127]
.LBB191_147:                            ;   in Loop: Header=BB191_104 Depth=1
	s_or_b64 exec, exec, s[4:5]
	v_cmp_gt_i32_e64 s[4:5], s24, v236
	s_mov_b64 s[8:9], 0
	s_and_b64 vcc, exec, s[16:17]
	s_cbranch_vccnz .LBB191_149
	s_branch .LBB191_150
.LBB191_148:                            ;   in Loop: Header=BB191_104 Depth=1
	s_mov_b64 s[4:5], 0
                                        ; implicit-def: $sgpr8_sgpr9
                                        ; implicit-def: $vgpr128_vgpr129
                                        ; implicit-def: $vgpr124_vgpr125
                                        ; implicit-def: $vgpr116_vgpr117
	s_cbranch_execz .LBB191_150
.LBB191_149:                            ;   in Loop: Header=BB191_104 Depth=1
	s_waitcnt vmcnt(0) lgkmcnt(0)
	v_add_co_u32_e32 v122, vcc, v186, v237
	v_addc_co_u32_e32 v123, vcc, v183, v238, vcc
	v_add_co_u32_e32 v126, vcc, v192, v237
	v_addc_co_u32_e32 v127, vcc, v189, v238, vcc
	flat_load_dwordx4 v[114:117], v[130:131]
	s_or_b64 s[4:5], s[4:5], exec
	flat_load_dwordx4 v[122:125], v[122:123]
                                        ; implicit-def: $sgpr8_sgpr9
	s_nop 0
	flat_load_dwordx4 v[126:129], v[126:127]
.LBB191_150:                            ;   in Loop: Header=BB191_104 Depth=1
	v_pk_mov_b32 v[130:131], s[8:9], s[8:9] op_sel:[0,1]
	v_pk_mov_b32 v[132:133], s[8:9], s[8:9] op_sel:[0,1]
	s_and_saveexec_b64 s[8:9], s[4:5]
	s_cbranch_execz .LBB191_152
; %bb.151:                              ;   in Loop: Header=BB191_104 Depth=1
	v_add_co_u32_e32 v130, vcc, v174, v237
	v_addc_co_u32_e32 v131, vcc, v169, v238, vcc
	flat_load_dwordx4 v[130:133], v[130:131]
.LBB191_152:                            ;   in Loop: Header=BB191_104 Depth=1
	s_or_b64 exec, exec, s[8:9]
	v_add_f64 v[146:147], v[146:147], 0
	v_add_f64 v[148:149], v[148:149], 0
	;; [unrolled: 1-line block ×6, first 2 shown]
	ds_read_b128 v[142:145], v216
	v_add_f64 v[162:163], v[162:163], 0
	v_add_f64 v[94:95], v[94:95], 0
	;; [unrolled: 1-line block ×11, first 2 shown]
	ds_read_b128 v[86:89], v223 offset:768
	s_waitcnt vmcnt(0) lgkmcnt(0)
	v_mul_f64 v[90:91], v[116:117], v[144:145]
	v_mul_f64 v[92:93], v[114:115], v[144:145]
	v_fma_f64 v[90:91], v[114:115], v[142:143], -v[90:91]
	v_fmac_f64_e32 v[92:93], v[116:117], v[142:143]
	v_mul_f64 v[94:95], v[124:125], v[144:145]
	v_mul_f64 v[96:97], v[122:123], v[144:145]
	v_add_f64 v[138:139], v[138:139], v[134:135]
	v_add_f64 v[140:141], v[140:141], v[136:137]
	ds_write_b128 v224, v[90:93]
	v_fma_f64 v[94:95], v[122:123], v[142:143], -v[94:95]
	v_fmac_f64_e32 v[96:97], v[124:125], v[142:143]
	v_mul_f64 v[134:135], v[128:129], v[144:145]
	v_mul_f64 v[136:137], v[126:127], v[144:145]
	ds_read_b128 v[90:93], v223 offset:784
	ds_write_b128 v224, v[94:97] offset:1072
	v_fma_f64 v[134:135], v[126:127], v[142:143], -v[134:135]
	v_fmac_f64_e32 v[136:137], v[128:129], v[142:143]
	v_mul_f64 v[146:147], v[132:133], v[144:145]
	v_mul_f64 v[148:149], v[130:131], v[144:145]
	ds_read_b128 v[94:97], v223 offset:800
	ds_write_b128 v224, v[134:137] offset:2144
	v_fma_f64 v[146:147], v[130:131], v[142:143], -v[146:147]
	v_fmac_f64_e32 v[148:149], v[132:133], v[142:143]
	v_add_f64 v[164:165], v[164:165], 0
	ds_read_b128 v[134:137], v223 offset:816
	ds_write_b128 v224, v[146:149] offset:3216
	s_waitcnt lgkmcnt(0)
	s_barrier
	ds_read_b128 v[142:145], v219
	v_add_f64 v[160:161], v[164:165], v[160:161]
	v_add_f64 v[156:157], v[160:161], v[156:157]
	;; [unrolled: 1-line block ×4, first 2 shown]
	ds_read_b128 v[146:149], v219 offset:16
	ds_read_b128 v[154:157], v219 offset:32
	;; [unrolled: 1-line block ×3, first 2 shown]
	s_waitcnt lgkmcnt(3)
	v_add_f64 v[142:143], v[142:143], 0
	v_add_f64 v[144:145], v[144:145], 0
	v_cmp_gt_i32_e32 vcc, s24, v168
	s_waitcnt lgkmcnt(2)
	v_add_f64 v[142:143], v[142:143], v[146:147]
	v_add_f64 v[144:145], v[144:145], v[148:149]
	s_or_b64 s[4:5], s[14:15], vcc
	s_waitcnt lgkmcnt(1)
	v_add_f64 v[142:143], v[142:143], v[154:155]
	v_add_f64 v[144:145], v[144:145], v[156:157]
	s_and_b64 s[8:9], s[2:3], s[4:5]
	s_waitcnt lgkmcnt(0)
	v_add_f64 v[142:143], v[142:143], v[158:159]
	v_add_f64 v[144:145], v[144:145], v[160:161]
	s_barrier
	ds_write_b128 v239, v[82:85]
	ds_write_b128 v239, v[138:141] offset:256
	ds_write_b128 v239, v[150:153] offset:512
	;; [unrolled: 1-line block ×3, first 2 shown]
	s_waitcnt lgkmcnt(0)
	s_barrier
	s_and_saveexec_b64 s[4:5], s[8:9]
	s_cbranch_execz .LBB191_154
; %bb.153:                              ;   in Loop: Header=BB191_104 Depth=1
	ds_read_b128 v[82:85], v217
	ds_read_b128 v[138:141], v217 offset:16
	ds_read_b128 v[142:145], v217 offset:32
	;; [unrolled: 1-line block ×3, first 2 shown]
	v_ashrrev_i32_e32 v171, 31, v170
	v_mov_b32_e32 v5, s25
	s_waitcnt lgkmcnt(2)
	v_add_f64 v[82:83], v[138:139], v[82:83]
	v_add_f64 v[138:139], v[140:141], v[84:85]
	s_waitcnt lgkmcnt(1)
	v_add_f64 v[140:141], v[82:83], v[142:143]
	ds_read_b128 v[82:85], v217 offset:64
	v_add_f64 v[142:143], v[138:139], v[144:145]
	s_waitcnt lgkmcnt(1)
	v_add_f64 v[144:145], v[140:141], v[146:147]
	ds_read_b128 v[138:141], v217 offset:80
	;; [unrolled: 4-line block ×9, first 2 shown]
	v_add_f64 v[84:85], v[146:147], v[84:85]
	s_waitcnt lgkmcnt(1)
	v_add_f64 v[138:139], v[82:83], v[138:139]
	v_add_f64 v[146:147], v[84:85], v[140:141]
	ds_read_b128 v[82:85], v217 offset:208
	s_waitcnt lgkmcnt(1)
	v_add_f64 v[148:149], v[138:139], v[142:143]
	ds_read_b128 v[138:141], v217 offset:224
	v_add_f64 v[146:147], v[146:147], v[144:145]
	ds_read_b128 v[142:145], v218
	s_waitcnt lgkmcnt(2)
	v_add_f64 v[82:83], v[148:149], v[82:83]
	v_add_f64 v[84:85], v[146:147], v[84:85]
	s_waitcnt lgkmcnt(1)
	v_add_f64 v[82:83], v[82:83], v[138:139]
	v_lshlrev_b64 v[138:139], 4, v[170:171]
	v_add_f64 v[84:85], v[84:85], v[140:141]
	v_add_co_u32_e32 v138, vcc, s19, v138
	s_waitcnt lgkmcnt(0)
	v_add_f64 v[82:83], v[82:83], v[142:143]
	v_add_f64 v[84:85], v[84:85], v[144:145]
	v_addc_co_u32_e32 v139, vcc, v5, v139, vcc
	global_store_dwordx4 v[138:139], v[82:85], off
.LBB191_154:                            ;   in Loop: Header=BB191_104 Depth=1
	s_or_b64 exec, exec, s[4:5]
	v_mov_b32_e32 v5, s13
	v_add_co_u32_e32 v172, vcc, s12, v172
	v_addc_co_u32_e32 v167, vcc, v167, v5, vcc
	v_add_co_u32_e32 v174, vcc, s12, v174
	v_addc_co_u32_e32 v169, vcc, v169, v5, vcc
	;; [unrolled: 2-line block ×4, first 2 shown]
	v_add_co_u32_e32 v180, vcc, s12, v180
	v_mul_f64 v[82:83], v[8:9], v[24:25]
	v_addc_co_u32_e32 v177, vcc, v177, v5, vcc
	v_fma_f64 v[82:83], v[6:7], v[22:23], -v[82:83]
	v_mul_f64 v[6:7], v[6:7], v[24:25]
	v_mul_f64 v[24:25], v[12:13], v[28:29]
	v_add_co_u32_e32 v182, vcc, s12, v182
	v_add_f64 v[0:1], v[0:1], v[82:83]
	v_fma_f64 v[24:25], v[10:11], v[26:27], -v[24:25]
	v_addc_co_u32_e32 v179, vcc, v179, v5, vcc
	v_add_f64 v[0:1], v[0:1], v[24:25]
	v_mul_f64 v[24:25], v[16:17], v[32:33]
	v_add_co_u32_e32 v184, vcc, s12, v184
	v_fma_f64 v[24:25], v[14:15], v[30:31], -v[24:25]
	v_addc_co_u32_e32 v181, vcc, v181, v5, vcc
	v_add_f64 v[0:1], v[0:1], v[24:25]
	v_mul_f64 v[24:25], v[20:21], v[40:41]
	v_fmac_f64_e32 v[6:7], v[8:9], v[22:23]
	v_add_co_u32_e32 v186, vcc, s12, v186
	v_fma_f64 v[24:25], v[18:19], v[38:39], -v[24:25]
	v_add_f64 v[2:3], v[2:3], v[6:7]
	v_mul_f64 v[6:7], v[36:37], v[56:57]
	v_addc_co_u32_e32 v183, vcc, v183, v5, vcc
	v_add_f64 v[0:1], v[0:1], v[24:25]
	v_fma_f64 v[6:7], v[34:35], v[54:55], -v[6:7]
	v_add_co_u32_e32 v188, vcc, s12, v188
	v_add_f64 v[0:1], v[0:1], v[6:7]
	v_mul_f64 v[6:7], v[44:45], v[60:61]
	v_addc_co_u32_e32 v185, vcc, v185, v5, vcc
	v_fma_f64 v[6:7], v[42:43], v[58:59], -v[6:7]
	v_add_co_u32_e32 v190, vcc, s12, v190
	v_add_f64 v[0:1], v[0:1], v[6:7]
	v_mul_f64 v[6:7], v[48:49], v[64:65]
	v_addc_co_u32_e32 v187, vcc, v187, v5, vcc
	;; [unrolled: 5-line block ×3, first 2 shown]
	v_fma_f64 v[6:7], v[50:51], v[70:71], -v[6:7]
	v_add_co_u32_e32 v194, vcc, s12, v194
	v_mul_f64 v[10:11], v[10:11], v[28:29]
	v_add_f64 v[0:1], v[0:1], v[6:7]
	v_mul_f64 v[6:7], v[68:69], v[104:105]
	v_addc_co_u32_e32 v191, vcc, v191, v5, vcc
	v_mul_f64 v[14:15], v[14:15], v[32:33]
	v_fmac_f64_e32 v[10:11], v[12:13], v[26:27]
	v_fma_f64 v[6:7], v[66:67], v[102:103], -v[6:7]
	v_add_co_u32_e32 v196, vcc, s12, v196
	v_mul_f64 v[18:19], v[18:19], v[40:41]
	v_add_f64 v[2:3], v[2:3], v[10:11]
	v_fmac_f64_e32 v[14:15], v[16:17], v[30:31]
	v_add_f64 v[0:1], v[0:1], v[6:7]
	v_mul_f64 v[6:7], v[76:77], v[108:109]
	v_addc_co_u32_e32 v193, vcc, v193, v5, vcc
	v_add_f64 v[2:3], v[2:3], v[14:15]
	v_fmac_f64_e32 v[18:19], v[20:21], v[38:39]
	v_mul_f64 v[8:9], v[34:35], v[56:57]
	v_fma_f64 v[6:7], v[74:75], v[106:107], -v[6:7]
	v_add_co_u32_e32 v198, vcc, s12, v198
	v_add_f64 v[2:3], v[2:3], v[18:19]
	v_mul_f64 v[10:11], v[42:43], v[60:61]
	v_fmac_f64_e32 v[8:9], v[36:37], v[54:55]
	v_add_f64 v[0:1], v[0:1], v[6:7]
	v_mul_f64 v[6:7], v[80:81], v[112:113]
	v_addc_co_u32_e32 v195, vcc, v195, v5, vcc
	v_mul_f64 v[12:13], v[46:47], v[64:65]
	v_add_f64 v[2:3], v[2:3], v[8:9]
	v_fmac_f64_e32 v[10:11], v[44:45], v[58:59]
	v_fma_f64 v[6:7], v[78:79], v[110:111], -v[6:7]
	v_add_co_u32_e32 v200, vcc, s12, v200
	v_mul_f64 v[14:15], v[50:51], v[72:73]
	v_add_f64 v[2:3], v[2:3], v[10:11]
	v_fmac_f64_e32 v[12:13], v[48:49], v[62:63]
	v_add_f64 v[0:1], v[0:1], v[6:7]
	v_mul_f64 v[6:7], v[100:101], v[120:121]
	v_addc_co_u32_e32 v197, vcc, v197, v5, vcc
	v_add_f64 v[2:3], v[2:3], v[12:13]
	v_fmac_f64_e32 v[14:15], v[52:53], v[70:71]
	v_mul_f64 v[8:9], v[66:67], v[104:105]
	v_fma_f64 v[6:7], v[98:99], v[118:119], -v[6:7]
	v_add_co_u32_e32 v202, vcc, s12, v202
	v_add_f64 v[2:3], v[2:3], v[14:15]
	v_mul_f64 v[10:11], v[74:75], v[108:109]
	v_add_f64 v[0:1], v[0:1], v[6:7]
	v_fmac_f64_e32 v[8:9], v[68:69], v[102:103]
	v_mul_f64 v[6:7], v[116:117], v[88:89]
	v_addc_co_u32_e32 v199, vcc, v199, v5, vcc
	v_mul_f64 v[12:13], v[78:79], v[112:113]
	v_add_f64 v[2:3], v[2:3], v[8:9]
	v_fmac_f64_e32 v[10:11], v[76:77], v[106:107]
	v_fma_f64 v[6:7], v[114:115], v[86:87], -v[6:7]
	v_add_co_u32_e32 v204, vcc, s12, v204
	v_mul_f64 v[14:15], v[98:99], v[120:121]
	v_add_f64 v[2:3], v[2:3], v[10:11]
	v_fmac_f64_e32 v[12:13], v[80:81], v[110:111]
	v_add_f64 v[0:1], v[0:1], v[6:7]
	v_mul_f64 v[6:7], v[124:125], v[92:93]
	v_addc_co_u32_e32 v201, vcc, v201, v5, vcc
	v_add_f64 v[2:3], v[2:3], v[12:13]
	v_fmac_f64_e32 v[14:15], v[100:101], v[118:119]
	v_mul_f64 v[8:9], v[114:115], v[88:89]
	v_fma_f64 v[6:7], v[122:123], v[90:91], -v[6:7]
	v_add_co_u32_e32 v206, vcc, s12, v206
	v_add_f64 v[2:3], v[2:3], v[14:15]
	v_mul_f64 v[10:11], v[122:123], v[92:93]
	v_add_f64 v[0:1], v[0:1], v[6:7]
	v_mul_f64 v[6:7], v[128:129], v[96:97]
	v_fmac_f64_e32 v[8:9], v[116:117], v[86:87]
	v_addc_co_u32_e32 v203, vcc, v203, v5, vcc
	v_fma_f64 v[6:7], v[126:127], v[94:95], -v[6:7]
	v_mul_f64 v[12:13], v[126:127], v[96:97]
	v_fmac_f64_e32 v[10:11], v[124:125], v[90:91]
	v_add_f64 v[2:3], v[2:3], v[8:9]
	v_add_co_u32_e32 v208, vcc, s12, v208
	v_add_f64 v[0:1], v[0:1], v[6:7]
	v_mul_f64 v[6:7], v[132:133], v[136:137]
	v_mul_f64 v[14:15], v[130:131], v[136:137]
	v_fmac_f64_e32 v[12:13], v[128:129], v[94:95]
	v_add_f64 v[2:3], v[2:3], v[10:11]
	v_addc_co_u32_e32 v205, vcc, v205, v5, vcc
	v_fma_f64 v[6:7], v[130:131], v[134:135], -v[6:7]
	v_fmac_f64_e32 v[14:15], v[132:133], v[134:135]
	v_add_f64 v[2:3], v[2:3], v[12:13]
	s_add_i32 s4, s6, 1
	s_add_i32 s10, s10, s35
	;; [unrolled: 1-line block ×3, first 2 shown]
	v_add_co_u32_e32 v210, vcc, s12, v210
	v_add_f64 v[0:1], v[0:1], v[6:7]
	v_add_f64 v[2:3], v[2:3], v[14:15]
	v_add_u32_e32 v170, 64, v170
	s_cmp_ge_u32 s5, s7
	v_addc_co_u32_e32 v207, vcc, v207, v5, vcc
	s_barrier
	s_cbranch_scc1 .LBB191_156
; %bb.155:                              ;   in Loop: Header=BB191_104 Depth=1
	s_mov_b32 s6, s4
	s_cmp_eq_u32 s34, s6
	s_cselect_b32 s24, s33, 0
	s_and_saveexec_b64 s[4:5], s[0:1]
	s_cbranch_execnz .LBB191_100
	s_branch .LBB191_104
.LBB191_156:
	s_movk_i32 s2, 0x430
	v_cmp_gt_i32_e32 vcc, s18, v168
	v_mad_u32_u24 v4, v209, s2, v211
	s_or_b64 s[2:3], s[20:21], vcc
	s_and_b64 s[0:1], s[0:1], s[2:3]
	ds_write_b128 v4, v[0:3]
	s_waitcnt lgkmcnt(0)
	s_barrier
	s_and_saveexec_b64 s[2:3], s[0:1]
	s_cbranch_execz .LBB191_158
; %bb.157:
	ds_read_b128 v[0:3], v211 offset:1072
	ds_read_b128 v[4:7], v211
	ds_read_b128 v[8:11], v211 offset:2144
	ds_read_b128 v[12:15], v211 offset:3216
	v_ashrrev_i32_e32 v167, 31, v166
	s_waitcnt lgkmcnt(2)
	v_add_f64 v[0:1], v[0:1], v[4:5]
	v_add_f64 v[2:3], v[2:3], v[6:7]
	v_lshlrev_b64 v[4:5], 4, v[166:167]
	s_waitcnt lgkmcnt(1)
	v_add_f64 v[0:1], v[0:1], v[8:9]
	v_add_f64 v[2:3], v[2:3], v[10:11]
	v_mov_b32_e32 v6, s25
	v_add_co_u32_e32 v4, vcc, s19, v4
	s_waitcnt lgkmcnt(0)
	v_add_f64 v[0:1], v[0:1], v[12:13]
	v_add_f64 v[2:3], v[2:3], v[14:15]
	v_addc_co_u32_e32 v5, vcc, v6, v5, vcc
	global_store_dwordx4 v[4:5], v[0:3], off
.LBB191_158:
	s_endpgm
	.section	.rodata,"a",@progbits
	.p2align	6, 0x0
	.amdhsa_kernel _ZL26rocblas_hemvn_kernel_upperILb0ELi64ELi4ELi33ELi32ELi16Ei19rocblas_complex_numIdEPKPKS1_PS1_EviT6_lT7_lT5_lS8_lS9_lS7_lT8_i
		.amdhsa_group_segment_fixed_size 19200
		.amdhsa_private_segment_fixed_size 0
		.amdhsa_kernarg_size 392
		.amdhsa_user_sgpr_count 6
		.amdhsa_user_sgpr_private_segment_buffer 1
		.amdhsa_user_sgpr_dispatch_ptr 0
		.amdhsa_user_sgpr_queue_ptr 0
		.amdhsa_user_sgpr_kernarg_segment_ptr 1
		.amdhsa_user_sgpr_dispatch_id 0
		.amdhsa_user_sgpr_flat_scratch_init 0
		.amdhsa_user_sgpr_kernarg_preload_length 0
		.amdhsa_user_sgpr_kernarg_preload_offset 0
		.amdhsa_user_sgpr_private_segment_size 0
		.amdhsa_uses_dynamic_stack 0
		.amdhsa_system_sgpr_private_segment_wavefront_offset 0
		.amdhsa_system_sgpr_workgroup_id_x 1
		.amdhsa_system_sgpr_workgroup_id_y 0
		.amdhsa_system_sgpr_workgroup_id_z 1
		.amdhsa_system_sgpr_workgroup_info 0
		.amdhsa_system_vgpr_workitem_id 1
		.amdhsa_next_free_vgpr 240
		.amdhsa_next_free_sgpr 44
		.amdhsa_accum_offset 240
		.amdhsa_reserve_vcc 1
		.amdhsa_reserve_flat_scratch 0
		.amdhsa_float_round_mode_32 0
		.amdhsa_float_round_mode_16_64 0
		.amdhsa_float_denorm_mode_32 3
		.amdhsa_float_denorm_mode_16_64 3
		.amdhsa_dx10_clamp 1
		.amdhsa_ieee_mode 1
		.amdhsa_fp16_overflow 0
		.amdhsa_tg_split 0
		.amdhsa_exception_fp_ieee_invalid_op 0
		.amdhsa_exception_fp_denorm_src 0
		.amdhsa_exception_fp_ieee_div_zero 0
		.amdhsa_exception_fp_ieee_overflow 0
		.amdhsa_exception_fp_ieee_underflow 0
		.amdhsa_exception_fp_ieee_inexact 0
		.amdhsa_exception_int_div_zero 0
	.end_amdhsa_kernel
	.section	.text._ZL26rocblas_hemvn_kernel_upperILb0ELi64ELi4ELi33ELi32ELi16Ei19rocblas_complex_numIdEPKPKS1_PS1_EviT6_lT7_lT5_lS8_lS9_lS7_lT8_i,"axG",@progbits,_ZL26rocblas_hemvn_kernel_upperILb0ELi64ELi4ELi33ELi32ELi16Ei19rocblas_complex_numIdEPKPKS1_PS1_EviT6_lT7_lT5_lS8_lS9_lS7_lT8_i,comdat
.Lfunc_end191:
	.size	_ZL26rocblas_hemvn_kernel_upperILb0ELi64ELi4ELi33ELi32ELi16Ei19rocblas_complex_numIdEPKPKS1_PS1_EviT6_lT7_lT5_lS8_lS9_lS7_lT8_i, .Lfunc_end191-_ZL26rocblas_hemvn_kernel_upperILb0ELi64ELi4ELi33ELi32ELi16Ei19rocblas_complex_numIdEPKPKS1_PS1_EviT6_lT7_lT5_lS8_lS9_lS7_lT8_i
                                        ; -- End function
	.section	.AMDGPU.csdata,"",@progbits
; Kernel info:
; codeLenInByte = 10648
; NumSgprs: 48
; NumVgprs: 240
; NumAgprs: 0
; TotalNumVgprs: 240
; ScratchSize: 0
; MemoryBound: 1
; FloatMode: 240
; IeeeMode: 1
; LDSByteSize: 19200 bytes/workgroup (compile time only)
; SGPRBlocks: 5
; VGPRBlocks: 29
; NumSGPRsForWavesPerEU: 48
; NumVGPRsForWavesPerEU: 240
; AccumOffset: 240
; Occupancy: 2
; WaveLimiterHint : 1
; COMPUTE_PGM_RSRC2:SCRATCH_EN: 0
; COMPUTE_PGM_RSRC2:USER_SGPR: 6
; COMPUTE_PGM_RSRC2:TRAP_HANDLER: 0
; COMPUTE_PGM_RSRC2:TGID_X_EN: 1
; COMPUTE_PGM_RSRC2:TGID_Y_EN: 0
; COMPUTE_PGM_RSRC2:TGID_Z_EN: 1
; COMPUTE_PGM_RSRC2:TIDIG_COMP_CNT: 1
; COMPUTE_PGM_RSRC3_GFX90A:ACCUM_OFFSET: 59
; COMPUTE_PGM_RSRC3_GFX90A:TG_SPLIT: 0
	.section	.text._ZL26rocblas_hemvn_kernel_lowerILb0ELi64ELi4ELi33ELi32ELi16ElPK19rocblas_complex_numIdEPKS3_PS1_EviT6_lT7_lT5_lS8_lS9_lS7_lT8_i,"axG",@progbits,_ZL26rocblas_hemvn_kernel_lowerILb0ELi64ELi4ELi33ELi32ELi16ElPK19rocblas_complex_numIdEPKS3_PS1_EviT6_lT7_lT5_lS8_lS9_lS7_lT8_i,comdat
	.globl	_ZL26rocblas_hemvn_kernel_lowerILb0ELi64ELi4ELi33ELi32ELi16ElPK19rocblas_complex_numIdEPKS3_PS1_EviT6_lT7_lT5_lS8_lS9_lS7_lT8_i ; -- Begin function _ZL26rocblas_hemvn_kernel_lowerILb0ELi64ELi4ELi33ELi32ELi16ElPK19rocblas_complex_numIdEPKS3_PS1_EviT6_lT7_lT5_lS8_lS9_lS7_lT8_i
	.p2align	8
	.type	_ZL26rocblas_hemvn_kernel_lowerILb0ELi64ELi4ELi33ELi32ELi16ElPK19rocblas_complex_numIdEPKS3_PS1_EviT6_lT7_lT5_lS8_lS9_lS7_lT8_i,@function
_ZL26rocblas_hemvn_kernel_lowerILb0ELi64ELi4ELi33ELi32ELi16ElPK19rocblas_complex_numIdEPKS3_PS1_EviT6_lT7_lT5_lS8_lS9_lS7_lT8_i: ; @_ZL26rocblas_hemvn_kernel_lowerILb0ELi64ELi4ELi33ELi32ELi16ElPK19rocblas_complex_numIdEPKS3_PS1_EviT6_lT7_lT5_lS8_lS9_lS7_lT8_i
; %bb.0:
	s_load_dwordx2 s[0:1], s[4:5], 0x84
	s_add_u32 s16, s4, 0x78
	s_addc_u32 s17, s5, 0
	s_waitcnt lgkmcnt(0)
	s_lshr_b32 s2, s0, 16
	s_and_b32 s0, s0, 0xffff
	s_and_b32 s1, s1, 0xffff
	s_mul_i32 s0, s2, s0
	s_mul_i32 s0, s0, s1
	s_cmpk_lg_i32 s0, 0x100
	s_cbranch_scc1 .LBB192_107
; %bb.1:
	s_load_dwordx8 s[8:15], s[4:5], 0x8
	s_load_dwordx2 s[26:27], s[4:5], 0x68
	s_mov_b32 s24, s7
	s_mov_b32 s25, 0
	s_waitcnt lgkmcnt(0)
	s_mul_i32 s1, s7, s11
	s_mul_hi_u32 s2, s7, s10
	s_mul_i32 s0, s7, s10
	s_add_i32 s1, s2, s1
	s_lshl_b64 s[0:1], s[0:1], 4
	s_add_u32 s8, s8, s0
	s_addc_u32 s9, s9, s1
	s_load_dwordx4 s[28:31], s[8:9], 0x0
	s_load_dwordx2 s[22:23], s[4:5], 0x28
	s_load_dwordx4 s[0:3], s[4:5], 0x58
	s_mov_b64 s[8:9], 0
	s_waitcnt lgkmcnt(0)
	v_cmp_neq_f64_e64 s[10:11], s[28:29], 0
	v_cmp_neq_f64_e64 s[18:19], s[30:31], 0
	s_or_b64 s[28:29], s[10:11], s[18:19]
	s_and_b64 vcc, exec, s[28:29]
	s_cbranch_vccnz .LBB192_3
; %bb.2:
	s_mul_i32 s3, s24, s3
	s_mul_hi_u32 s7, s24, s2
	s_add_i32 s3, s7, s3
	s_mul_i32 s2, s24, s2
	s_lshl_b64 s[2:3], s[2:3], 4
	s_add_u32 s0, s0, s2
	s_addc_u32 s1, s1, s3
	s_load_dwordx4 s[0:3], s[0:1], 0x0
	s_mov_b64 s[18:19], 0
	s_waitcnt lgkmcnt(0)
	v_cmp_neq_f64_e64 s[0:1], s[0:1], 1.0
	v_cmp_neq_f64_e64 s[2:3], s[2:3], 0
	s_or_b64 s[8:9], s[0:1], s[2:3]
	s_cbranch_execz .LBB192_4
	s_branch .LBB192_5
.LBB192_3:
	s_mov_b64 s[18:19], -1
.LBB192_4:
	s_lshl_b64 s[0:1], s[24:25], 3
	s_add_u32 s0, s12, s0
	s_addc_u32 s1, s13, s1
	s_load_dwordx2 s[0:1], s[0:1], 0x0
	s_lshl_b64 s[2:3], s[14:15], 4
	s_mov_b64 s[8:9], -1
	s_waitcnt lgkmcnt(0)
	s_add_u32 s18, s0, s2
	s_addc_u32 s19, s1, s3
.LBB192_5:
	s_andn2_b64 vcc, exec, s[8:9]
	s_cbranch_vccnz .LBB192_107
; %bb.6:
	s_load_dwordx4 s[8:11], s[4:5], 0x38
	s_load_dwordx2 s[20:21], s[4:5], 0x48
	v_cndmask_b32_e64 v1, 0, 1, s[28:29]
	v_cmp_ne_u32_e64 s[0:1], 1, v1
	s_andn2_b64 vcc, exec, s[28:29]
	s_mov_b64 s[2:3], 0
	s_cbranch_vccnz .LBB192_8
; %bb.7:
	s_lshl_b64 s[2:3], s[24:25], 3
	s_waitcnt lgkmcnt(0)
	s_add_u32 s2, s8, s2
	s_addc_u32 s3, s9, s3
	s_load_dwordx2 s[2:3], s[2:3], 0x0
	s_lshl_b64 s[8:9], s[10:11], 4
	s_waitcnt lgkmcnt(0)
	s_add_u32 s2, s2, s8
	s_addc_u32 s3, s3, s9
.LBB192_8:
	s_and_b64 vcc, exec, s[0:1]
	s_cbranch_vccnz .LBB192_107
; %bb.9:
	s_load_dword s25, s[16:17], 0x0
	s_load_dword s7, s[4:5], 0x0
	v_and_b32_e32 v42, 0x3ff, v0
	s_lshl_b32 s30, s6, 6
	v_add_u32_e32 v148, s30, v42
	s_waitcnt lgkmcnt(0)
	s_add_i32 s0, s25, -1
	s_ashr_i32 s33, s7, 31
	s_lshr_b32 s1, s33, 26
	s_add_i32 s1, s7, s1
	s_andn2_b32 s1, s1, 63
	s_sub_i32 s1, s7, s1
	s_cmp_eq_u32 s6, s0
	v_ashrrev_i32_e32 v149, 31, v148
	v_bfe_u32 v154, v0, 10, 10
	s_cselect_b32 s28, s1, 0
	v_mul_lo_u32 v2, v149, s20
	v_mul_lo_u32 v3, v148, s21
	v_mad_u64_u32 v[0:1], s[0:1], v148, s20, 0
	v_add3_u32 v1, v1, v3, v2
	v_lshlrev_b64 v[0:1], 4, v[0:1]
	v_mov_b32_e32 v2, s3
	v_add_co_u32_e32 v36, vcc, s2, v0
	v_addc_co_u32_e32 v37, vcc, v2, v1, vcc
	v_cmp_ne_u32_e64 s[0:1], 0, v154
	v_cmp_eq_u32_e64 s[2:3], 0, v154
	s_and_saveexec_b64 s[4:5], s[2:3]
	s_cbranch_execz .LBB192_14
; %bb.10:
	s_cmp_lg_u32 s28, 0
	s_cselect_b64 s[8:9], -1, 0
	v_cmp_le_i32_e32 vcc, s28, v42
	v_mov_b32_e32 v0, 0x4700
	s_and_b64 s[8:9], s[8:9], vcc
	v_lshl_add_u32 v0, v42, 4, v0
	s_and_saveexec_b64 s[10:11], s[8:9]
	s_xor_b64 s[8:9], exec, s[10:11]
	s_cbranch_execz .LBB192_12
; %bb.11:
	v_mov_b32_e32 v2, 0
	v_mov_b32_e32 v3, v2
	;; [unrolled: 1-line block ×4, first 2 shown]
	ds_write_b128 v0, v[2:5]
                                        ; implicit-def: $vgpr0
.LBB192_12:
	s_andn2_saveexec_b64 s[8:9], s[8:9]
	s_cbranch_execz .LBB192_14
; %bb.13:
	flat_load_dwordx4 v[2:5], v[36:37]
	s_waitcnt vmcnt(0) lgkmcnt(0)
	ds_write2_b64 v0, v[2:3], v[4:5] offset1:1
.LBB192_14:
	s_or_b64 exec, exec, s[4:5]
	s_ashr_i32 s31, s30, 31
	v_lshl_add_u32 v43, v154, 6, v42
	s_lshl_b64 s[4:5], s[30:31], 4
	v_and_b32_e32 v4, 31, v42
	v_lshrrev_b32_e32 v10, 5, v43
	s_add_u32 s8, s18, s4
	v_mov_b32_e32 v5, 0
	s_addc_u32 s9, s19, s5
	v_mad_u64_u32 v[0:1], s[4:5], v10, s22, v[4:5]
	v_mov_b32_e32 v2, v1
	v_mad_u64_u32 v[2:3], s[4:5], v10, s23, v[2:3]
	s_mul_i32 s4, s30, s23
	s_mul_hi_u32 s5, s30, s22
	s_add_i32 s4, s5, s4
	s_mul_i32 s5, s31, s22
	s_add_i32 s5, s4, s5
	s_mul_i32 s4, s30, s22
	s_lshl_b64 s[34:35], s[4:5], 4
	v_mov_b32_e32 v1, v2
	s_add_u32 s4, s34, s8
	v_lshlrev_b64 v[38:39], 4, v[0:1]
	s_addc_u32 s5, s35, s9
	v_mov_b32_e32 v0, s5
	v_add_co_u32_e32 v6, vcc, s4, v38
	s_cmp_lg_u32 s28, 0
	v_addc_co_u32_e32 v7, vcc, v0, v39, vcc
	s_cselect_b64 s[36:37], -1, 0
	s_cmp_eq_u32 s28, 0
	s_cselect_b64 s[38:39], -1, 0
	s_and_b64 vcc, exec, s[36:37]
	s_cbranch_vccnz .LBB192_16
; %bb.15:
	flat_load_dwordx4 v[0:3], v[6:7]
	v_mul_u32_u24_e32 v5, 33, v10
	s_lshl_b64 s[4:5], s[22:23], 7
	v_add_lshl_u32 v5, v5, v4, 4
	v_mov_b32_e32 v11, s5
	v_add_co_u32_e32 v8, vcc, s4, v6
	v_addc_co_u32_e32 v9, vcc, v7, v11, vcc
	v_add_u32_e32 v12, 0x1080, v5
	s_mul_i32 s8, s23, 0x180
	s_waitcnt vmcnt(0) lgkmcnt(0)
	ds_write2_b64 v5, v[0:1], v[2:3] offset1:1
	flat_load_dwordx4 v[0:3], v[8:9]
	v_add_co_u32_e32 v8, vcc, s4, v8
	v_addc_co_u32_e32 v9, vcc, v9, v11, vcc
	v_add_u32_e32 v11, 0x2100, v5
	v_add_u32_e32 v5, 0x3180, v5
	s_waitcnt vmcnt(0) lgkmcnt(0)
	ds_write2_b64 v12, v[0:1], v[2:3] offset1:1
	flat_load_dwordx4 v[0:3], v[8:9]
	v_mov_b32_e32 v8, 0x180
	v_mad_u64_u32 v[8:9], s[4:5], s22, v8, v[6:7]
	v_add_u32_e32 v9, s8, v9
	s_waitcnt vmcnt(0) lgkmcnt(0)
	ds_write2_b64 v11, v[0:1], v[2:3] offset1:1
	flat_load_dwordx4 v[0:3], v[8:9]
	s_waitcnt vmcnt(0) lgkmcnt(0)
	ds_write2_b64 v5, v[0:1], v[2:3] offset1:1
	s_cbranch_execz .LBB192_17
	s_branch .LBB192_34
.LBB192_16:
.LBB192_17:
	v_lshlrev_b32_e32 v2, 4, v4
	v_sub_co_u32_e32 v0, vcc, v6, v2
	s_ashr_i32 s29, s28, 31
	v_subbrev_co_u32_e32 v1, vcc, 0, v7, vcc
	s_lshl_b64 s[8:9], s[28:29], 4
	v_mov_b32_e32 v3, s9
	v_add_co_u32_e32 v0, vcc, s8, v0
	v_addc_co_u32_e32 v1, vcc, v1, v3, vcc
	v_add_co_u32_e32 v0, vcc, -16, v0
	v_addc_co_u32_e32 v1, vcc, -1, v1, vcc
	v_cmp_gt_i32_e32 vcc, s28, v4
	v_mul_u32_u24_e32 v3, 33, v10
	v_cndmask_b32_e32 v1, v1, v7, vcc
	v_cndmask_b32_e32 v0, v0, v6, vcc
	v_cmp_le_i32_e64 s[4:5], s28, v10
	v_add_lshl_u32 v3, v3, v4, 4
	s_and_saveexec_b64 s[10:11], s[4:5]
	s_xor_b64 s[4:5], exec, s[10:11]
	s_cbranch_execz .LBB192_19
; %bb.18:
	v_mov_b32_e32 v12, 0
	v_mov_b32_e32 v13, v12
	;; [unrolled: 1-line block ×4, first 2 shown]
	ds_write_b128 v3, v[12:15]
.LBB192_19:
	s_andn2_saveexec_b64 s[4:5], s[4:5]
	s_cbranch_execz .LBB192_21
; %bb.20:
	flat_load_dwordx4 v[12:15], v[0:1]
	s_waitcnt vmcnt(0) lgkmcnt(0)
	ds_write2_b64 v3, v[12:13], v[14:15] offset1:1
.LBB192_21:
	s_or_b64 exec, exec, s[4:5]
	v_add_u32_e32 v5, 8, v10
	v_cmp_le_i32_e64 s[4:5], s28, v5
	s_and_saveexec_b64 s[10:11], s[4:5]
	s_xor_b64 s[4:5], exec, s[10:11]
	s_cbranch_execz .LBB192_23
; %bb.22:
	v_mul_u32_u24_e32 v5, 33, v5
	v_mov_b32_e32 v12, 0
	v_add_lshl_u32 v5, v5, v4, 4
	v_mov_b32_e32 v13, v12
	v_mov_b32_e32 v14, v12
	;; [unrolled: 1-line block ×3, first 2 shown]
	ds_write_b128 v5, v[12:15]
.LBB192_23:
	s_andn2_saveexec_b64 s[10:11], s[4:5]
	s_cbranch_execz .LBB192_25
; %bb.24:
	s_lshl_b64 s[4:5], s[22:23], 7
	v_mov_b32_e32 v5, s5
	v_add_co_u32_e64 v8, s[4:5], s4, v0
	v_addc_co_u32_e64 v9, s[4:5], v1, v5, s[4:5]
	flat_load_dwordx4 v[12:15], v[8:9]
	v_add_u32_e32 v5, 0x1080, v3
	s_waitcnt vmcnt(0) lgkmcnt(0)
	ds_write2_b64 v5, v[12:13], v[14:15] offset1:1
.LBB192_25:
	s_or_b64 exec, exec, s[10:11]
	v_add_u32_e32 v5, 16, v10
	v_cmp_le_i32_e64 s[4:5], s28, v5
	s_and_saveexec_b64 s[10:11], s[4:5]
	s_xor_b64 s[4:5], exec, s[10:11]
	s_cbranch_execz .LBB192_27
; %bb.26:
	v_mov_b32_e32 v12, 0
	v_mov_b32_e32 v13, v12
	;; [unrolled: 1-line block ×4, first 2 shown]
	ds_write_b128 v3, v[12:15] offset:8448
.LBB192_27:
	s_andn2_saveexec_b64 s[10:11], s[4:5]
	s_cbranch_execz .LBB192_29
; %bb.28:
	s_lshl_b64 s[4:5], s[22:23], 8
	v_mov_b32_e32 v5, s5
	v_add_co_u32_e64 v8, s[4:5], s4, v0
	v_addc_co_u32_e64 v9, s[4:5], v1, v5, s[4:5]
	flat_load_dwordx4 v[12:15], v[8:9]
	v_add_u32_e32 v5, 0x2100, v3
	s_waitcnt vmcnt(0) lgkmcnt(0)
	ds_write2_b64 v5, v[12:13], v[14:15] offset1:1
.LBB192_29:
	s_or_b64 exec, exec, s[10:11]
	v_add_u32_e32 v5, 24, v10
	v_cmp_le_i32_e64 s[4:5], s28, v5
	s_and_saveexec_b64 s[10:11], s[4:5]
	s_xor_b64 s[4:5], exec, s[10:11]
	s_cbranch_execz .LBB192_31
; %bb.30:
	v_mov_b32_e32 v12, 0
	v_mov_b32_e32 v13, v12
	;; [unrolled: 1-line block ×4, first 2 shown]
	ds_write_b128 v3, v[12:15] offset:12672
                                        ; implicit-def: $vgpr3
.LBB192_31:
	s_andn2_saveexec_b64 s[4:5], s[4:5]
	s_cbranch_execz .LBB192_33
; %bb.32:
	v_mov_b32_e32 v5, 0x180
	v_mad_u64_u32 v[8:9], s[10:11], s22, v5, v[0:1]
	s_mul_i32 s10, s23, 0x180
	v_add_u32_e32 v9, s10, v9
	flat_load_dwordx4 v[12:15], v[8:9]
	v_add_u32_e32 v3, 0x3180, v3
	s_waitcnt vmcnt(0) lgkmcnt(0)
	ds_write2_b64 v3, v[12:13], v[14:15] offset1:1
.LBB192_33:
	s_or_b64 exec, exec, s[4:5]
	v_add_co_u32_e64 v0, s[4:5], v0, v2
	v_addc_co_u32_e64 v1, s[4:5], 0, v1, s[4:5]
	v_mov_b32_e32 v2, s9
	v_subrev_co_u32_e64 v0, s[4:5], s8, v0
	v_subb_co_u32_e64 v1, s[4:5], v1, v2, s[4:5]
	v_add_co_u32_e64 v0, s[4:5], 16, v0
	v_addc_co_u32_e64 v1, s[4:5], 0, v1, s[4:5]
	v_cndmask_b32_e32 v7, v1, v7, vcc
	v_cndmask_b32_e32 v6, v0, v6, vcc
.LBB192_34:
	v_lshlrev_b32_e32 v0, 2, v10
	v_mul_u32_u24_e32 v44, 33, v4
	v_cmp_lt_u32_e64 s[18:19], v0, v4
	v_add_lshl_u32 v5, v0, v44, 4
	s_waitcnt lgkmcnt(0)
	s_barrier
	s_and_saveexec_b64 s[4:5], s[18:19]
	s_cbranch_execz .LBB192_36
; %bb.35:
	v_mul_u32_u24_e32 v1, 0x84, v10
	v_add_lshl_u32 v1, v1, v4, 4
	ds_read_b128 v[12:15], v1
	s_waitcnt lgkmcnt(0)
	ds_write_b128 v5, v[12:15]
.LBB192_36:
	s_or_b64 exec, exec, s[4:5]
	v_or_b32_e32 v1, 1, v0
	v_cmp_lt_u32_e64 s[8:9], v1, v4
	s_and_saveexec_b64 s[4:5], s[8:9]
	s_cbranch_execz .LBB192_38
; %bb.37:
	v_mul_u32_u24_e32 v1, 33, v1
	v_add_lshl_u32 v1, v1, v4, 4
	ds_read_b128 v[12:15], v1
	s_waitcnt lgkmcnt(0)
	ds_write_b128 v5, v[12:15] offset:16
.LBB192_38:
	s_or_b64 exec, exec, s[4:5]
	v_or_b32_e32 v1, 2, v0
	v_cmp_lt_u32_e64 s[10:11], v1, v4
	s_and_saveexec_b64 s[4:5], s[10:11]
	s_cbranch_execz .LBB192_40
; %bb.39:
	v_mul_u32_u24_e32 v1, 33, v1
	v_add_lshl_u32 v1, v1, v4, 4
	ds_read_b128 v[12:15], v1
	s_waitcnt lgkmcnt(0)
	ds_write_b128 v5, v[12:15] offset:32
.LBB192_40:
	s_or_b64 exec, exec, s[4:5]
	v_or_b32_e32 v1, 3, v0
	v_cmp_lt_u32_e64 s[12:13], v1, v4
	v_mad_u32_u24 v1, v1, 33, v4
	v_lshlrev_b32_e32 v11, 4, v1
	s_and_saveexec_b64 s[4:5], s[12:13]
	s_cbranch_execz .LBB192_42
; %bb.41:
	ds_read_b128 v[12:15], v11
	s_waitcnt lgkmcnt(0)
	ds_write_b128 v5, v[12:15] offset:48
.LBB192_42:
	s_or_b64 exec, exec, s[4:5]
	v_mul_u32_u24_e32 v1, 0x84, v10
	v_lshlrev_b32_e32 v14, 4, v0
	s_waitcnt lgkmcnt(0)
	s_barrier
	v_add_lshl_u32 v13, v1, v4, 4
	ds_read_b128 v[0:3], v14 offset:18176
	ds_read_b128 v[16:19], v13
	ds_read_b128 v[20:23], v14 offset:18192
	ds_read_b128 v[24:27], v14 offset:18208
	v_add_u32_e32 v12, 0xfffffbe0, v11
	ds_read_b128 v[28:31], v12
	ds_read_b128 v[32:35], v12 offset:528
	s_waitcnt lgkmcnt(4)
	v_mul_f64 v[8:9], v[2:3], v[18:19]
	v_fma_f64 v[8:9], v[0:1], v[16:17], -v[8:9]
	v_mul_f64 v[0:1], v[0:1], v[18:19]
	v_fmac_f64_e32 v[0:1], v[2:3], v[16:17]
	s_waitcnt lgkmcnt(1)
	v_mul_f64 v[16:17], v[20:21], v[30:31]
	v_add_f64 v[2:3], v[8:9], 0
	v_add_f64 v[0:1], v[0:1], 0
	v_mul_f64 v[8:9], v[22:23], v[30:31]
	v_fmac_f64_e32 v[16:17], v[22:23], v[28:29]
	v_fma_f64 v[8:9], v[20:21], v[28:29], -v[8:9]
	v_add_f64 v[20:21], v[0:1], v[16:17]
	s_waitcnt lgkmcnt(0)
	v_mul_f64 v[0:1], v[26:27], v[34:35]
	v_add_f64 v[8:9], v[2:3], v[8:9]
	v_fma_f64 v[22:23], v[24:25], v[32:33], -v[0:1]
	ds_read_b128 v[0:3], v14 offset:18224
	ds_read_b128 v[16:19], v11
	v_mul_f64 v[24:25], v[24:25], v[34:35]
	v_fmac_f64_e32 v[24:25], v[26:27], v[32:33]
	v_add_f64 v[8:9], v[8:9], v[22:23]
	v_add_f64 v[20:21], v[20:21], v[24:25]
	s_waitcnt lgkmcnt(0)
	v_mul_f64 v[22:23], v[2:3], v[18:19]
	v_mul_f64 v[18:19], v[0:1], v[18:19]
	v_fma_f64 v[22:23], v[0:1], v[16:17], -v[22:23]
	v_fmac_f64_e32 v[18:19], v[2:3], v[16:17]
	v_add_f64 v[0:1], v[8:9], v[22:23]
	v_add_f64 v[2:3], v[20:21], v[18:19]
	v_add_lshl_u32 v45, v10, v44, 4
	s_barrier
	ds_write_b128 v45, v[0:3]
	v_pk_mov_b32 v[0:1], 0, 0
	v_cmp_gt_u32_e64 s[4:5], 32, v43
	v_pk_mov_b32 v[2:3], v[0:1], v[0:1] op_sel:[0,1]
	s_waitcnt lgkmcnt(0)
	s_barrier
	s_and_saveexec_b64 s[14:15], s[4:5]
	s_cbranch_execz .LBB192_44
; %bb.43:
	v_lshlrev_b32_e32 v15, 4, v44
	ds_read_b128 v[0:3], v15
	ds_read_b128 v[16:19], v15 offset:16
	ds_read_b128 v[20:23], v15 offset:32
	ds_read_b128 v[24:27], v15 offset:48
	s_waitcnt lgkmcnt(2)
	v_add_f64 v[0:1], v[16:17], v[0:1]
	v_add_f64 v[8:9], v[18:19], v[2:3]
	s_waitcnt lgkmcnt(1)
	v_add_f64 v[16:17], v[0:1], v[20:21]
	ds_read_b128 v[0:3], v15 offset:64
	v_add_f64 v[8:9], v[8:9], v[22:23]
	s_waitcnt lgkmcnt(1)
	v_add_f64 v[20:21], v[16:17], v[24:25]
	ds_read_b128 v[16:19], v15 offset:80
	;; [unrolled: 4-line block ×3, first 2 shown]
	v_add_f64 v[8:9], v[8:9], v[2:3]
	ds_read_b128 v[0:3], v15 offset:112
	s_waitcnt lgkmcnt(2)
	v_add_f64 v[16:17], v[24:25], v[16:17]
	v_add_f64 v[8:9], v[8:9], v[18:19]
	s_waitcnt lgkmcnt(1)
	v_add_f64 v[16:17], v[16:17], v[20:21]
	v_add_f64 v[8:9], v[8:9], v[22:23]
	;; [unrolled: 3-line block ×3, first 2 shown]
.LBB192_44:
	s_or_b64 exec, exec, s[14:15]
	s_lshl_b64 s[14:15], s[22:23], 9
	v_mov_b32_e32 v9, s15
	v_add_co_u32_e32 v8, vcc, s14, v6
	v_addc_co_u32_e32 v9, vcc, v7, v9, vcc
	v_add_co_u32_e32 v6, vcc, 0x200, v8
	v_cndmask_b32_e64 v7, 0, 1, s[38:39]
	s_mov_b64 s[16:17], vcc
	v_cmp_ne_u32_e64 s[14:15], 1, v7
	s_andn2_b64 vcc, exec, s[38:39]
	v_addc_co_u32_e64 v7, s[16:17], 0, v9, s[16:17]
	s_barrier
	s_cbranch_vccnz .LBB192_46
; %bb.45:
	flat_load_dwordx4 v[16:19], v[6:7]
	v_mul_u32_u24_e32 v15, 33, v10
	s_lshl_b64 s[16:17], s[22:23], 7
	v_add_lshl_u32 v15, v15, v4, 4
	v_mov_b32_e32 v22, s17
	v_add_co_u32_e32 v20, vcc, s16, v8
	v_addc_co_u32_e32 v21, vcc, v9, v22, vcc
	v_add_u32_e32 v23, 0x1080, v15
	s_mul_i32 s29, s23, 0x180
	s_waitcnt vmcnt(0) lgkmcnt(0)
	ds_write2_b64 v15, v[16:17], v[18:19] offset1:1
	flat_load_dwordx4 v[16:19], v[20:21] offset:512
	v_add_co_u32_e32 v20, vcc, s16, v20
	v_addc_co_u32_e32 v21, vcc, v21, v22, vcc
	s_waitcnt vmcnt(0) lgkmcnt(0)
	ds_write2_b64 v23, v[16:17], v[18:19] offset1:1
	flat_load_dwordx4 v[16:19], v[20:21] offset:512
	v_mov_b32_e32 v20, 0x180
	v_mad_u64_u32 v[8:9], s[16:17], s22, v20, v[8:9]
	v_add_u32_e32 v20, 0x2100, v15
	v_add_u32_e32 v9, s29, v9
	s_waitcnt vmcnt(0) lgkmcnt(0)
	ds_write2_b64 v20, v[16:17], v[18:19] offset1:1
	flat_load_dwordx4 v[16:19], v[8:9] offset:512
	v_add_u32_e32 v8, 0x3180, v15
	s_waitcnt vmcnt(0) lgkmcnt(0)
	ds_write2_b64 v8, v[16:17], v[18:19] offset1:1
	s_cbranch_execz .LBB192_47
	s_branch .LBB192_64
.LBB192_46:
.LBB192_47:
	v_or_b32_e32 v8, 32, v4
	v_lshlrev_b32_e32 v9, 4, v8
	v_sub_co_u32_e32 v9, vcc, v6, v9
	s_ashr_i32 s29, s28, 31
	v_subbrev_co_u32_e32 v15, vcc, 0, v7, vcc
	s_lshl_b64 s[38:39], s[28:29], 4
	v_mov_b32_e32 v16, s39
	v_add_co_u32_e32 v9, vcc, s38, v9
	v_addc_co_u32_e32 v15, vcc, v15, v16, vcc
	v_add_co_u32_e32 v16, vcc, -16, v9
	v_addc_co_u32_e32 v9, vcc, -1, v15, vcc
	v_cmp_gt_i32_e64 s[16:17], s28, v8
	s_sub_i32 s29, s28, 32
	v_mul_u32_u24_e32 v15, 33, v10
	v_cndmask_b32_e64 v9, v9, v7, s[16:17]
	v_cndmask_b32_e64 v8, v16, v6, s[16:17]
	v_cmp_le_i32_e32 vcc, s29, v10
	v_add_lshl_u32 v15, v15, v4, 4
	s_and_saveexec_b64 s[40:41], vcc
	s_xor_b64 s[40:41], exec, s[40:41]
	s_cbranch_execz .LBB192_49
; %bb.48:
	v_mov_b32_e32 v16, 0
	v_mov_b32_e32 v17, v16
	;; [unrolled: 1-line block ×4, first 2 shown]
	ds_write_b128 v15, v[16:19]
.LBB192_49:
	s_andn2_saveexec_b64 s[40:41], s[40:41]
	s_cbranch_execz .LBB192_51
; %bb.50:
	flat_load_dwordx4 v[16:19], v[8:9]
	s_waitcnt vmcnt(0) lgkmcnt(0)
	ds_write2_b64 v15, v[16:17], v[18:19] offset1:1
.LBB192_51:
	s_or_b64 exec, exec, s[40:41]
	v_add_u32_e32 v16, 8, v10
	v_cmp_le_i32_e32 vcc, s29, v16
	s_and_saveexec_b64 s[40:41], vcc
	s_xor_b64 s[40:41], exec, s[40:41]
	s_cbranch_execz .LBB192_53
; %bb.52:
	v_mul_u32_u24_e32 v16, 33, v16
	v_add_lshl_u32 v20, v16, v4, 4
	v_mov_b32_e32 v16, 0
	v_mov_b32_e32 v17, v16
	;; [unrolled: 1-line block ×4, first 2 shown]
	ds_write_b128 v20, v[16:19]
.LBB192_53:
	s_andn2_saveexec_b64 s[40:41], s[40:41]
	s_cbranch_execz .LBB192_55
; %bb.54:
	s_lshl_b64 s[42:43], s[22:23], 7
	v_mov_b32_e32 v17, s43
	v_add_co_u32_e32 v16, vcc, s42, v8
	v_addc_co_u32_e32 v17, vcc, v9, v17, vcc
	flat_load_dwordx4 v[16:19], v[16:17]
	v_add_u32_e32 v20, 0x1080, v15
	s_waitcnt vmcnt(0) lgkmcnt(0)
	ds_write2_b64 v20, v[16:17], v[18:19] offset1:1
.LBB192_55:
	s_or_b64 exec, exec, s[40:41]
	v_add_u32_e32 v16, 16, v10
	v_cmp_le_i32_e32 vcc, s29, v16
	s_and_saveexec_b64 s[40:41], vcc
	s_xor_b64 s[40:41], exec, s[40:41]
	s_cbranch_execz .LBB192_57
; %bb.56:
	v_mov_b32_e32 v16, 0
	v_mov_b32_e32 v17, v16
	;; [unrolled: 1-line block ×4, first 2 shown]
	ds_write_b128 v15, v[16:19] offset:8448
.LBB192_57:
	s_andn2_saveexec_b64 s[40:41], s[40:41]
	s_cbranch_execz .LBB192_59
; %bb.58:
	s_lshl_b64 s[42:43], s[22:23], 8
	v_mov_b32_e32 v17, s43
	v_add_co_u32_e32 v16, vcc, s42, v8
	v_addc_co_u32_e32 v17, vcc, v9, v17, vcc
	flat_load_dwordx4 v[16:19], v[16:17]
	v_add_u32_e32 v20, 0x2100, v15
	s_waitcnt vmcnt(0) lgkmcnt(0)
	ds_write2_b64 v20, v[16:17], v[18:19] offset1:1
.LBB192_59:
	s_or_b64 exec, exec, s[40:41]
	v_add_u32_e32 v16, 24, v10
	v_cmp_le_i32_e32 vcc, s29, v16
	s_and_saveexec_b64 s[40:41], vcc
	s_xor_b64 s[40:41], exec, s[40:41]
	s_cbranch_execz .LBB192_61
; %bb.60:
	v_mov_b32_e32 v16, 0
	v_mov_b32_e32 v17, v16
	;; [unrolled: 1-line block ×4, first 2 shown]
	ds_write_b128 v15, v[16:19] offset:12672
                                        ; implicit-def: $vgpr15
.LBB192_61:
	s_andn2_saveexec_b64 s[40:41], s[40:41]
	s_cbranch_execz .LBB192_63
; %bb.62:
	v_mov_b32_e32 v16, 0x180
	v_mad_u64_u32 v[16:17], s[42:43], s22, v16, v[8:9]
	s_mul_i32 s29, s23, 0x180
	v_add_u32_e32 v17, s29, v17
	flat_load_dwordx4 v[16:19], v[16:17]
	v_add_u32_e32 v15, 0x3180, v15
	s_waitcnt vmcnt(0) lgkmcnt(0)
	ds_write2_b64 v15, v[16:17], v[18:19] offset1:1
.LBB192_63:
	s_or_b64 exec, exec, s[40:41]
	v_lshlrev_b32_e32 v15, 4, v4
	v_add_co_u32_e32 v8, vcc, v8, v15
	v_addc_co_u32_e32 v9, vcc, 0, v9, vcc
	v_mov_b32_e32 v15, s39
	v_subrev_co_u32_e32 v8, vcc, s38, v8
	v_subb_co_u32_e32 v9, vcc, v9, v15, vcc
	v_add_co_u32_e32 v8, vcc, 0x210, v8
	v_addc_co_u32_e32 v9, vcc, 0, v9, vcc
	v_cndmask_b32_e64 v7, v9, v7, s[16:17]
	v_cndmask_b32_e64 v6, v8, v6, s[16:17]
.LBB192_64:
	v_add_u32_e32 v8, 0x4700, v14
	v_add_u32_e32 v9, 0x210, v12
	s_lshl_b64 s[16:17], s[22:23], 5
	s_waitcnt lgkmcnt(0)
	s_barrier
	s_and_saveexec_b64 s[38:39], s[18:19]
	s_cbranch_execnz .LBB192_73
; %bb.65:
	s_or_b64 exec, exec, s[38:39]
	s_and_saveexec_b64 s[18:19], s[8:9]
	s_cbranch_execnz .LBB192_74
.LBB192_66:
	s_or_b64 exec, exec, s[18:19]
	s_and_saveexec_b64 s[8:9], s[10:11]
	s_cbranch_execnz .LBB192_75
.LBB192_67:
	s_or_b64 exec, exec, s[8:9]
	s_and_saveexec_b64 s[8:9], s[12:13]
	s_cbranch_execz .LBB192_69
.LBB192_68:
	ds_read_b128 v[14:17], v11
	s_waitcnt lgkmcnt(0)
	ds_write_b128 v5, v[14:17] offset:48
.LBB192_69:
	s_or_b64 exec, exec, s[8:9]
	s_waitcnt lgkmcnt(0)
	s_barrier
	ds_read_b128 v[14:17], v8 offset:512
	ds_read_b128 v[18:21], v13
	ds_read_b128 v[22:25], v8 offset:528
	ds_read_b128 v[26:29], v8 offset:544
	v_cmp_eq_u32_e64 s[10:11], 1, v10
	s_waitcnt lgkmcnt(2)
	v_mul_f64 v[30:31], v[16:17], v[20:21]
	v_fma_f64 v[34:35], v[14:15], v[18:19], -v[30:31]
	ds_read_b128 v[30:33], v8 offset:560
	ds_read_b128 v[46:49], v12
	v_mul_f64 v[14:15], v[14:15], v[20:21]
	v_fmac_f64_e32 v[14:15], v[16:17], v[18:19]
	v_add_f64 v[18:19], v[14:15], 0
	v_add_f64 v[16:17], v[34:35], 0
	s_waitcnt lgkmcnt(0)
	v_mul_f64 v[14:15], v[24:25], v[48:49]
	v_fma_f64 v[20:21], v[22:23], v[46:47], -v[14:15]
	v_mul_f64 v[22:23], v[22:23], v[48:49]
	ds_read_b128 v[12:15], v12 offset:528
	v_fmac_f64_e32 v[22:23], v[24:25], v[46:47]
	v_add_f64 v[20:21], v[16:17], v[20:21]
	v_add_f64 v[22:23], v[18:19], v[22:23]
	ds_read_b128 v[16:19], v11
	s_waitcnt lgkmcnt(1)
	v_mul_f64 v[24:25], v[28:29], v[14:15]
	v_fma_f64 v[24:25], v[26:27], v[12:13], -v[24:25]
	v_mul_f64 v[14:15], v[26:27], v[14:15]
	v_fmac_f64_e32 v[14:15], v[28:29], v[12:13]
	v_add_f64 v[12:13], v[20:21], v[24:25]
	s_waitcnt lgkmcnt(0)
	v_mul_f64 v[20:21], v[32:33], v[18:19]
	v_mul_f64 v[18:19], v[30:31], v[18:19]
	v_add_f64 v[14:15], v[22:23], v[14:15]
	v_fma_f64 v[20:21], v[30:31], v[16:17], -v[20:21]
	v_fmac_f64_e32 v[18:19], v[32:33], v[16:17]
	v_add_f64 v[12:13], v[12:13], v[20:21]
	v_add_f64 v[14:15], v[14:15], v[18:19]
	s_barrier
	ds_write_b128 v45, v[12:15]
	s_waitcnt lgkmcnt(0)
	s_barrier
	s_and_saveexec_b64 s[8:9], s[10:11]
	s_cbranch_execz .LBB192_71
; %bb.70:
	v_lshlrev_b32_e32 v9, 4, v44
	ds_read_b128 v[0:3], v9
	ds_read_b128 v[12:15], v9 offset:16
	ds_read_b128 v[16:19], v9 offset:32
	;; [unrolled: 1-line block ×3, first 2 shown]
	s_waitcnt lgkmcnt(2)
	v_add_f64 v[0:1], v[12:13], v[0:1]
	v_add_f64 v[12:13], v[14:15], v[2:3]
	s_waitcnt lgkmcnt(1)
	v_add_f64 v[14:15], v[0:1], v[16:17]
	ds_read_b128 v[0:3], v9 offset:64
	v_add_f64 v[12:13], v[12:13], v[18:19]
	s_waitcnt lgkmcnt(1)
	v_add_f64 v[16:17], v[14:15], v[20:21]
	v_add_f64 v[20:21], v[12:13], v[22:23]
	ds_read_b128 v[12:15], v9 offset:80
	s_waitcnt lgkmcnt(1)
	v_add_f64 v[22:23], v[16:17], v[0:1]
	ds_read_b128 v[16:19], v9 offset:96
	v_add_f64 v[20:21], v[20:21], v[2:3]
	ds_read_b128 v[0:3], v9 offset:112
	s_waitcnt lgkmcnt(2)
	v_add_f64 v[12:13], v[22:23], v[12:13]
	v_add_f64 v[14:15], v[20:21], v[14:15]
	s_waitcnt lgkmcnt(1)
	v_add_f64 v[12:13], v[12:13], v[16:17]
	v_add_f64 v[14:15], v[14:15], v[18:19]
	;; [unrolled: 3-line block ×3, first 2 shown]
.LBB192_71:
	s_or_b64 exec, exec, s[8:9]
	s_lshl_b64 s[8:9], s[16:17], 4
	v_mov_b32_e32 v9, s9
	v_subrev_co_u32_e64 v40, s[8:9], s8, v6
	s_and_b64 vcc, exec, s[14:15]
	v_subb_co_u32_e64 v41, s[8:9], v7, v9, s[8:9]
	s_barrier
	s_cbranch_vccnz .LBB192_76
; %bb.72:
	flat_load_dwordx4 v[12:15], v[40:41]
	v_mad_u32_u24 v9, v10, 33, v4
	s_lshl_b64 s[8:9], s[22:23], 7
	v_lshlrev_b32_e32 v20, 4, v9
	v_mov_b32_e32 v11, s9
	v_add_co_u32_e32 v6, vcc, s8, v40
	v_addc_co_u32_e32 v7, vcc, v41, v11, vcc
	v_add_u32_e32 v16, 0x1080, v20
	s_mul_i32 s12, s23, 0x180
	s_waitcnt vmcnt(0) lgkmcnt(0)
	ds_write2_b64 v20, v[12:13], v[14:15] offset1:1
	flat_load_dwordx4 v[12:15], v[6:7]
	v_add_co_u32_e32 v6, vcc, s8, v6
	v_addc_co_u32_e32 v7, vcc, v7, v11, vcc
	v_add_u32_e32 v11, 0x2100, v20
	s_waitcnt vmcnt(0) lgkmcnt(0)
	ds_write2_b64 v16, v[12:13], v[14:15] offset1:1
	flat_load_dwordx4 v[12:15], v[6:7]
	v_mov_b32_e32 v6, 0x180
	v_mad_u64_u32 v[6:7], s[8:9], s22, v6, v[40:41]
	v_add_u32_e32 v7, s12, v7
	s_waitcnt vmcnt(0) lgkmcnt(0)
	ds_write2_b64 v11, v[12:13], v[14:15] offset1:1
	flat_load_dwordx4 v[16:19], v[6:7]
	v_add_u32_e32 v11, 8, v10
	v_add_u32_e32 v12, 16, v10
	;; [unrolled: 1-line block ×7, first 2 shown]
	s_waitcnt vmcnt(0) lgkmcnt(0)
	ds_write2_b64 v15, v[16:17], v[18:19] offset1:1
	s_cbranch_execz .LBB192_77
	s_branch .LBB192_94
.LBB192_73:
	ds_read_b128 v[14:17], v13
	s_waitcnt lgkmcnt(0)
	ds_write_b128 v5, v[14:17]
	s_or_b64 exec, exec, s[38:39]
	s_and_saveexec_b64 s[18:19], s[8:9]
	s_cbranch_execz .LBB192_66
.LBB192_74:
	ds_read_b128 v[14:17], v12
	s_waitcnt lgkmcnt(0)
	ds_write_b128 v5, v[14:17] offset:16
	s_or_b64 exec, exec, s[18:19]
	s_and_saveexec_b64 s[8:9], s[10:11]
	s_cbranch_execz .LBB192_67
.LBB192_75:
	ds_read_b128 v[14:17], v9
	s_waitcnt lgkmcnt(0)
	ds_write_b128 v5, v[14:17] offset:32
	s_or_b64 exec, exec, s[8:9]
	s_and_saveexec_b64 s[8:9], s[12:13]
	s_cbranch_execnz .LBB192_68
	s_branch .LBB192_69
.LBB192_76:
                                        ; implicit-def: $vgpr9
                                        ; implicit-def: $vgpr11
                                        ; implicit-def: $vgpr7
                                        ; implicit-def: $vgpr12
                                        ; implicit-def: $vgpr6
                                        ; implicit-def: $vgpr13
                                        ; implicit-def: $vgpr14
.LBB192_77:
	v_or_b32_e32 v6, 32, v4
	v_lshlrev_b32_e32 v7, 4, v6
	v_sub_co_u32_e32 v7, vcc, v40, v7
	s_ashr_i32 s29, s28, 31
	v_subbrev_co_u32_e32 v9, vcc, 0, v41, vcc
	s_lshl_b64 s[12:13], s[28:29], 4
	v_mov_b32_e32 v11, s13
	v_add_co_u32_e32 v7, vcc, s12, v7
	v_addc_co_u32_e32 v9, vcc, v9, v11, vcc
	v_add_co_u32_e32 v11, vcc, -16, v7
	v_addc_co_u32_e32 v7, vcc, -1, v9, vcc
	v_cmp_gt_i32_e64 s[8:9], s28, v6
	v_mad_u32_u24 v9, v10, 33, v4
	v_cndmask_b32_e64 v7, v7, v41, s[8:9]
	v_cndmask_b32_e64 v6, v11, v40, s[8:9]
	v_cmp_le_i32_e32 vcc, s28, v10
	v_lshlrev_b32_e32 v15, 4, v9
	s_and_saveexec_b64 s[14:15], vcc
	s_xor_b64 s[14:15], exec, s[14:15]
	s_cbranch_execz .LBB192_79
; %bb.78:
	v_mov_b32_e32 v16, 0
	v_mov_b32_e32 v17, v16
	v_mov_b32_e32 v18, v16
	v_mov_b32_e32 v19, v16
	ds_write_b128 v15, v[16:19]
.LBB192_79:
	s_andn2_saveexec_b64 s[14:15], s[14:15]
	s_cbranch_execz .LBB192_81
; %bb.80:
	flat_load_dwordx4 v[16:19], v[6:7]
	s_waitcnt vmcnt(0) lgkmcnt(0)
	ds_write2_b64 v15, v[16:17], v[18:19] offset1:1
.LBB192_81:
	s_or_b64 exec, exec, s[14:15]
	v_add_u32_e32 v11, 8, v10
	v_cmp_le_i32_e32 vcc, s28, v11
	s_and_saveexec_b64 s[14:15], vcc
	s_xor_b64 s[14:15], exec, s[14:15]
	s_cbranch_execz .LBB192_83
; %bb.82:
	v_mul_u32_u24_e32 v12, 33, v11
	v_mov_b32_e32 v16, 0
	v_add_lshl_u32 v12, v12, v4, 4
	v_mov_b32_e32 v17, v16
	v_mov_b32_e32 v18, v16
	;; [unrolled: 1-line block ×3, first 2 shown]
	ds_write_b128 v12, v[16:19]
.LBB192_83:
	s_andn2_saveexec_b64 s[14:15], s[14:15]
	s_cbranch_execz .LBB192_85
; %bb.84:
	s_lshl_b64 s[16:17], s[22:23], 7
	v_mov_b32_e32 v13, s17
	v_add_co_u32_e32 v12, vcc, s16, v6
	v_addc_co_u32_e32 v13, vcc, v7, v13, vcc
	flat_load_dwordx4 v[16:19], v[12:13]
	v_add_u32_e32 v12, 0x1080, v15
	s_waitcnt vmcnt(0) lgkmcnt(0)
	ds_write2_b64 v12, v[16:17], v[18:19] offset1:1
.LBB192_85:
	s_or_b64 exec, exec, s[14:15]
	v_add_u32_e32 v12, 16, v10
	v_cmp_le_i32_e32 vcc, s28, v12
	s_and_saveexec_b64 s[14:15], vcc
	s_xor_b64 s[14:15], exec, s[14:15]
	s_cbranch_execz .LBB192_87
; %bb.86:
	v_mul_u32_u24_e32 v13, 33, v12
	v_mov_b32_e32 v16, 0
	v_add_lshl_u32 v13, v13, v4, 4
	v_mov_b32_e32 v17, v16
	v_mov_b32_e32 v18, v16
	;; [unrolled: 1-line block ×3, first 2 shown]
	ds_write_b128 v13, v[16:19]
.LBB192_87:
	s_andn2_saveexec_b64 s[14:15], s[14:15]
	s_cbranch_execz .LBB192_89
; %bb.88:
	s_lshl_b64 s[16:17], s[22:23], 8
	v_mov_b32_e32 v13, s17
	v_add_co_u32_e32 v16, vcc, s16, v6
	v_addc_co_u32_e32 v17, vcc, v7, v13, vcc
	flat_load_dwordx4 v[16:19], v[16:17]
	v_add_u32_e32 v13, 0x2100, v15
	s_waitcnt vmcnt(0) lgkmcnt(0)
	ds_write2_b64 v13, v[16:17], v[18:19] offset1:1
.LBB192_89:
	s_or_b64 exec, exec, s[14:15]
	v_add_u32_e32 v13, 24, v10
	v_cmp_le_i32_e32 vcc, s28, v13
                                        ; implicit-def: $vgpr14
	s_and_saveexec_b64 s[14:15], vcc
	s_xor_b64 s[14:15], exec, s[14:15]
	s_cbranch_execz .LBB192_91
; %bb.90:
	v_mov_b32_e32 v16, 0
	v_add_u32_e32 v14, 0x318, v9
	v_mov_b32_e32 v17, v16
	v_mov_b32_e32 v18, v16
	;; [unrolled: 1-line block ×3, first 2 shown]
	ds_write_b128 v15, v[16:19] offset:12672
                                        ; implicit-def: $vgpr15
.LBB192_91:
	s_andn2_saveexec_b64 s[14:15], s[14:15]
	s_cbranch_execz .LBB192_93
; %bb.92:
	v_mov_b32_e32 v14, 0x180
	v_mad_u64_u32 v[16:17], s[16:17], s22, v14, v[6:7]
	s_mul_i32 s16, s23, 0x180
	v_add_u32_e32 v17, s16, v17
	flat_load_dwordx4 v[16:19], v[16:17]
	v_add_u32_e32 v14, 0x318, v9
	v_add_u32_e32 v15, 0x3180, v15
	s_waitcnt vmcnt(0) lgkmcnt(0)
	ds_write2_b64 v15, v[16:17], v[18:19] offset1:1
.LBB192_93:
	s_or_b64 exec, exec, s[14:15]
	v_lshlrev_b32_e32 v4, 4, v4
	v_add_co_u32_e32 v4, vcc, v6, v4
	v_addc_co_u32_e32 v6, vcc, 0, v7, vcc
	v_mov_b32_e32 v7, s13
	v_subrev_co_u32_e32 v4, vcc, s12, v4
	v_subb_co_u32_e32 v6, vcc, v6, v7, vcc
	v_add_co_u32_e32 v4, vcc, 0x210, v4
	v_addc_co_u32_e32 v6, vcc, 0, v6, vcc
	v_cndmask_b32_e64 v41, v6, v41, s[8:9]
	v_cndmask_b32_e64 v40, v4, v40, s[8:9]
	v_add_u32_e32 v7, 0x108, v9
	v_add_u32_e32 v6, 0x210, v9
.LBB192_94:
	v_lshlrev_b32_e32 v4, 4, v9
	v_lshlrev_b32_e32 v9, 4, v10
	s_waitcnt lgkmcnt(0)
	s_barrier
	ds_read_b128 v[46:49], v9 offset:18176
	ds_read_b128 v[50:53], v4
	v_lshlrev_b32_e32 v4, 4, v7
	v_lshlrev_b32_e32 v7, 4, v11
	ds_read_b128 v[54:57], v7 offset:18176
	ds_read_b128 v[58:61], v4
	v_lshlrev_b32_e32 v4, 4, v6
	v_lshlrev_b32_e32 v6, 4, v12
	ds_read_b128 v[62:65], v6 offset:18176
	ds_read_b128 v[66:69], v4
	v_lshlrev_b32_e32 v6, 4, v13
	s_waitcnt lgkmcnt(4)
	v_mul_f64 v[10:11], v[48:49], v[52:53]
	v_lshlrev_b32_e32 v4, 4, v14
	ds_read_b128 v[70:73], v6 offset:18176
	ds_read_b128 v[74:77], v4
	v_fma_f64 v[10:11], v[46:47], v[50:51], -v[10:11]
	s_waitcnt lgkmcnt(4)
	v_mul_f64 v[16:17], v[56:57], v[60:61]
	v_add_f64 v[10:11], v[10:11], 0
	v_fma_f64 v[16:17], v[54:55], v[58:59], -v[16:17]
	v_add_f64 v[6:7], v[10:11], v[16:17]
	s_waitcnt lgkmcnt(2)
	v_mul_f64 v[10:11], v[64:65], v[68:69]
	v_fma_f64 v[10:11], v[62:63], v[66:67], -v[10:11]
	v_add_f64 v[6:7], v[6:7], v[10:11]
	s_waitcnt lgkmcnt(0)
	v_mul_f64 v[10:11], v[72:73], v[76:77]
	v_fma_f64 v[10:11], v[70:71], v[74:75], -v[10:11]
	v_add_f64 v[78:79], v[6:7], v[10:11]
	ds_read_b128 v[28:31], v5
	ds_read_b128 v[20:23], v5 offset:16
	ds_read_b128 v[12:15], v5 offset:32
	;; [unrolled: 1-line block ×7, first 2 shown]
	v_mul_f64 v[46:47], v[46:47], v[52:53]
	v_fmac_f64_e32 v[46:47], v[48:49], v[50:51]
	v_mul_f64 v[48:49], v[54:55], v[60:61]
	v_add_f64 v[46:47], v[46:47], 0
	v_fmac_f64_e32 v[48:49], v[56:57], v[58:59]
	v_add_f64 v[46:47], v[46:47], v[48:49]
	v_mul_f64 v[48:49], v[62:63], v[68:69]
	v_fmac_f64_e32 v[48:49], v[64:65], v[66:67]
	v_add_f64 v[46:47], v[46:47], v[48:49]
	v_mul_f64 v[48:49], v[70:71], v[76:77]
	v_fmac_f64_e32 v[48:49], v[72:73], v[74:75]
	v_add_f64 v[80:81], v[46:47], v[48:49]
	s_waitcnt lgkmcnt(0)
	s_barrier
	ds_write_b128 v45, v[78:81]
	s_waitcnt lgkmcnt(0)
	s_barrier
	s_and_saveexec_b64 s[8:9], s[10:11]
	s_cbranch_execz .LBB192_96
; %bb.95:
	v_lshlrev_b32_e32 v62, 4, v44
	ds_read_b128 v[46:49], v62
	ds_read_b128 v[50:53], v62 offset:16
	ds_read_b128 v[54:57], v62 offset:32
	;; [unrolled: 1-line block ×3, first 2 shown]
	s_waitcnt lgkmcnt(3)
	v_add_f64 v[0:1], v[0:1], v[46:47]
	v_add_f64 v[2:3], v[2:3], v[48:49]
	s_waitcnt lgkmcnt(2)
	v_add_f64 v[0:1], v[0:1], v[50:51]
	v_add_f64 v[46:47], v[2:3], v[52:53]
	s_waitcnt lgkmcnt(1)
	v_add_f64 v[48:49], v[0:1], v[54:55]
	ds_read_b128 v[0:3], v62 offset:64
	v_add_f64 v[46:47], v[46:47], v[56:57]
	s_waitcnt lgkmcnt(1)
	v_add_f64 v[50:51], v[48:49], v[58:59]
	v_add_f64 v[54:55], v[46:47], v[60:61]
	ds_read_b128 v[46:49], v62 offset:80
	s_waitcnt lgkmcnt(1)
	v_add_f64 v[56:57], v[50:51], v[0:1]
	ds_read_b128 v[50:53], v62 offset:96
	v_add_f64 v[54:55], v[54:55], v[2:3]
	ds_read_b128 v[0:3], v62 offset:112
	s_waitcnt lgkmcnt(2)
	v_add_f64 v[46:47], v[56:57], v[46:47]
	v_add_f64 v[48:49], v[54:55], v[48:49]
	s_waitcnt lgkmcnt(1)
	v_add_f64 v[46:47], v[46:47], v[50:51]
	v_add_f64 v[48:49], v[48:49], v[52:53]
	;; [unrolled: 3-line block ×3, first 2 shown]
.LBB192_96:
	s_or_b64 exec, exec, s[8:9]
	v_mul_f64 v[46:47], v[30:31], v[34:35]
	v_fma_f64 v[46:47], v[28:29], v[32:33], -v[46:47]
	v_mul_f64 v[28:29], v[28:29], v[34:35]
	v_fmac_f64_e32 v[28:29], v[30:31], v[32:33]
	v_mul_f64 v[32:33], v[22:23], v[26:27]
	v_fma_f64 v[32:33], v[20:21], v[24:25], -v[32:33]
	v_mul_f64 v[20:21], v[20:21], v[26:27]
	v_fmac_f64_e32 v[20:21], v[22:23], v[24:25]
	v_mul_f64 v[24:25], v[14:15], v[18:19]
	v_add_f64 v[30:31], v[46:47], 0
	v_add_f64 v[28:29], v[28:29], 0
	v_fma_f64 v[24:25], v[12:13], v[16:17], -v[24:25]
	v_mul_f64 v[12:13], v[12:13], v[18:19]
	v_add_f64 v[22:23], v[30:31], v[32:33]
	v_add_f64 v[20:21], v[28:29], v[20:21]
	v_fmac_f64_e32 v[12:13], v[14:15], v[16:17]
	v_mul_f64 v[16:17], v[6:7], v[10:11]
	v_mul_f64 v[10:11], v[4:5], v[10:11]
	v_add_f64 v[14:15], v[22:23], v[24:25]
	v_add_f64 v[12:13], v[20:21], v[12:13]
	v_fma_f64 v[16:17], v[4:5], v[8:9], -v[16:17]
	v_fmac_f64_e32 v[10:11], v[6:7], v[8:9]
	v_add_f64 v[4:5], v[14:15], v[16:17]
	v_add_f64 v[6:7], v[12:13], v[10:11]
	s_barrier
	ds_write_b128 v45, v[4:7]
	s_waitcnt lgkmcnt(0)
	s_barrier
	s_and_saveexec_b64 s[8:9], s[4:5]
	s_cbranch_execz .LBB192_98
; %bb.97:
	v_lshlrev_b32_e32 v20, 4, v44
	ds_read_b128 v[4:7], v20
	ds_read_b128 v[8:11], v20 offset:16
	ds_read_b128 v[12:15], v20 offset:32
	;; [unrolled: 1-line block ×3, first 2 shown]
	s_waitcnt lgkmcnt(3)
	v_add_f64 v[0:1], v[0:1], v[4:5]
	v_add_f64 v[2:3], v[2:3], v[6:7]
	s_waitcnt lgkmcnt(2)
	v_add_f64 v[0:1], v[0:1], v[8:9]
	v_add_f64 v[4:5], v[2:3], v[10:11]
	s_waitcnt lgkmcnt(1)
	v_add_f64 v[6:7], v[0:1], v[12:13]
	ds_read_b128 v[0:3], v20 offset:64
	v_add_f64 v[4:5], v[4:5], v[14:15]
	s_waitcnt lgkmcnt(1)
	v_add_f64 v[8:9], v[6:7], v[16:17]
	v_add_f64 v[12:13], v[4:5], v[18:19]
	ds_read_b128 v[4:7], v20 offset:80
	s_waitcnt lgkmcnt(1)
	v_add_f64 v[14:15], v[8:9], v[0:1]
	ds_read_b128 v[8:11], v20 offset:96
	v_add_f64 v[12:13], v[12:13], v[2:3]
	ds_read_b128 v[0:3], v20 offset:112
	s_waitcnt lgkmcnt(2)
	v_add_f64 v[4:5], v[14:15], v[4:5]
	v_add_f64 v[6:7], v[12:13], v[6:7]
	s_waitcnt lgkmcnt(1)
	v_add_f64 v[4:5], v[4:5], v[8:9]
	v_add_f64 v[6:7], v[6:7], v[10:11]
	;; [unrolled: 3-line block ×3, first 2 shown]
.LBB192_98:
	s_or_b64 exec, exec, s[8:9]
	s_mul_hi_u32 s4, s7, s24
	s_mul_i32 s33, s33, s24
	s_add_i32 s4, s4, s33
	s_mul_i32 s8, s7, s24
	s_mul_i32 s4, s4, s25
	s_mul_hi_u32 s5, s8, s25
	s_add_i32 s5, s5, s4
	s_mul_i32 s4, s8, s25
	s_lshl_b64 s[4:5], s[4:5], 4
	s_add_u32 s8, s26, s4
	s_mul_i32 s4, s6, s7
	s_addc_u32 s9, s27, s5
	s_ashr_i32 s5, s4, 31
	s_lshl_b64 s[4:5], s[4:5], 4
	s_add_u32 s7, s8, s4
	v_cmp_le_i32_e32 vcc, s28, v42
	s_addc_u32 s14, s9, s5
	s_and_b64 vcc, s[36:37], vcc
	s_cmp_lt_i32 s6, 1
	v_lshlrev_b32_e32 v155, 4, v42
	s_barrier
	s_cbranch_scc1 .LBB192_105
; %bb.99:
	s_mul_i32 s4, s30, s21
	s_mul_hi_u32 s5, s30, s20
	s_add_i32 s4, s5, s4
	s_mul_i32 s5, s31, s20
	s_add_i32 s5, s4, s5
	s_mul_i32 s4, s30, s20
	s_lshl_b64 s[4:5], s[4:5], 4
	v_mov_b32_e32 v4, s5
	v_subrev_co_u32_e64 v156, s[4:5], s4, v36
	v_subb_co_u32_e64 v157, s[4:5], v37, v4, s[4:5]
	v_mov_b32_e32 v4, s35
	v_subrev_co_u32_e64 v5, s[4:5], s34, v40
	v_subb_co_u32_e64 v4, s[4:5], v41, v4, s[4:5]
	v_lshlrev_b32_e32 v7, 2, v154
	v_sub_co_u32_e64 v8, s[4:5], v5, v38
	v_subb_co_u32_e64 v9, s[4:5], v4, v39, s[4:5]
	v_mad_u64_u32 v[4:5], s[4:5], v7, s22, 0
	v_mov_b32_e32 v6, v5
	v_mad_u64_u32 v[6:7], s[4:5], v7, s23, v[6:7]
	v_mov_b32_e32 v5, v6
	v_lshlrev_b64 v[4:5], 4, v[4:5]
	v_add_co_u32_e64 v4, s[4:5], v8, v4
	v_addc_co_u32_e64 v5, s[4:5], v9, v5, s[4:5]
	s_movk_i32 s4, 0xfe00
	v_add_co_u32_e64 v4, s[4:5], s4, v4
	v_addc_co_u32_e64 v5, s[4:5], -1, v5, s[4:5]
	s_ashr_i32 s29, s28, 31
	s_lshl_b64 s[4:5], s[28:29], 4
	v_mov_b32_e32 v6, s5
	v_add_co_u32_e64 v7, s[4:5], s4, v4
	v_addc_co_u32_e64 v6, s[4:5], v5, v6, s[4:5]
	v_add_co_u32_e64 v7, s[4:5], -16, v7
	v_addc_co_u32_e64 v6, s[4:5], -1, v6, s[4:5]
	v_add_co_u32_e64 v4, s[4:5], v4, v155
	v_addc_co_u32_e64 v5, s[4:5], 0, v5, s[4:5]
	v_cndmask_b32_e32 v8, v4, v7, vcc
	v_and_b32_e32 v4, 48, v42
	v_and_b32_e32 v10, 15, v42
	v_cndmask_b32_e32 v9, v5, v6, vcc
	v_lshlrev_b32_e32 v5, 4, v4
	s_movk_i32 s8, 0x430
	v_mad_u32_u24 v160, v10, s8, v5
	v_or_b32_e32 v5, 0xf0, v155
	v_mad_u32_u24 v161, v10, s8, v5
	v_lshlrev_b32_e32 v5, 2, v43
	v_and_b32_e32 v5, 0x7ffc0, v5
	v_mad_u32_u24 v162, v10, s8, v5
	v_mov_b32_e32 v5, 0x4300
	v_lshl_add_u32 v163, v154, 6, v5
	s_movk_i32 s9, 0x10c0
	v_and_b32_e32 v5, 0x1fff0, v43
	v_mad_u32_u24 v164, v154, s9, v155
	v_mad_u32_u24 v165, v10, s8, v5
	s_mul_i32 s8, s23, 0xd0
	s_mul_hi_u32 s9, s22, 0xd0
	s_lshl_b64 s[10:11], s[22:23], 4
	s_add_i32 s15, s9, s8
	v_mov_b32_e32 v151, 0
	v_add_u32_e32 v158, 0x4300, v155
	v_add_u32_e32 v159, 0x4700, v155
	v_cmp_gt_u32_e64 s[4:5], 64, v43
	s_mul_i32 s16, s22, 0xd0
	v_or_b32_e32 v166, v4, v10
	s_mov_b32 s17, 0
	v_mov_b32_e32 v167, s11
	v_mov_b32_e32 v168, s15
	s_branch .LBB192_101
.LBB192_100:                            ;   in Loop: Header=BB192_101 Depth=1
	s_or_b64 exec, exec, s[12:13]
	v_mul_f64 v[132:133], v[6:7], v[22:23]
	v_fma_f64 v[132:133], v[4:5], v[20:21], -v[132:133]
	v_mul_f64 v[4:5], v[4:5], v[22:23]
	v_mul_f64 v[22:23], v[10:11], v[42:43]
	v_add_f64 v[0:1], v[0:1], v[132:133]
	v_fma_f64 v[22:23], v[8:9], v[40:41], -v[22:23]
	v_add_f64 v[0:1], v[0:1], v[22:23]
	v_mul_f64 v[22:23], v[14:15], v[46:47]
	v_fma_f64 v[22:23], v[12:13], v[44:45], -v[22:23]
	v_add_f64 v[0:1], v[0:1], v[22:23]
	v_mul_f64 v[22:23], v[18:19], v[50:51]
	v_fmac_f64_e32 v[4:5], v[6:7], v[20:21]
	v_fma_f64 v[22:23], v[16:17], v[48:49], -v[22:23]
	v_add_f64 v[2:3], v[2:3], v[4:5]
	v_mul_f64 v[4:5], v[26:27], v[70:71]
	v_add_f64 v[0:1], v[0:1], v[22:23]
	v_fma_f64 v[4:5], v[24:25], v[68:69], -v[4:5]
	v_add_f64 v[0:1], v[0:1], v[4:5]
	v_mul_f64 v[4:5], v[34:35], v[82:83]
	v_fma_f64 v[4:5], v[32:33], v[80:81], -v[4:5]
	v_add_f64 v[0:1], v[0:1], v[4:5]
	v_mul_f64 v[4:5], v[30:31], v[78:79]
	;; [unrolled: 3-line block ×4, first 2 shown]
	v_mul_f64 v[8:9], v[8:9], v[42:43]
	v_fma_f64 v[4:5], v[52:53], v[100:101], -v[4:5]
	v_mul_f64 v[12:13], v[12:13], v[46:47]
	v_fmac_f64_e32 v[8:9], v[10:11], v[40:41]
	v_add_f64 v[0:1], v[0:1], v[4:5]
	v_mul_f64 v[4:5], v[62:63], v[118:119]
	v_mul_f64 v[16:17], v[16:17], v[50:51]
	v_add_f64 v[2:3], v[2:3], v[8:9]
	v_fmac_f64_e32 v[12:13], v[14:15], v[44:45]
	v_fma_f64 v[4:5], v[60:61], v[116:117], -v[4:5]
	v_add_f64 v[2:3], v[2:3], v[12:13]
	v_fmac_f64_e32 v[16:17], v[18:19], v[48:49]
	v_mul_f64 v[6:7], v[24:25], v[70:71]
	v_add_f64 v[0:1], v[0:1], v[4:5]
	v_mul_f64 v[4:5], v[58:59], v[114:115]
	v_add_f64 v[2:3], v[2:3], v[16:17]
	v_mul_f64 v[8:9], v[32:33], v[82:83]
	v_fmac_f64_e32 v[6:7], v[26:27], v[68:69]
	v_fma_f64 v[4:5], v[56:57], v[112:113], -v[4:5]
	v_mul_f64 v[10:11], v[28:29], v[78:79]
	v_add_f64 v[2:3], v[2:3], v[6:7]
	v_fmac_f64_e32 v[8:9], v[34:35], v[80:81]
	v_add_f64 v[0:1], v[0:1], v[4:5]
	v_mul_f64 v[4:5], v[66:67], v[110:111]
	v_mul_f64 v[12:13], v[36:37], v[74:75]
	v_add_f64 v[2:3], v[2:3], v[8:9]
	v_fmac_f64_e32 v[10:11], v[30:31], v[76:77]
	v_fma_f64 v[4:5], v[64:65], v[108:109], -v[4:5]
	v_add_f64 v[2:3], v[2:3], v[10:11]
	v_fmac_f64_e32 v[12:13], v[38:39], v[72:73]
	v_mul_f64 v[6:7], v[52:53], v[102:103]
	v_add_f64 v[0:1], v[0:1], v[4:5]
	v_mul_f64 v[4:5], v[90:91], v[106:107]
	v_add_f64 v[2:3], v[2:3], v[12:13]
	v_mul_f64 v[8:9], v[60:61], v[118:119]
	v_fmac_f64_e32 v[6:7], v[54:55], v[100:101]
	v_fma_f64 v[4:5], v[88:89], v[104:105], -v[4:5]
	v_mul_f64 v[10:11], v[56:57], v[114:115]
	v_add_f64 v[2:3], v[2:3], v[6:7]
	v_fmac_f64_e32 v[8:9], v[62:63], v[116:117]
	v_add_f64 v[0:1], v[0:1], v[4:5]
	v_mul_f64 v[4:5], v[94:95], v[122:123]
	v_mul_f64 v[12:13], v[64:65], v[110:111]
	v_add_f64 v[2:3], v[2:3], v[8:9]
	v_fmac_f64_e32 v[10:11], v[58:59], v[112:113]
	v_fma_f64 v[4:5], v[92:93], v[120:121], -v[4:5]
	v_add_f64 v[2:3], v[2:3], v[10:11]
	v_fmac_f64_e32 v[12:13], v[66:67], v[108:109]
	v_mul_f64 v[6:7], v[88:89], v[106:107]
	v_add_f64 v[0:1], v[0:1], v[4:5]
	v_mul_f64 v[4:5], v[86:87], v[126:127]
	v_add_f64 v[2:3], v[2:3], v[12:13]
	v_mul_f64 v[8:9], v[92:93], v[122:123]
	v_fma_f64 v[4:5], v[84:85], v[124:125], -v[4:5]
	v_fmac_f64_e32 v[6:7], v[90:91], v[104:105]
	v_mul_f64 v[10:11], v[84:85], v[126:127]
	v_add_f64 v[0:1], v[0:1], v[4:5]
	v_mul_f64 v[4:5], v[98:99], v[130:131]
	v_fmac_f64_e32 v[8:9], v[94:95], v[120:121]
	v_add_f64 v[2:3], v[2:3], v[6:7]
	v_fma_f64 v[4:5], v[96:97], v[128:129], -v[4:5]
	v_mul_f64 v[12:13], v[96:97], v[130:131]
	v_fmac_f64_e32 v[10:11], v[86:87], v[124:125]
	v_add_f64 v[2:3], v[2:3], v[8:9]
	v_add_f64 v[0:1], v[0:1], v[4:5]
	v_fmac_f64_e32 v[12:13], v[98:99], v[128:129]
	v_add_f64 v[2:3], v[2:3], v[10:11]
	s_add_i32 s17, s17, 64
	s_add_i32 s6, s6, -1
	v_mov_b32_e32 v4, s15
	v_add_co_u32_e64 v8, s[8:9], s16, v152
	v_add_f64 v[2:3], v[2:3], v[12:13]
	s_cmp_eq_u32 s6, 0
	v_addc_co_u32_e64 v9, s[8:9], v153, v4, s[8:9]
	s_barrier
	s_cbranch_scc1 .LBB192_105
.LBB192_101:                            ; =>This Inner Loop Header: Depth=1
	s_and_saveexec_b64 s[12:13], s[2:3]
	s_cbranch_execz .LBB192_103
; %bb.102:                              ;   in Loop: Header=BB192_101 Depth=1
	s_mul_i32 s8, s17, s21
	s_mul_hi_u32 s9, s17, s20
	s_add_i32 s9, s9, s8
	s_mul_i32 s8, s17, s20
	s_lshl_b64 s[8:9], s[8:9], 4
	v_mov_b32_e32 v5, s9
	v_add_co_u32_e64 v4, s[8:9], s8, v156
	v_addc_co_u32_e64 v5, s[8:9], v157, v5, s[8:9]
	flat_load_dwordx4 v[4:7], v[4:5]
	s_waitcnt vmcnt(0) lgkmcnt(0)
	ds_write2_b64 v158, v[4:5], v[6:7] offset1:1
.LBB192_103:                            ;   in Loop: Header=BB192_101 Depth=1
	s_or_b64 exec, exec, s[12:13]
	v_add_co_u32_e64 v12, s[8:9], s10, v8
	v_addc_co_u32_e64 v13, s[8:9], v9, v167, s[8:9]
	v_add_co_u32_e64 v16, s[8:9], s10, v12
	s_waitcnt lgkmcnt(0)
	s_barrier
	flat_load_dwordx4 v[4:7], v[8:9]
	v_addc_co_u32_e64 v17, s[8:9], v13, v167, s[8:9]
	flat_load_dwordx4 v[8:11], v[12:13]
	v_add_co_u32_e64 v28, s[8:9], s10, v16
	flat_load_dwordx4 v[12:15], v[16:17]
	v_addc_co_u32_e64 v29, s[8:9], v17, v167, s[8:9]
	flat_load_dwordx4 v[16:19], v[28:29]
	ds_read_b128 v[24:27], v159
	ds_read_b128 v[20:23], v163
	v_add_co_u32_e64 v36, s[8:9], s16, v28
	v_addc_co_u32_e64 v37, s[8:9], v29, v168, s[8:9]
	v_add_co_u32_e64 v38, s[8:9], s10, v36
	v_addc_co_u32_e64 v39, s[8:9], v37, v167, s[8:9]
	;; [unrolled: 2-line block ×3, first 2 shown]
	s_waitcnt vmcnt(0) lgkmcnt(0)
	v_mul_f64 v[28:29], v[6:7], v[26:27]
	v_mul_f64 v[30:31], v[4:5], v[26:27]
	v_fma_f64 v[28:29], v[4:5], v[24:25], -v[28:29]
	v_fmac_f64_e32 v[30:31], v[6:7], v[24:25]
	v_mul_f64 v[34:35], v[10:11], v[26:27]
	v_mul_f64 v[32:33], v[8:9], v[26:27]
	ds_write_b128 v164, v[28:31]
	v_fma_f64 v[30:31], v[8:9], v[24:25], -v[34:35]
	v_fmac_f64_e32 v[32:33], v[10:11], v[24:25]
	v_mul_f64 v[28:29], v[14:15], v[26:27]
	v_mul_f64 v[34:35], v[12:13], v[26:27]
	ds_read_b128 v[40:43], v163 offset:16
	ds_write_b128 v164, v[30:33] offset:1072
	v_fma_f64 v[32:33], v[12:13], v[24:25], -v[28:29]
	v_fmac_f64_e32 v[34:35], v[14:15], v[24:25]
	v_mul_f64 v[30:31], v[18:19], v[26:27]
	v_mul_f64 v[28:29], v[16:17], v[26:27]
	ds_read_b128 v[44:47], v163 offset:32
	ds_write_b128 v164, v[32:35] offset:2144
	v_fma_f64 v[26:27], v[16:17], v[24:25], -v[30:31]
	v_fmac_f64_e32 v[28:29], v[18:19], v[24:25]
	ds_read_b128 v[48:51], v163 offset:48
	ds_write_b128 v164, v[26:29] offset:3216
	s_waitcnt lgkmcnt(0)
	s_barrier
	ds_read_b128 v[128:131], v162
	ds_read_b128 v[124:127], v162 offset:16
	ds_read_b128 v[120:123], v162 offset:32
	ds_read_b128 v[104:107], v162 offset:48
	s_waitcnt lgkmcnt(0)
	s_barrier
	flat_load_dwordx4 v[24:27], v[36:37]
	flat_load_dwordx4 v[32:35], v[38:39]
	;; [unrolled: 1-line block ×3, first 2 shown]
	v_add_co_u32_e64 v52, s[8:9], s10, v52
	v_addc_co_u32_e64 v53, s[8:9], v53, v167, s[8:9]
	flat_load_dwordx4 v[36:39], v[52:53]
	v_add_co_u32_e64 v66, s[8:9], s16, v52
	v_addc_co_u32_e64 v67, s[8:9], v53, v168, s[8:9]
	ds_read_b128 v[52:55], v159
	ds_read_b128 v[68:71], v163 offset:256
	v_add_co_u32_e64 v88, s[8:9], s10, v66
	v_addc_co_u32_e64 v89, s[8:9], v67, v167, s[8:9]
	v_add_co_u32_e64 v90, s[8:9], s10, v88
	v_addc_co_u32_e64 v91, s[8:9], v89, v167, s[8:9]
	v_add_f64 v[128:129], v[128:129], 0
	v_add_f64 v[130:131], v[130:131], 0
	;; [unrolled: 1-line block ×7, first 2 shown]
	s_waitcnt vmcnt(0) lgkmcnt(0)
	v_mul_f64 v[58:59], v[26:27], v[54:55]
	v_mul_f64 v[56:57], v[24:25], v[54:55]
	;; [unrolled: 1-line block ×6, first 2 shown]
	v_fmac_f64_e32 v[56:57], v[26:27], v[52:53]
	v_mul_f64 v[74:75], v[38:39], v[54:55]
	v_mul_f64 v[86:87], v[36:37], v[54:55]
	v_fma_f64 v[54:55], v[24:25], v[52:53], -v[58:59]
	v_fma_f64 v[58:59], v[32:33], v[52:53], -v[62:63]
	v_fmac_f64_e32 v[60:61], v[34:35], v[52:53]
	ds_write_b128 v164, v[54:57]
	v_fma_f64 v[62:63], v[28:29], v[52:53], -v[72:73]
	v_fmac_f64_e32 v[64:65], v[30:31], v[52:53]
	ds_read_b128 v[80:83], v163 offset:272
	ds_write_b128 v164, v[58:61] offset:1072
	v_fma_f64 v[84:85], v[36:37], v[52:53], -v[74:75]
	v_fmac_f64_e32 v[86:87], v[38:39], v[52:53]
	ds_read_b128 v[76:79], v163 offset:288
	ds_write_b128 v164, v[62:65] offset:2144
	ds_read_b128 v[72:75], v163 offset:304
	ds_write_b128 v164, v[84:87] offset:3216
	v_add_co_u32_e64 v84, s[8:9], s10, v90
	v_addc_co_u32_e64 v85, s[8:9], v91, v167, s[8:9]
	s_waitcnt lgkmcnt(0)
	s_barrier
	ds_read_b128 v[144:147], v162
	ds_read_b128 v[140:143], v162 offset:16
	ds_read_b128 v[136:139], v162 offset:32
	;; [unrolled: 1-line block ×3, first 2 shown]
	s_waitcnt lgkmcnt(0)
	s_barrier
	flat_load_dwordx4 v[52:55], v[66:67]
	flat_load_dwordx4 v[60:63], v[88:89]
	;; [unrolled: 1-line block ×3, first 2 shown]
	v_add_co_u32_e64 v98, s[8:9], s16, v84
	flat_load_dwordx4 v[64:67], v[84:85]
	v_addc_co_u32_e64 v99, s[8:9], v85, v168, s[8:9]
	ds_read_b128 v[84:87], v159
	ds_read_b128 v[100:103], v163 offset:512
	v_add_co_u32_e64 v152, s[8:9], s10, v98
	v_addc_co_u32_e64 v153, s[8:9], v99, v167, s[8:9]
	v_add_co_u32_e64 v186, s[8:9], s10, v152
	v_addc_co_u32_e64 v187, s[8:9], v153, v167, s[8:9]
	v_add_f64 v[106:107], v[146:147], 0
	v_add_f64 v[106:107], v[106:107], v[142:143]
	;; [unrolled: 1-line block ×4, first 2 shown]
	s_waitcnt vmcnt(0) lgkmcnt(0)
	v_mul_f64 v[90:91], v[54:55], v[86:87]
	v_mul_f64 v[88:89], v[52:53], v[86:87]
	;; [unrolled: 1-line block ×8, first 2 shown]
	v_fma_f64 v[86:87], v[52:53], v[84:85], -v[90:91]
	v_fmac_f64_e32 v[88:89], v[54:55], v[84:85]
	v_fma_f64 v[90:91], v[60:61], v[84:85], -v[94:95]
	v_fmac_f64_e32 v[92:93], v[62:63], v[84:85]
	ds_write_b128 v164, v[86:89]
	v_fma_f64 v[94:95], v[56:57], v[84:85], -v[108:109]
	v_fmac_f64_e32 v[96:97], v[58:59], v[84:85]
	ds_read_b128 v[116:119], v163 offset:528
	ds_write_b128 v164, v[90:93] offset:1072
	v_fma_f64 v[170:171], v[64:65], v[84:85], -v[110:111]
	v_fmac_f64_e32 v[172:173], v[66:67], v[84:85]
	ds_read_b128 v[112:115], v163 offset:544
	ds_write_b128 v164, v[94:97] offset:2144
	ds_read_b128 v[108:111], v163 offset:560
	ds_write_b128 v164, v[170:173] offset:3216
	s_waitcnt lgkmcnt(0)
	s_barrier
	ds_read_b128 v[170:173], v162
	ds_read_b128 v[174:177], v162 offset:16
	ds_read_b128 v[178:181], v162 offset:32
	;; [unrolled: 1-line block ×3, first 2 shown]
	s_waitcnt lgkmcnt(0)
	s_barrier
	flat_load_dwordx4 v[88:91], v[98:99]
	flat_load_dwordx4 v[92:95], v[152:153]
	;; [unrolled: 1-line block ×3, first 2 shown]
	v_add_co_u32_e64 v152, s[8:9], s10, v186
	v_addc_co_u32_e64 v153, s[8:9], v187, v167, s[8:9]
	flat_load_dwordx4 v[96:99], v[152:153]
	v_add_f64 v[186:187], v[120:121], v[104:105]
	v_add_f64 v[104:105], v[144:145], 0
	;; [unrolled: 1-line block ×5, first 2 shown]
	ds_read_b128 v[120:123], v159
	ds_read_b128 v[104:107], v163 offset:768
	v_add_f64 v[124:125], v[170:171], 0
	v_add_f64 v[126:127], v[172:173], 0
	;; [unrolled: 1-line block ×8, first 2 shown]
	s_waitcnt vmcnt(0) lgkmcnt(0)
	v_mul_f64 v[126:127], v[90:91], v[122:123]
	v_mul_f64 v[124:125], v[88:89], v[122:123]
	;; [unrolled: 1-line block ×6, first 2 shown]
	v_fmac_f64_e32 v[124:125], v[90:91], v[120:121]
	v_mul_f64 v[144:145], v[98:99], v[122:123]
	v_mul_f64 v[146:147], v[96:97], v[122:123]
	v_fma_f64 v[122:123], v[88:89], v[120:121], -v[126:127]
	v_fma_f64 v[126:127], v[92:93], v[120:121], -v[130:131]
	v_fmac_f64_e32 v[128:129], v[94:95], v[120:121]
	ds_write_b128 v164, v[122:125]
	v_fma_f64 v[140:141], v[84:85], v[120:121], -v[140:141]
	v_fma_f64 v[144:145], v[96:97], v[120:121], -v[144:145]
	v_fmac_f64_e32 v[142:143], v[86:87], v[120:121]
	v_fmac_f64_e32 v[146:147], v[98:99], v[120:121]
	ds_read_b128 v[120:123], v163 offset:784
	ds_write_b128 v164, v[126:129] offset:1072
	ds_read_b128 v[124:127], v163 offset:800
	ds_write_b128 v164, v[140:143] offset:2144
	;; [unrolled: 2-line block ×3, first 2 shown]
	s_waitcnt lgkmcnt(0)
	s_barrier
	ds_read_b128 v[140:143], v162
	ds_read_b128 v[144:147], v162 offset:16
	ds_read_b128 v[170:173], v162 offset:32
	;; [unrolled: 1-line block ×3, first 2 shown]
	s_waitcnt lgkmcnt(0)
	s_barrier
	ds_write_b128 v165, v[186:189]
	ds_write_b128 v165, v[132:135] offset:256
	ds_write_b128 v165, v[136:139] offset:512
	v_add_f64 v[132:133], v[140:141], 0
	v_add_f64 v[134:135], v[142:143], 0
	;; [unrolled: 1-line block ×8, first 2 shown]
	ds_write_b128 v165, v[132:135] offset:768
	s_waitcnt lgkmcnt(0)
	s_barrier
	s_and_saveexec_b64 s[12:13], s[4:5]
	s_cbranch_execz .LBB192_100
; %bb.104:                              ;   in Loop: Header=BB192_101 Depth=1
	ds_read_b128 v[132:135], v160
	ds_read_b128 v[136:139], v160 offset:16
	ds_read_b128 v[140:143], v160 offset:32
	;; [unrolled: 1-line block ×3, first 2 shown]
	v_add_u32_e32 v150, s17, v166
	s_waitcnt lgkmcnt(2)
	v_add_f64 v[132:133], v[136:137], v[132:133]
	v_add_f64 v[136:137], v[138:139], v[134:135]
	s_waitcnt lgkmcnt(1)
	v_add_f64 v[138:139], v[132:133], v[140:141]
	ds_read_b128 v[132:135], v160 offset:64
	v_add_f64 v[140:141], v[136:137], v[142:143]
	s_waitcnt lgkmcnt(1)
	v_add_f64 v[142:143], v[138:139], v[144:145]
	ds_read_b128 v[136:139], v160 offset:80
	;; [unrolled: 4-line block ×9, first 2 shown]
	v_add_f64 v[134:135], v[144:145], v[134:135]
	s_waitcnt lgkmcnt(1)
	v_add_f64 v[136:137], v[132:133], v[136:137]
	v_add_f64 v[144:145], v[134:135], v[138:139]
	ds_read_b128 v[132:135], v160 offset:208
	s_waitcnt lgkmcnt(1)
	v_add_f64 v[146:147], v[136:137], v[140:141]
	ds_read_b128 v[136:139], v160 offset:224
	v_add_f64 v[144:145], v[144:145], v[142:143]
	ds_read_b128 v[140:143], v161
	s_waitcnt lgkmcnt(2)
	v_add_f64 v[132:133], v[146:147], v[132:133]
	v_add_f64 v[134:135], v[144:145], v[134:135]
	s_waitcnt lgkmcnt(1)
	v_add_f64 v[132:133], v[132:133], v[136:137]
	v_lshlrev_b64 v[136:137], 4, v[150:151]
	v_add_f64 v[134:135], v[134:135], v[138:139]
	v_mov_b32_e32 v138, s14
	v_add_co_u32_e64 v136, s[8:9], s7, v136
	s_waitcnt lgkmcnt(0)
	v_add_f64 v[132:133], v[132:133], v[140:141]
	v_add_f64 v[134:135], v[134:135], v[142:143]
	v_addc_co_u32_e64 v137, s[8:9], v138, v137, s[8:9]
	global_store_dwordx4 v[136:137], v[132:135], off
	s_branch .LBB192_100
.LBB192_105:
	s_movk_i32 s2, 0x430
	s_or_b64 s[0:1], s[0:1], vcc
	v_mad_u32_u24 v4, v154, s2, v155
	s_xor_b64 s[0:1], s[0:1], -1
	ds_write_b128 v4, v[0:3]
	s_waitcnt lgkmcnt(0)
	s_barrier
	s_and_saveexec_b64 s[2:3], s[0:1]
	s_cbranch_execz .LBB192_107
; %bb.106:
	ds_read_b128 v[0:3], v155 offset:1072
	ds_read_b128 v[4:7], v155
	ds_read_b128 v[8:11], v155 offset:2144
	ds_read_b128 v[12:15], v155 offset:3216
	s_waitcnt lgkmcnt(2)
	v_add_f64 v[0:1], v[0:1], v[4:5]
	v_add_f64 v[2:3], v[2:3], v[6:7]
	v_lshlrev_b64 v[4:5], 4, v[148:149]
	s_waitcnt lgkmcnt(1)
	v_add_f64 v[0:1], v[0:1], v[8:9]
	v_add_f64 v[2:3], v[2:3], v[10:11]
	v_mov_b32_e32 v6, s14
	v_add_co_u32_e32 v4, vcc, s7, v4
	s_waitcnt lgkmcnt(0)
	v_add_f64 v[0:1], v[0:1], v[12:13]
	v_add_f64 v[2:3], v[2:3], v[14:15]
	v_addc_co_u32_e32 v5, vcc, v6, v5, vcc
	global_store_dwordx4 v[4:5], v[0:3], off
.LBB192_107:
	s_endpgm
	.section	.rodata,"a",@progbits
	.p2align	6, 0x0
	.amdhsa_kernel _ZL26rocblas_hemvn_kernel_lowerILb0ELi64ELi4ELi33ELi32ELi16ElPK19rocblas_complex_numIdEPKS3_PS1_EviT6_lT7_lT5_lS8_lS9_lS7_lT8_i
		.amdhsa_group_segment_fixed_size 19200
		.amdhsa_private_segment_fixed_size 0
		.amdhsa_kernarg_size 376
		.amdhsa_user_sgpr_count 6
		.amdhsa_user_sgpr_private_segment_buffer 1
		.amdhsa_user_sgpr_dispatch_ptr 0
		.amdhsa_user_sgpr_queue_ptr 0
		.amdhsa_user_sgpr_kernarg_segment_ptr 1
		.amdhsa_user_sgpr_dispatch_id 0
		.amdhsa_user_sgpr_flat_scratch_init 0
		.amdhsa_user_sgpr_kernarg_preload_length 0
		.amdhsa_user_sgpr_kernarg_preload_offset 0
		.amdhsa_user_sgpr_private_segment_size 0
		.amdhsa_uses_dynamic_stack 0
		.amdhsa_system_sgpr_private_segment_wavefront_offset 0
		.amdhsa_system_sgpr_workgroup_id_x 1
		.amdhsa_system_sgpr_workgroup_id_y 0
		.amdhsa_system_sgpr_workgroup_id_z 1
		.amdhsa_system_sgpr_workgroup_info 0
		.amdhsa_system_vgpr_workitem_id 1
		.amdhsa_next_free_vgpr 190
		.amdhsa_next_free_sgpr 44
		.amdhsa_accum_offset 192
		.amdhsa_reserve_vcc 1
		.amdhsa_reserve_flat_scratch 0
		.amdhsa_float_round_mode_32 0
		.amdhsa_float_round_mode_16_64 0
		.amdhsa_float_denorm_mode_32 3
		.amdhsa_float_denorm_mode_16_64 3
		.amdhsa_dx10_clamp 1
		.amdhsa_ieee_mode 1
		.amdhsa_fp16_overflow 0
		.amdhsa_tg_split 0
		.amdhsa_exception_fp_ieee_invalid_op 0
		.amdhsa_exception_fp_denorm_src 0
		.amdhsa_exception_fp_ieee_div_zero 0
		.amdhsa_exception_fp_ieee_overflow 0
		.amdhsa_exception_fp_ieee_underflow 0
		.amdhsa_exception_fp_ieee_inexact 0
		.amdhsa_exception_int_div_zero 0
	.end_amdhsa_kernel
	.section	.text._ZL26rocblas_hemvn_kernel_lowerILb0ELi64ELi4ELi33ELi32ELi16ElPK19rocblas_complex_numIdEPKS3_PS1_EviT6_lT7_lT5_lS8_lS9_lS7_lT8_i,"axG",@progbits,_ZL26rocblas_hemvn_kernel_lowerILb0ELi64ELi4ELi33ELi32ELi16ElPK19rocblas_complex_numIdEPKS3_PS1_EviT6_lT7_lT5_lS8_lS9_lS7_lT8_i,comdat
.Lfunc_end192:
	.size	_ZL26rocblas_hemvn_kernel_lowerILb0ELi64ELi4ELi33ELi32ELi16ElPK19rocblas_complex_numIdEPKS3_PS1_EviT6_lT7_lT5_lS8_lS9_lS7_lT8_i, .Lfunc_end192-_ZL26rocblas_hemvn_kernel_lowerILb0ELi64ELi4ELi33ELi32ELi16ElPK19rocblas_complex_numIdEPKS3_PS1_EviT6_lT7_lT5_lS8_lS9_lS7_lT8_i
                                        ; -- End function
	.section	.AMDGPU.csdata,"",@progbits
; Kernel info:
; codeLenInByte = 9268
; NumSgprs: 48
; NumVgprs: 190
; NumAgprs: 0
; TotalNumVgprs: 190
; ScratchSize: 0
; MemoryBound: 0
; FloatMode: 240
; IeeeMode: 1
; LDSByteSize: 19200 bytes/workgroup (compile time only)
; SGPRBlocks: 5
; VGPRBlocks: 23
; NumSGPRsForWavesPerEU: 48
; NumVGPRsForWavesPerEU: 190
; AccumOffset: 192
; Occupancy: 2
; WaveLimiterHint : 1
; COMPUTE_PGM_RSRC2:SCRATCH_EN: 0
; COMPUTE_PGM_RSRC2:USER_SGPR: 6
; COMPUTE_PGM_RSRC2:TRAP_HANDLER: 0
; COMPUTE_PGM_RSRC2:TGID_X_EN: 1
; COMPUTE_PGM_RSRC2:TGID_Y_EN: 0
; COMPUTE_PGM_RSRC2:TGID_Z_EN: 1
; COMPUTE_PGM_RSRC2:TIDIG_COMP_CNT: 1
; COMPUTE_PGM_RSRC3_GFX90A:ACCUM_OFFSET: 47
; COMPUTE_PGM_RSRC3_GFX90A:TG_SPLIT: 0
	.section	.text._ZL26rocblas_hemvn_kernel_lowerILb0ELi64ELi4ELi33ELi32ELi16EiPK19rocblas_complex_numIdEPKS3_PS1_EviT6_lT7_lT5_lS8_lS9_lS7_lT8_i,"axG",@progbits,_ZL26rocblas_hemvn_kernel_lowerILb0ELi64ELi4ELi33ELi32ELi16EiPK19rocblas_complex_numIdEPKS3_PS1_EviT6_lT7_lT5_lS8_lS9_lS7_lT8_i,comdat
	.globl	_ZL26rocblas_hemvn_kernel_lowerILb0ELi64ELi4ELi33ELi32ELi16EiPK19rocblas_complex_numIdEPKS3_PS1_EviT6_lT7_lT5_lS8_lS9_lS7_lT8_i ; -- Begin function _ZL26rocblas_hemvn_kernel_lowerILb0ELi64ELi4ELi33ELi32ELi16EiPK19rocblas_complex_numIdEPKS3_PS1_EviT6_lT7_lT5_lS8_lS9_lS7_lT8_i
	.p2align	8
	.type	_ZL26rocblas_hemvn_kernel_lowerILb0ELi64ELi4ELi33ELi32ELi16EiPK19rocblas_complex_numIdEPKS3_PS1_EviT6_lT7_lT5_lS8_lS9_lS7_lT8_i,@function
_ZL26rocblas_hemvn_kernel_lowerILb0ELi64ELi4ELi33ELi32ELi16EiPK19rocblas_complex_numIdEPKS3_PS1_EviT6_lT7_lT5_lS8_lS9_lS7_lT8_i: ; @_ZL26rocblas_hemvn_kernel_lowerILb0ELi64ELi4ELi33ELi32ELi16EiPK19rocblas_complex_numIdEPKS3_PS1_EviT6_lT7_lT5_lS8_lS9_lS7_lT8_i
; %bb.0:
	s_load_dwordx2 s[0:1], s[4:5], 0x84
	s_add_u32 s16, s4, 0x78
	s_addc_u32 s17, s5, 0
	s_waitcnt lgkmcnt(0)
	s_lshr_b32 s2, s0, 16
	s_and_b32 s0, s0, 0xffff
	s_and_b32 s1, s1, 0xffff
	s_mul_i32 s0, s2, s0
	s_mul_i32 s0, s0, s1
	s_cmpk_lg_i32 s0, 0x100
	s_cbranch_scc1 .LBB193_107
; %bb.1:
	s_load_dwordx8 s[8:15], s[4:5], 0x8
	s_mov_b32 s20, s7
	s_mov_b32 s21, 0
	s_waitcnt lgkmcnt(0)
	s_mul_i32 s1, s7, s11
	s_mul_hi_u32 s2, s7, s10
	s_mul_i32 s0, s7, s10
	s_add_i32 s1, s2, s1
	s_lshl_b64 s[0:1], s[0:1], 4
	s_add_u32 s18, s8, s0
	s_addc_u32 s19, s9, s1
	s_load_dwordx4 s[8:11], s[18:19], 0x0
	s_load_dwordx2 s[22:23], s[4:5], 0x68
	s_load_dwordx4 s[0:3], s[4:5], 0x58
	s_mov_b64 s[18:19], 0
	s_waitcnt lgkmcnt(0)
	v_cmp_neq_f64_e64 s[8:9], s[8:9], 0
	v_cmp_neq_f64_e64 s[10:11], s[10:11], 0
	s_or_b64 s[10:11], s[8:9], s[10:11]
	s_and_b64 vcc, exec, s[10:11]
	s_cbranch_vccnz .LBB193_3
; %bb.2:
	s_mul_i32 s3, s20, s3
	s_mul_hi_u32 s7, s20, s2
	s_add_i32 s3, s7, s3
	s_mul_i32 s2, s20, s2
	s_lshl_b64 s[2:3], s[2:3], 4
	s_add_u32 s0, s0, s2
	s_addc_u32 s1, s1, s3
	s_load_dwordx4 s[0:3], s[0:1], 0x0
	s_mov_b64 s[8:9], 0
	s_waitcnt lgkmcnt(0)
	v_cmp_neq_f64_e64 s[0:1], s[0:1], 1.0
	v_cmp_neq_f64_e64 s[2:3], s[2:3], 0
	s_or_b64 s[18:19], s[0:1], s[2:3]
	s_cbranch_execz .LBB193_4
	s_branch .LBB193_5
.LBB193_3:
	s_mov_b64 s[8:9], -1
.LBB193_4:
	s_lshl_b64 s[0:1], s[20:21], 3
	s_add_u32 s0, s12, s0
	s_addc_u32 s1, s13, s1
	s_load_dwordx2 s[0:1], s[0:1], 0x0
	s_lshl_b64 s[2:3], s[14:15], 4
	s_mov_b64 s[18:19], -1
	s_waitcnt lgkmcnt(0)
	s_add_u32 s8, s0, s2
	s_addc_u32 s9, s1, s3
.LBB193_5:
	s_andn2_b64 vcc, exec, s[18:19]
	s_cbranch_vccnz .LBB193_107
; %bb.6:
	v_cndmask_b32_e64 v1, 0, 1, s[10:11]
	v_cmp_ne_u32_e64 s[0:1], 1, v1
	s_andn2_b64 vcc, exec, s[10:11]
	s_mov_b64 s[2:3], 0
	s_cbranch_vccnz .LBB193_8
; %bb.7:
	s_load_dwordx4 s[12:15], s[4:5], 0x38
	s_lshl_b64 s[2:3], s[20:21], 3
	s_waitcnt lgkmcnt(0)
	s_add_u32 s2, s12, s2
	s_addc_u32 s3, s13, s3
	s_load_dwordx2 s[2:3], s[2:3], 0x0
	s_lshl_b64 s[10:11], s[14:15], 4
	s_waitcnt lgkmcnt(0)
	s_add_u32 s2, s2, s10
	s_addc_u32 s3, s3, s11
.LBB193_8:
	s_and_b64 vcc, exec, s[0:1]
	s_cbranch_vccnz .LBB193_107
; %bb.9:
	s_load_dword s33, s[16:17], 0x0
	s_load_dword s21, s[4:5], 0x0
	;; [unrolled: 1-line block ×3, first 2 shown]
	v_and_b32_e32 v42, 0x3ff, v0
	s_lshl_b32 s26, s6, 6
	v_add_u32_e32 v148, s26, v42
	s_waitcnt lgkmcnt(0)
	s_ashr_i32 s42, s21, 31
	s_lshr_b32 s1, s42, 26
	v_bfe_u32 v149, v0, 10, 10
	s_add_i32 s1, s21, s1
	v_mul_lo_u32 v0, v148, s7
	s_andn2_b32 s1, s1, 63
	v_ashrrev_i32_e32 v1, 31, v0
	s_add_i32 s0, s33, -1
	s_sub_i32 s1, s21, s1
	v_lshlrev_b64 v[0:1], 4, v[0:1]
	s_cmp_eq_u32 s6, s0
	v_mov_b32_e32 v2, s3
	v_add_co_u32_e32 v36, vcc, s2, v0
	s_cselect_b32 s24, s1, 0
	v_addc_co_u32_e32 v37, vcc, v2, v1, vcc
	v_cmp_ne_u32_e64 s[0:1], 0, v149
	v_cmp_eq_u32_e64 s[2:3], 0, v149
	s_and_saveexec_b64 s[10:11], s[2:3]
	s_cbranch_execz .LBB193_14
; %bb.10:
	s_cmp_lg_u32 s24, 0
	s_cselect_b64 s[12:13], -1, 0
	v_cmp_le_i32_e32 vcc, s24, v42
	v_mov_b32_e32 v0, 0x4700
	s_and_b64 s[12:13], s[12:13], vcc
	v_lshl_add_u32 v0, v42, 4, v0
	s_and_saveexec_b64 s[14:15], s[12:13]
	s_xor_b64 s[12:13], exec, s[14:15]
	s_cbranch_execz .LBB193_12
; %bb.11:
	v_mov_b32_e32 v2, 0
	v_mov_b32_e32 v3, v2
	;; [unrolled: 1-line block ×4, first 2 shown]
	ds_write_b128 v0, v[2:5]
                                        ; implicit-def: $vgpr0
.LBB193_12:
	s_andn2_saveexec_b64 s[12:13], s[12:13]
	s_cbranch_execz .LBB193_14
; %bb.13:
	flat_load_dwordx4 v[2:5], v[36:37]
	s_waitcnt vmcnt(0) lgkmcnt(0)
	ds_write2_b64 v0, v[2:3], v[4:5] offset1:1
.LBB193_14:
	s_or_b64 exec, exec, s[10:11]
	s_load_dword s28, s[4:5], 0x28
	s_ashr_i32 s27, s26, 31
	v_lshl_add_u32 v43, v149, 6, v42
	s_lshl_b64 s[4:5], s[26:27], 4
	v_and_b32_e32 v4, 31, v42
	v_lshrrev_b32_e32 v5, 5, v43
	s_add_u32 s8, s8, s4
	s_addc_u32 s9, s9, s5
	s_waitcnt lgkmcnt(0)
	v_mad_u64_u32 v[0:1], s[4:5], v5, s28, v[4:5]
	s_mul_i32 s4, s26, s28
	s_ashr_i32 s5, s4, 31
	s_lshl_b64 s[30:31], s[4:5], 4
	v_ashrrev_i32_e32 v1, 31, v0
	s_add_u32 s4, s30, s8
	v_lshlrev_b64 v[38:39], 4, v[0:1]
	s_addc_u32 s5, s31, s9
	v_mov_b32_e32 v0, s5
	v_add_co_u32_e32 v6, vcc, s4, v38
	s_cmp_lg_u32 s24, 0
	v_addc_co_u32_e32 v7, vcc, v0, v39, vcc
	s_cselect_b64 s[34:35], -1, 0
	s_cmp_eq_u32 s24, 0
	s_cselect_b64 s[36:37], -1, 0
	s_and_b64 vcc, exec, s[34:35]
	s_cbranch_vccnz .LBB193_16
; %bb.15:
	flat_load_dwordx4 v[0:3], v[6:7]
	s_lshl_b32 s4, s28, 3
	s_ashr_i32 s5, s4, 31
	v_mul_u32_u24_e32 v8, 33, v5
	s_lshl_b64 s[4:5], s[4:5], 4
	v_add_lshl_u32 v10, v8, v4, 4
	v_mov_b32_e32 v9, s5
	v_add_co_u32_e32 v8, vcc, s4, v6
	v_addc_co_u32_e32 v9, vcc, v7, v9, vcc
	s_ashr_i32 s29, s28, 31
	s_lshl_b64 s[4:5], s[28:29], 7
	v_add_u32_e32 v11, 0x1080, v10
	v_mov_b32_e32 v12, s5
	s_waitcnt vmcnt(0) lgkmcnt(0)
	ds_write2_b64 v10, v[0:1], v[2:3] offset1:1
	flat_load_dwordx4 v[0:3], v[8:9]
	v_add_co_u32_e32 v8, vcc, s4, v8
	v_addc_co_u32_e32 v9, vcc, v9, v12, vcc
	s_waitcnt vmcnt(0) lgkmcnt(0)
	ds_write2_b64 v11, v[0:1], v[2:3] offset1:1
	flat_load_dwordx4 v[0:3], v[8:9]
	v_add_u32_e32 v11, 0x2100, v10
	v_add_co_u32_e32 v8, vcc, s4, v8
	v_addc_co_u32_e32 v9, vcc, v9, v12, vcc
	s_waitcnt vmcnt(0) lgkmcnt(0)
	ds_write2_b64 v11, v[0:1], v[2:3] offset1:1
	flat_load_dwordx4 v[0:3], v[8:9]
	v_add_u32_e32 v8, 0x3180, v10
	s_waitcnt vmcnt(0) lgkmcnt(0)
	ds_write2_b64 v8, v[0:1], v[2:3] offset1:1
	s_cbranch_execz .LBB193_17
	s_branch .LBB193_34
.LBB193_16:
.LBB193_17:
	v_lshlrev_b32_e32 v2, 4, v4
	v_sub_co_u32_e32 v0, vcc, v6, v2
	s_ashr_i32 s25, s24, 31
	v_subbrev_co_u32_e32 v1, vcc, 0, v7, vcc
	s_lshl_b64 s[8:9], s[24:25], 4
	v_mov_b32_e32 v3, s9
	v_add_co_u32_e32 v0, vcc, s8, v0
	v_addc_co_u32_e32 v1, vcc, v1, v3, vcc
	v_add_co_u32_e32 v0, vcc, -16, v0
	v_addc_co_u32_e32 v1, vcc, -1, v1, vcc
	v_cmp_gt_i32_e32 vcc, s24, v4
	v_mul_u32_u24_e32 v3, 33, v5
	v_cndmask_b32_e32 v1, v1, v7, vcc
	v_cndmask_b32_e32 v0, v0, v6, vcc
	v_cmp_le_i32_e64 s[4:5], s24, v5
	v_add_lshl_u32 v3, v3, v4, 4
	s_and_saveexec_b64 s[10:11], s[4:5]
	s_xor_b64 s[4:5], exec, s[10:11]
	s_cbranch_execz .LBB193_19
; %bb.18:
	v_mov_b32_e32 v8, 0
	v_mov_b32_e32 v9, v8
	;; [unrolled: 1-line block ×4, first 2 shown]
	ds_write_b128 v3, v[8:11]
.LBB193_19:
	s_andn2_saveexec_b64 s[4:5], s[4:5]
	s_cbranch_execz .LBB193_21
; %bb.20:
	flat_load_dwordx4 v[8:11], v[0:1]
	s_waitcnt vmcnt(0) lgkmcnt(0)
	ds_write2_b64 v3, v[8:9], v[10:11] offset1:1
.LBB193_21:
	s_or_b64 exec, exec, s[4:5]
	v_add_u32_e32 v8, 8, v5
	v_cmp_le_i32_e64 s[4:5], s24, v8
	s_and_saveexec_b64 s[10:11], s[4:5]
	s_xor_b64 s[4:5], exec, s[10:11]
	s_cbranch_execz .LBB193_23
; %bb.22:
	v_mul_u32_u24_e32 v8, 33, v8
	v_add_lshl_u32 v12, v8, v4, 4
	v_mov_b32_e32 v8, 0
	v_mov_b32_e32 v9, v8
	;; [unrolled: 1-line block ×4, first 2 shown]
	ds_write_b128 v12, v[8:11]
.LBB193_23:
	s_andn2_saveexec_b64 s[10:11], s[4:5]
	s_cbranch_execz .LBB193_25
; %bb.24:
	s_lshl_b32 s4, s28, 3
	s_ashr_i32 s5, s4, 31
	s_lshl_b64 s[4:5], s[4:5], 4
	v_mov_b32_e32 v9, s5
	v_add_co_u32_e64 v8, s[4:5], s4, v0
	v_addc_co_u32_e64 v9, s[4:5], v1, v9, s[4:5]
	flat_load_dwordx4 v[8:11], v[8:9]
	v_add_u32_e32 v12, 0x1080, v3
	s_waitcnt vmcnt(0) lgkmcnt(0)
	ds_write2_b64 v12, v[8:9], v[10:11] offset1:1
.LBB193_25:
	s_or_b64 exec, exec, s[10:11]
	v_add_u32_e32 v8, 16, v5
	v_cmp_le_i32_e64 s[4:5], s24, v8
	s_and_saveexec_b64 s[10:11], s[4:5]
	s_xor_b64 s[4:5], exec, s[10:11]
	s_cbranch_execz .LBB193_27
; %bb.26:
	v_mul_u32_u24_e32 v8, 33, v8
	v_add_lshl_u32 v12, v8, v4, 4
	v_mov_b32_e32 v8, 0
	v_mov_b32_e32 v9, v8
	;; [unrolled: 1-line block ×4, first 2 shown]
	ds_write_b128 v12, v[8:11]
.LBB193_27:
	s_andn2_saveexec_b64 s[10:11], s[4:5]
	s_cbranch_execz .LBB193_29
; %bb.28:
	s_lshl_b32 s4, s28, 4
	s_ashr_i32 s5, s4, 31
	s_lshl_b64 s[4:5], s[4:5], 4
	v_mov_b32_e32 v9, s5
	v_add_co_u32_e64 v8, s[4:5], s4, v0
	v_addc_co_u32_e64 v9, s[4:5], v1, v9, s[4:5]
	flat_load_dwordx4 v[8:11], v[8:9]
	v_add_u32_e32 v12, 0x2100, v3
	s_waitcnt vmcnt(0) lgkmcnt(0)
	ds_write2_b64 v12, v[8:9], v[10:11] offset1:1
.LBB193_29:
	s_or_b64 exec, exec, s[10:11]
	v_add_u32_e32 v8, 24, v5
	v_cmp_le_i32_e64 s[4:5], s24, v8
	s_and_saveexec_b64 s[10:11], s[4:5]
	s_xor_b64 s[4:5], exec, s[10:11]
	s_cbranch_execz .LBB193_31
; %bb.30:
	v_mov_b32_e32 v8, 0
	v_mov_b32_e32 v9, v8
	;; [unrolled: 1-line block ×4, first 2 shown]
	ds_write_b128 v3, v[8:11] offset:12672
                                        ; implicit-def: $vgpr3
.LBB193_31:
	s_andn2_saveexec_b64 s[10:11], s[4:5]
	s_cbranch_execz .LBB193_33
; %bb.32:
	s_mul_i32 s4, s28, 24
	s_ashr_i32 s5, s4, 31
	s_lshl_b64 s[4:5], s[4:5], 4
	v_mov_b32_e32 v9, s5
	v_add_co_u32_e64 v8, s[4:5], s4, v0
	v_addc_co_u32_e64 v9, s[4:5], v1, v9, s[4:5]
	flat_load_dwordx4 v[8:11], v[8:9]
	v_add_u32_e32 v3, 0x3180, v3
	s_waitcnt vmcnt(0) lgkmcnt(0)
	ds_write2_b64 v3, v[8:9], v[10:11] offset1:1
.LBB193_33:
	s_or_b64 exec, exec, s[10:11]
	v_add_co_u32_e64 v0, s[4:5], v0, v2
	v_addc_co_u32_e64 v1, s[4:5], 0, v1, s[4:5]
	v_mov_b32_e32 v2, s9
	v_subrev_co_u32_e64 v0, s[4:5], s8, v0
	v_subb_co_u32_e64 v1, s[4:5], v1, v2, s[4:5]
	v_add_co_u32_e64 v0, s[4:5], 16, v0
	v_addc_co_u32_e64 v1, s[4:5], 0, v1, s[4:5]
	v_cndmask_b32_e32 v7, v1, v7, vcc
	v_cndmask_b32_e32 v6, v0, v6, vcc
.LBB193_34:
	v_lshlrev_b32_e32 v0, 2, v5
	v_mul_u32_u24_e32 v44, 33, v4
	v_cmp_lt_u32_e64 s[18:19], v0, v4
	v_add_lshl_u32 v10, v0, v44, 4
	s_waitcnt lgkmcnt(0)
	s_barrier
	s_and_saveexec_b64 s[4:5], s[18:19]
	s_cbranch_execz .LBB193_36
; %bb.35:
	v_mul_u32_u24_e32 v1, 0x84, v5
	v_add_lshl_u32 v1, v1, v4, 4
	ds_read_b128 v[12:15], v1
	s_waitcnt lgkmcnt(0)
	ds_write_b128 v10, v[12:15]
.LBB193_36:
	s_or_b64 exec, exec, s[4:5]
	v_or_b32_e32 v1, 1, v0
	v_cmp_lt_u32_e64 s[8:9], v1, v4
	s_and_saveexec_b64 s[4:5], s[8:9]
	s_cbranch_execz .LBB193_38
; %bb.37:
	v_mul_u32_u24_e32 v1, 33, v1
	v_add_lshl_u32 v1, v1, v4, 4
	ds_read_b128 v[12:15], v1
	s_waitcnt lgkmcnt(0)
	ds_write_b128 v10, v[12:15] offset:16
.LBB193_38:
	s_or_b64 exec, exec, s[4:5]
	v_or_b32_e32 v1, 2, v0
	v_cmp_lt_u32_e64 s[10:11], v1, v4
	s_and_saveexec_b64 s[4:5], s[10:11]
	s_cbranch_execz .LBB193_40
; %bb.39:
	v_mul_u32_u24_e32 v1, 33, v1
	v_add_lshl_u32 v1, v1, v4, 4
	ds_read_b128 v[12:15], v1
	s_waitcnt lgkmcnt(0)
	ds_write_b128 v10, v[12:15] offset:32
.LBB193_40:
	s_or_b64 exec, exec, s[4:5]
	v_or_b32_e32 v1, 3, v0
	v_cmp_lt_u32_e64 s[12:13], v1, v4
	v_mad_u32_u24 v1, v1, 33, v4
	v_lshlrev_b32_e32 v11, 4, v1
	s_and_saveexec_b64 s[4:5], s[12:13]
	s_cbranch_execz .LBB193_42
; %bb.41:
	ds_read_b128 v[12:15], v11
	s_waitcnt lgkmcnt(0)
	ds_write_b128 v10, v[12:15] offset:48
.LBB193_42:
	s_or_b64 exec, exec, s[4:5]
	v_mul_u32_u24_e32 v1, 0x84, v5
	v_lshlrev_b32_e32 v14, 4, v0
	s_waitcnt lgkmcnt(0)
	s_barrier
	v_add_lshl_u32 v13, v1, v4, 4
	ds_read_b128 v[0:3], v14 offset:18176
	ds_read_b128 v[16:19], v13
	ds_read_b128 v[20:23], v14 offset:18192
	ds_read_b128 v[24:27], v14 offset:18208
	v_add_u32_e32 v12, 0xfffffbe0, v11
	ds_read_b128 v[28:31], v12
	ds_read_b128 v[32:35], v12 offset:528
	s_waitcnt lgkmcnt(4)
	v_mul_f64 v[8:9], v[2:3], v[18:19]
	v_fma_f64 v[8:9], v[0:1], v[16:17], -v[8:9]
	v_mul_f64 v[0:1], v[0:1], v[18:19]
	v_fmac_f64_e32 v[0:1], v[2:3], v[16:17]
	s_waitcnt lgkmcnt(1)
	v_mul_f64 v[16:17], v[20:21], v[30:31]
	v_add_f64 v[2:3], v[8:9], 0
	v_add_f64 v[0:1], v[0:1], 0
	v_mul_f64 v[8:9], v[22:23], v[30:31]
	v_fmac_f64_e32 v[16:17], v[22:23], v[28:29]
	v_fma_f64 v[8:9], v[20:21], v[28:29], -v[8:9]
	v_add_f64 v[20:21], v[0:1], v[16:17]
	s_waitcnt lgkmcnt(0)
	v_mul_f64 v[0:1], v[26:27], v[34:35]
	v_add_f64 v[8:9], v[2:3], v[8:9]
	v_fma_f64 v[22:23], v[24:25], v[32:33], -v[0:1]
	ds_read_b128 v[0:3], v14 offset:18224
	ds_read_b128 v[16:19], v11
	v_mul_f64 v[24:25], v[24:25], v[34:35]
	v_fmac_f64_e32 v[24:25], v[26:27], v[32:33]
	v_add_f64 v[8:9], v[8:9], v[22:23]
	v_add_f64 v[20:21], v[20:21], v[24:25]
	s_waitcnt lgkmcnt(0)
	v_mul_f64 v[22:23], v[2:3], v[18:19]
	v_mul_f64 v[18:19], v[0:1], v[18:19]
	v_fma_f64 v[22:23], v[0:1], v[16:17], -v[22:23]
	v_fmac_f64_e32 v[18:19], v[2:3], v[16:17]
	v_add_f64 v[0:1], v[8:9], v[22:23]
	v_add_f64 v[2:3], v[20:21], v[18:19]
	v_add_lshl_u32 v45, v5, v44, 4
	s_barrier
	ds_write_b128 v45, v[0:3]
	v_pk_mov_b32 v[0:1], 0, 0
	v_cmp_gt_u32_e64 s[4:5], 32, v43
	v_pk_mov_b32 v[2:3], v[0:1], v[0:1] op_sel:[0,1]
	s_waitcnt lgkmcnt(0)
	s_barrier
	s_and_saveexec_b64 s[14:15], s[4:5]
	s_cbranch_execz .LBB193_44
; %bb.43:
	v_lshlrev_b32_e32 v15, 4, v44
	ds_read_b128 v[0:3], v15
	ds_read_b128 v[16:19], v15 offset:16
	ds_read_b128 v[20:23], v15 offset:32
	;; [unrolled: 1-line block ×3, first 2 shown]
	s_waitcnt lgkmcnt(2)
	v_add_f64 v[0:1], v[16:17], v[0:1]
	v_add_f64 v[8:9], v[18:19], v[2:3]
	s_waitcnt lgkmcnt(1)
	v_add_f64 v[16:17], v[0:1], v[20:21]
	ds_read_b128 v[0:3], v15 offset:64
	v_add_f64 v[8:9], v[8:9], v[22:23]
	s_waitcnt lgkmcnt(1)
	v_add_f64 v[20:21], v[16:17], v[24:25]
	ds_read_b128 v[16:19], v15 offset:80
	;; [unrolled: 4-line block ×3, first 2 shown]
	v_add_f64 v[8:9], v[8:9], v[2:3]
	ds_read_b128 v[0:3], v15 offset:112
	s_waitcnt lgkmcnt(2)
	v_add_f64 v[16:17], v[24:25], v[16:17]
	v_add_f64 v[8:9], v[8:9], v[18:19]
	s_waitcnt lgkmcnt(1)
	v_add_f64 v[16:17], v[16:17], v[20:21]
	v_add_f64 v[8:9], v[8:9], v[22:23]
	;; [unrolled: 3-line block ×3, first 2 shown]
.LBB193_44:
	s_or_b64 exec, exec, s[14:15]
	s_lshl_b32 s14, s28, 5
	s_ashr_i32 s15, s14, 31
	s_lshl_b64 s[38:39], s[14:15], 4
	v_mov_b32_e32 v9, s39
	v_add_co_u32_e32 v8, vcc, s38, v6
	v_addc_co_u32_e32 v9, vcc, v7, v9, vcc
	v_add_co_u32_e32 v6, vcc, 0x200, v8
	v_cndmask_b32_e64 v7, 0, 1, s[36:37]
	s_mov_b64 s[16:17], vcc
	v_cmp_ne_u32_e64 s[14:15], 1, v7
	s_andn2_b64 vcc, exec, s[36:37]
	v_addc_co_u32_e64 v7, s[16:17], 0, v9, s[16:17]
	s_barrier
	s_cbranch_vccnz .LBB193_46
; %bb.45:
	flat_load_dwordx4 v[16:19], v[6:7]
	s_lshl_b32 s16, s28, 3
	s_ashr_i32 s17, s16, 31
	v_mul_u32_u24_e32 v15, 33, v5
	s_lshl_b64 s[16:17], s[16:17], 4
	v_add_lshl_u32 v15, v15, v4, 4
	v_mov_b32_e32 v20, s17
	v_add_co_u32_e32 v8, vcc, s16, v8
	v_addc_co_u32_e32 v9, vcc, v9, v20, vcc
	s_ashr_i32 s29, s28, 31
	s_lshl_b64 s[16:17], s[28:29], 7
	v_add_u32_e32 v20, 0x1080, v15
	v_mov_b32_e32 v21, s17
	s_waitcnt vmcnt(0) lgkmcnt(0)
	ds_write2_b64 v15, v[16:17], v[18:19] offset1:1
	flat_load_dwordx4 v[16:19], v[8:9] offset:512
	v_add_co_u32_e32 v8, vcc, s16, v8
	v_addc_co_u32_e32 v9, vcc, v9, v21, vcc
	s_waitcnt vmcnt(0) lgkmcnt(0)
	ds_write2_b64 v20, v[16:17], v[18:19] offset1:1
	flat_load_dwordx4 v[16:19], v[8:9] offset:512
	v_add_u32_e32 v20, 0x2100, v15
	v_add_co_u32_e32 v8, vcc, s16, v8
	v_addc_co_u32_e32 v9, vcc, v9, v21, vcc
	s_waitcnt vmcnt(0) lgkmcnt(0)
	ds_write2_b64 v20, v[16:17], v[18:19] offset1:1
	flat_load_dwordx4 v[16:19], v[8:9] offset:512
	v_add_u32_e32 v8, 0x3180, v15
	s_waitcnt vmcnt(0) lgkmcnt(0)
	ds_write2_b64 v8, v[16:17], v[18:19] offset1:1
	s_cbranch_execz .LBB193_47
	s_branch .LBB193_64
.LBB193_46:
.LBB193_47:
	v_or_b32_e32 v8, 32, v4
	v_lshlrev_b32_e32 v9, 4, v8
	v_sub_co_u32_e32 v9, vcc, v6, v9
	s_ashr_i32 s25, s24, 31
	v_subbrev_co_u32_e32 v15, vcc, 0, v7, vcc
	s_lshl_b64 s[36:37], s[24:25], 4
	v_mov_b32_e32 v16, s37
	v_add_co_u32_e32 v9, vcc, s36, v9
	v_addc_co_u32_e32 v15, vcc, v15, v16, vcc
	v_add_co_u32_e32 v16, vcc, -16, v9
	v_addc_co_u32_e32 v9, vcc, -1, v15, vcc
	v_cmp_gt_i32_e64 s[16:17], s24, v8
	s_sub_i32 s25, s24, 32
	v_mul_u32_u24_e32 v15, 33, v5
	v_cndmask_b32_e64 v9, v9, v7, s[16:17]
	v_cndmask_b32_e64 v8, v16, v6, s[16:17]
	v_cmp_le_i32_e32 vcc, s25, v5
	v_add_lshl_u32 v15, v15, v4, 4
	s_and_saveexec_b64 s[40:41], vcc
	s_xor_b64 s[40:41], exec, s[40:41]
	s_cbranch_execz .LBB193_49
; %bb.48:
	v_mov_b32_e32 v16, 0
	v_mov_b32_e32 v17, v16
	;; [unrolled: 1-line block ×4, first 2 shown]
	ds_write_b128 v15, v[16:19]
.LBB193_49:
	s_andn2_saveexec_b64 s[40:41], s[40:41]
	s_cbranch_execz .LBB193_51
; %bb.50:
	flat_load_dwordx4 v[16:19], v[8:9]
	s_waitcnt vmcnt(0) lgkmcnt(0)
	ds_write2_b64 v15, v[16:17], v[18:19] offset1:1
.LBB193_51:
	s_or_b64 exec, exec, s[40:41]
	v_add_u32_e32 v16, 8, v5
	v_cmp_le_i32_e32 vcc, s25, v16
	s_and_saveexec_b64 s[40:41], vcc
	s_xor_b64 s[40:41], exec, s[40:41]
	s_cbranch_execz .LBB193_53
; %bb.52:
	v_mul_u32_u24_e32 v16, 33, v16
	v_add_lshl_u32 v20, v16, v4, 4
	v_mov_b32_e32 v16, 0
	v_mov_b32_e32 v17, v16
	;; [unrolled: 1-line block ×4, first 2 shown]
	ds_write_b128 v20, v[16:19]
.LBB193_53:
	s_andn2_saveexec_b64 s[40:41], s[40:41]
	s_cbranch_execz .LBB193_55
; %bb.54:
	s_lshl_b32 s44, s28, 3
	s_ashr_i32 s45, s44, 31
	s_lshl_b64 s[44:45], s[44:45], 4
	v_mov_b32_e32 v17, s45
	v_add_co_u32_e32 v16, vcc, s44, v8
	v_addc_co_u32_e32 v17, vcc, v9, v17, vcc
	flat_load_dwordx4 v[16:19], v[16:17]
	v_add_u32_e32 v20, 0x1080, v15
	s_waitcnt vmcnt(0) lgkmcnt(0)
	ds_write2_b64 v20, v[16:17], v[18:19] offset1:1
.LBB193_55:
	s_or_b64 exec, exec, s[40:41]
	v_add_u32_e32 v16, 16, v5
	v_cmp_le_i32_e32 vcc, s25, v16
	s_and_saveexec_b64 s[40:41], vcc
	s_xor_b64 s[40:41], exec, s[40:41]
	s_cbranch_execz .LBB193_57
; %bb.56:
	v_mul_u32_u24_e32 v16, 33, v16
	v_add_lshl_u32 v20, v16, v4, 4
	v_mov_b32_e32 v16, 0
	v_mov_b32_e32 v17, v16
	;; [unrolled: 1-line block ×4, first 2 shown]
	ds_write_b128 v20, v[16:19]
.LBB193_57:
	s_andn2_saveexec_b64 s[40:41], s[40:41]
	s_cbranch_execz .LBB193_59
; %bb.58:
	s_lshl_b32 s44, s28, 4
	s_ashr_i32 s45, s44, 31
	s_lshl_b64 s[44:45], s[44:45], 4
	v_mov_b32_e32 v17, s45
	v_add_co_u32_e32 v16, vcc, s44, v8
	v_addc_co_u32_e32 v17, vcc, v9, v17, vcc
	flat_load_dwordx4 v[16:19], v[16:17]
	v_add_u32_e32 v20, 0x2100, v15
	s_waitcnt vmcnt(0) lgkmcnt(0)
	ds_write2_b64 v20, v[16:17], v[18:19] offset1:1
.LBB193_59:
	s_or_b64 exec, exec, s[40:41]
	v_add_u32_e32 v16, 24, v5
	v_cmp_le_i32_e32 vcc, s25, v16
	s_and_saveexec_b64 s[40:41], vcc
	s_xor_b64 s[40:41], exec, s[40:41]
	s_cbranch_execz .LBB193_61
; %bb.60:
	v_mov_b32_e32 v16, 0
	v_mov_b32_e32 v17, v16
	;; [unrolled: 1-line block ×4, first 2 shown]
	ds_write_b128 v15, v[16:19] offset:12672
                                        ; implicit-def: $vgpr15
.LBB193_61:
	s_andn2_saveexec_b64 s[40:41], s[40:41]
	s_cbranch_execz .LBB193_63
; %bb.62:
	s_mul_i32 s44, s28, 24
	s_ashr_i32 s45, s44, 31
	s_lshl_b64 s[44:45], s[44:45], 4
	v_mov_b32_e32 v17, s45
	v_add_co_u32_e32 v16, vcc, s44, v8
	v_addc_co_u32_e32 v17, vcc, v9, v17, vcc
	flat_load_dwordx4 v[16:19], v[16:17]
	v_add_u32_e32 v15, 0x3180, v15
	s_waitcnt vmcnt(0) lgkmcnt(0)
	ds_write2_b64 v15, v[16:17], v[18:19] offset1:1
.LBB193_63:
	s_or_b64 exec, exec, s[40:41]
	v_lshlrev_b32_e32 v15, 4, v4
	v_add_co_u32_e32 v8, vcc, v8, v15
	v_addc_co_u32_e32 v9, vcc, 0, v9, vcc
	v_mov_b32_e32 v15, s37
	v_subrev_co_u32_e32 v8, vcc, s36, v8
	v_subb_co_u32_e32 v9, vcc, v9, v15, vcc
	v_add_co_u32_e32 v8, vcc, 0x210, v8
	v_addc_co_u32_e32 v9, vcc, 0, v9, vcc
	v_cndmask_b32_e64 v7, v9, v7, s[16:17]
	v_cndmask_b32_e64 v6, v8, v6, s[16:17]
.LBB193_64:
	v_add_u32_e32 v8, 0x4700, v14
	v_add_u32_e32 v9, 0x210, v12
	s_waitcnt lgkmcnt(0)
	s_barrier
	s_and_saveexec_b64 s[16:17], s[18:19]
	s_cbranch_execnz .LBB193_73
; %bb.65:
	s_or_b64 exec, exec, s[16:17]
	s_and_saveexec_b64 s[16:17], s[8:9]
	s_cbranch_execnz .LBB193_74
.LBB193_66:
	s_or_b64 exec, exec, s[16:17]
	s_and_saveexec_b64 s[8:9], s[10:11]
	s_cbranch_execnz .LBB193_75
.LBB193_67:
	s_or_b64 exec, exec, s[8:9]
	s_and_saveexec_b64 s[8:9], s[12:13]
	s_cbranch_execz .LBB193_69
.LBB193_68:
	ds_read_b128 v[14:17], v11
	s_waitcnt lgkmcnt(0)
	ds_write_b128 v10, v[14:17] offset:48
.LBB193_69:
	s_or_b64 exec, exec, s[8:9]
	s_waitcnt lgkmcnt(0)
	s_barrier
	ds_read_b128 v[14:17], v8 offset:512
	ds_read_b128 v[18:21], v13
	ds_read_b128 v[22:25], v8 offset:528
	ds_read_b128 v[26:29], v8 offset:544
	v_cmp_eq_u32_e64 s[10:11], 1, v5
	s_waitcnt lgkmcnt(2)
	v_mul_f64 v[30:31], v[16:17], v[20:21]
	v_fma_f64 v[34:35], v[14:15], v[18:19], -v[30:31]
	ds_read_b128 v[30:33], v8 offset:560
	ds_read_b128 v[46:49], v12
	v_mul_f64 v[14:15], v[14:15], v[20:21]
	v_fmac_f64_e32 v[14:15], v[16:17], v[18:19]
	v_add_f64 v[18:19], v[14:15], 0
	v_add_f64 v[16:17], v[34:35], 0
	s_waitcnt lgkmcnt(0)
	v_mul_f64 v[14:15], v[24:25], v[48:49]
	v_fma_f64 v[20:21], v[22:23], v[46:47], -v[14:15]
	v_mul_f64 v[22:23], v[22:23], v[48:49]
	ds_read_b128 v[12:15], v12 offset:528
	v_fmac_f64_e32 v[22:23], v[24:25], v[46:47]
	v_add_f64 v[20:21], v[16:17], v[20:21]
	v_add_f64 v[22:23], v[18:19], v[22:23]
	ds_read_b128 v[16:19], v11
	s_waitcnt lgkmcnt(1)
	v_mul_f64 v[24:25], v[28:29], v[14:15]
	v_fma_f64 v[24:25], v[26:27], v[12:13], -v[24:25]
	v_mul_f64 v[14:15], v[26:27], v[14:15]
	v_fmac_f64_e32 v[14:15], v[28:29], v[12:13]
	v_add_f64 v[12:13], v[20:21], v[24:25]
	s_waitcnt lgkmcnt(0)
	v_mul_f64 v[20:21], v[32:33], v[18:19]
	v_mul_f64 v[18:19], v[30:31], v[18:19]
	v_add_f64 v[14:15], v[22:23], v[14:15]
	v_fma_f64 v[20:21], v[30:31], v[16:17], -v[20:21]
	v_fmac_f64_e32 v[18:19], v[32:33], v[16:17]
	v_add_f64 v[12:13], v[12:13], v[20:21]
	v_add_f64 v[14:15], v[14:15], v[18:19]
	s_barrier
	ds_write_b128 v45, v[12:15]
	s_waitcnt lgkmcnt(0)
	s_barrier
	s_and_saveexec_b64 s[8:9], s[10:11]
	s_cbranch_execz .LBB193_71
; %bb.70:
	v_lshlrev_b32_e32 v9, 4, v44
	ds_read_b128 v[0:3], v9
	ds_read_b128 v[12:15], v9 offset:16
	ds_read_b128 v[16:19], v9 offset:32
	;; [unrolled: 1-line block ×3, first 2 shown]
	s_waitcnt lgkmcnt(2)
	v_add_f64 v[0:1], v[12:13], v[0:1]
	v_add_f64 v[12:13], v[14:15], v[2:3]
	s_waitcnt lgkmcnt(1)
	v_add_f64 v[14:15], v[0:1], v[16:17]
	ds_read_b128 v[0:3], v9 offset:64
	v_add_f64 v[12:13], v[12:13], v[18:19]
	s_waitcnt lgkmcnt(1)
	v_add_f64 v[16:17], v[14:15], v[20:21]
	v_add_f64 v[20:21], v[12:13], v[22:23]
	ds_read_b128 v[12:15], v9 offset:80
	s_waitcnt lgkmcnt(1)
	v_add_f64 v[22:23], v[16:17], v[0:1]
	ds_read_b128 v[16:19], v9 offset:96
	v_add_f64 v[20:21], v[20:21], v[2:3]
	ds_read_b128 v[0:3], v9 offset:112
	s_waitcnt lgkmcnt(2)
	v_add_f64 v[12:13], v[22:23], v[12:13]
	v_add_f64 v[14:15], v[20:21], v[14:15]
	s_waitcnt lgkmcnt(1)
	v_add_f64 v[12:13], v[12:13], v[16:17]
	v_add_f64 v[14:15], v[14:15], v[18:19]
	;; [unrolled: 3-line block ×3, first 2 shown]
.LBB193_71:
	s_or_b64 exec, exec, s[8:9]
	v_mov_b32_e32 v9, s39
	v_subrev_co_u32_e64 v40, s[8:9], s38, v6
	s_and_b64 vcc, exec, s[14:15]
	v_subb_co_u32_e64 v41, s[8:9], v7, v9, s[8:9]
	s_barrier
	s_cbranch_vccnz .LBB193_76
; %bb.72:
	flat_load_dwordx4 v[12:15], v[40:41]
	s_lshl_b32 s8, s28, 3
	s_ashr_i32 s9, s8, 31
	v_mad_u32_u24 v9, v5, 33, v4
	s_lshl_b64 s[8:9], s[8:9], 4
	v_lshlrev_b32_e32 v20, 4, v9
	v_mov_b32_e32 v7, s9
	v_add_co_u32_e32 v6, vcc, s8, v40
	v_addc_co_u32_e32 v7, vcc, v41, v7, vcc
	s_ashr_i32 s29, s28, 31
	s_lshl_b64 s[8:9], s[28:29], 7
	v_add_u32_e32 v11, 0x1080, v20
	v_mov_b32_e32 v16, s9
	s_waitcnt vmcnt(0) lgkmcnt(0)
	ds_write2_b64 v20, v[12:13], v[14:15] offset1:1
	flat_load_dwordx4 v[12:15], v[6:7]
	v_add_co_u32_e32 v6, vcc, s8, v6
	v_addc_co_u32_e32 v7, vcc, v7, v16, vcc
	s_waitcnt vmcnt(0) lgkmcnt(0)
	ds_write2_b64 v11, v[12:13], v[14:15] offset1:1
	flat_load_dwordx4 v[12:15], v[6:7]
	v_add_u32_e32 v11, 0x2100, v20
	v_add_co_u32_e32 v6, vcc, s8, v6
	v_addc_co_u32_e32 v7, vcc, v7, v16, vcc
	s_waitcnt vmcnt(0) lgkmcnt(0)
	ds_write2_b64 v11, v[12:13], v[14:15] offset1:1
	flat_load_dwordx4 v[16:19], v[6:7]
	v_add_u32_e32 v11, 8, v5
	v_add_u32_e32 v12, 16, v5
	;; [unrolled: 1-line block ×7, first 2 shown]
	s_waitcnt vmcnt(0) lgkmcnt(0)
	ds_write2_b64 v15, v[16:17], v[18:19] offset1:1
	s_cbranch_execz .LBB193_77
	s_branch .LBB193_94
.LBB193_73:
	ds_read_b128 v[14:17], v13
	s_waitcnt lgkmcnt(0)
	ds_write_b128 v10, v[14:17]
	s_or_b64 exec, exec, s[16:17]
	s_and_saveexec_b64 s[16:17], s[8:9]
	s_cbranch_execz .LBB193_66
.LBB193_74:
	ds_read_b128 v[14:17], v12
	s_waitcnt lgkmcnt(0)
	ds_write_b128 v10, v[14:17] offset:16
	s_or_b64 exec, exec, s[16:17]
	s_and_saveexec_b64 s[8:9], s[10:11]
	s_cbranch_execz .LBB193_67
.LBB193_75:
	ds_read_b128 v[14:17], v9
	s_waitcnt lgkmcnt(0)
	ds_write_b128 v10, v[14:17] offset:32
	s_or_b64 exec, exec, s[8:9]
	s_and_saveexec_b64 s[8:9], s[12:13]
	s_cbranch_execnz .LBB193_68
	s_branch .LBB193_69
.LBB193_76:
                                        ; implicit-def: $vgpr9
                                        ; implicit-def: $vgpr11
                                        ; implicit-def: $vgpr7
                                        ; implicit-def: $vgpr12
                                        ; implicit-def: $vgpr6
                                        ; implicit-def: $vgpr13
                                        ; implicit-def: $vgpr14
.LBB193_77:
	v_or_b32_e32 v6, 32, v4
	v_lshlrev_b32_e32 v7, 4, v6
	v_sub_co_u32_e32 v7, vcc, v40, v7
	s_ashr_i32 s25, s24, 31
	v_subbrev_co_u32_e32 v9, vcc, 0, v41, vcc
	s_lshl_b64 s[12:13], s[24:25], 4
	v_mov_b32_e32 v11, s13
	v_add_co_u32_e32 v7, vcc, s12, v7
	v_addc_co_u32_e32 v9, vcc, v9, v11, vcc
	v_add_co_u32_e32 v11, vcc, -16, v7
	v_addc_co_u32_e32 v7, vcc, -1, v9, vcc
	v_cmp_gt_i32_e64 s[8:9], s24, v6
	v_mad_u32_u24 v9, v5, 33, v4
	v_cndmask_b32_e64 v7, v7, v41, s[8:9]
	v_cndmask_b32_e64 v6, v11, v40, s[8:9]
	v_cmp_le_i32_e32 vcc, s24, v5
	v_lshlrev_b32_e32 v15, 4, v9
	s_and_saveexec_b64 s[14:15], vcc
	s_xor_b64 s[14:15], exec, s[14:15]
	s_cbranch_execz .LBB193_79
; %bb.78:
	v_mov_b32_e32 v16, 0
	v_mov_b32_e32 v17, v16
	;; [unrolled: 1-line block ×4, first 2 shown]
	ds_write_b128 v15, v[16:19]
.LBB193_79:
	s_andn2_saveexec_b64 s[14:15], s[14:15]
	s_cbranch_execz .LBB193_81
; %bb.80:
	flat_load_dwordx4 v[16:19], v[6:7]
	s_waitcnt vmcnt(0) lgkmcnt(0)
	ds_write2_b64 v15, v[16:17], v[18:19] offset1:1
.LBB193_81:
	s_or_b64 exec, exec, s[14:15]
	v_add_u32_e32 v11, 8, v5
	v_cmp_le_i32_e32 vcc, s24, v11
	s_and_saveexec_b64 s[14:15], vcc
	s_xor_b64 s[14:15], exec, s[14:15]
	s_cbranch_execz .LBB193_83
; %bb.82:
	v_mul_u32_u24_e32 v12, 33, v11
	v_mov_b32_e32 v16, 0
	v_add_lshl_u32 v12, v12, v4, 4
	v_mov_b32_e32 v17, v16
	v_mov_b32_e32 v18, v16
	;; [unrolled: 1-line block ×3, first 2 shown]
	ds_write_b128 v12, v[16:19]
.LBB193_83:
	s_andn2_saveexec_b64 s[14:15], s[14:15]
	s_cbranch_execz .LBB193_85
; %bb.84:
	s_lshl_b32 s16, s28, 3
	s_ashr_i32 s17, s16, 31
	s_lshl_b64 s[16:17], s[16:17], 4
	v_mov_b32_e32 v13, s17
	v_add_co_u32_e32 v12, vcc, s16, v6
	v_addc_co_u32_e32 v13, vcc, v7, v13, vcc
	flat_load_dwordx4 v[16:19], v[12:13]
	v_add_u32_e32 v12, 0x1080, v15
	s_waitcnt vmcnt(0) lgkmcnt(0)
	ds_write2_b64 v12, v[16:17], v[18:19] offset1:1
.LBB193_85:
	s_or_b64 exec, exec, s[14:15]
	v_add_u32_e32 v12, 16, v5
	v_cmp_le_i32_e32 vcc, s24, v12
	s_and_saveexec_b64 s[14:15], vcc
	s_xor_b64 s[14:15], exec, s[14:15]
	s_cbranch_execz .LBB193_87
; %bb.86:
	v_mul_u32_u24_e32 v13, 33, v12
	v_mov_b32_e32 v16, 0
	v_add_lshl_u32 v13, v13, v4, 4
	v_mov_b32_e32 v17, v16
	v_mov_b32_e32 v18, v16
	;; [unrolled: 1-line block ×3, first 2 shown]
	ds_write_b128 v13, v[16:19]
.LBB193_87:
	s_andn2_saveexec_b64 s[14:15], s[14:15]
	s_cbranch_execz .LBB193_89
; %bb.88:
	s_lshl_b32 s16, s28, 4
	s_ashr_i32 s17, s16, 31
	s_lshl_b64 s[16:17], s[16:17], 4
	v_mov_b32_e32 v13, s17
	v_add_co_u32_e32 v16, vcc, s16, v6
	v_addc_co_u32_e32 v17, vcc, v7, v13, vcc
	flat_load_dwordx4 v[16:19], v[16:17]
	v_add_u32_e32 v13, 0x2100, v15
	s_waitcnt vmcnt(0) lgkmcnt(0)
	ds_write2_b64 v13, v[16:17], v[18:19] offset1:1
.LBB193_89:
	s_or_b64 exec, exec, s[14:15]
	v_add_u32_e32 v13, 24, v5
	v_cmp_le_i32_e32 vcc, s24, v13
                                        ; implicit-def: $vgpr14
	s_and_saveexec_b64 s[14:15], vcc
	s_xor_b64 s[14:15], exec, s[14:15]
	s_cbranch_execz .LBB193_91
; %bb.90:
	v_mad_u32_u24 v14, v13, 33, v4
	v_mov_b32_e32 v16, 0
	v_lshlrev_b32_e32 v15, 4, v14
	v_mov_b32_e32 v17, v16
	v_mov_b32_e32 v18, v16
	;; [unrolled: 1-line block ×3, first 2 shown]
	ds_write_b128 v15, v[16:19]
                                        ; implicit-def: $vgpr15
.LBB193_91:
	s_andn2_saveexec_b64 s[14:15], s[14:15]
	s_cbranch_execz .LBB193_93
; %bb.92:
	s_mul_i32 s16, s28, 24
	s_ashr_i32 s17, s16, 31
	s_lshl_b64 s[16:17], s[16:17], 4
	v_mov_b32_e32 v14, s17
	v_add_co_u32_e32 v16, vcc, s16, v6
	v_addc_co_u32_e32 v17, vcc, v7, v14, vcc
	flat_load_dwordx4 v[16:19], v[16:17]
	v_add_u32_e32 v14, 0x318, v9
	v_add_u32_e32 v15, 0x3180, v15
	s_waitcnt vmcnt(0) lgkmcnt(0)
	ds_write2_b64 v15, v[16:17], v[18:19] offset1:1
.LBB193_93:
	s_or_b64 exec, exec, s[14:15]
	v_lshlrev_b32_e32 v4, 4, v4
	v_add_co_u32_e32 v4, vcc, v6, v4
	v_addc_co_u32_e32 v6, vcc, 0, v7, vcc
	v_mov_b32_e32 v7, s13
	v_subrev_co_u32_e32 v4, vcc, s12, v4
	v_subb_co_u32_e32 v6, vcc, v6, v7, vcc
	v_add_co_u32_e32 v4, vcc, 0x210, v4
	v_addc_co_u32_e32 v6, vcc, 0, v6, vcc
	v_cndmask_b32_e64 v41, v6, v41, s[8:9]
	v_cndmask_b32_e64 v40, v4, v40, s[8:9]
	v_add_u32_e32 v7, 0x108, v9
	v_add_u32_e32 v6, 0x210, v9
.LBB193_94:
	v_lshlrev_b32_e32 v5, 4, v5
	s_waitcnt lgkmcnt(0)
	s_barrier
	v_lshlrev_b32_e32 v4, 4, v9
	ds_read_b128 v[46:49], v5 offset:18176
	ds_read_b128 v[50:53], v4
	v_lshlrev_b32_e32 v5, 4, v11
	v_lshlrev_b32_e32 v4, 4, v7
	ds_read_b128 v[54:57], v5 offset:18176
	ds_read_b128 v[58:61], v4
	v_lshlrev_b32_e32 v7, 4, v12
	;; [unrolled: 4-line block ×3, first 2 shown]
	v_lshlrev_b32_e32 v6, 4, v14
	ds_read_b128 v[70:73], v7 offset:18176
	ds_read_b128 v[74:77], v6
	s_waitcnt lgkmcnt(6)
	v_mul_f64 v[4:5], v[48:49], v[52:53]
	v_fma_f64 v[4:5], v[46:47], v[50:51], -v[4:5]
	s_waitcnt lgkmcnt(4)
	v_mul_f64 v[16:17], v[56:57], v[60:61]
	v_add_f64 v[4:5], v[4:5], 0
	v_fma_f64 v[16:17], v[54:55], v[58:59], -v[16:17]
	s_waitcnt lgkmcnt(2)
	v_mul_f64 v[6:7], v[64:65], v[68:69]
	v_add_f64 v[4:5], v[4:5], v[16:17]
	v_fma_f64 v[6:7], v[62:63], v[66:67], -v[6:7]
	v_add_f64 v[4:5], v[4:5], v[6:7]
	s_waitcnt lgkmcnt(0)
	v_mul_f64 v[6:7], v[72:73], v[76:77]
	v_fma_f64 v[6:7], v[70:71], v[74:75], -v[6:7]
	v_add_f64 v[78:79], v[4:5], v[6:7]
	ds_read_b128 v[28:31], v10
	ds_read_b128 v[20:23], v10 offset:16
	ds_read_b128 v[12:15], v10 offset:32
	ds_read_b128 v[4:7], v10 offset:48
	ds_read_b128 v[32:35], v8 offset:512
	ds_read_b128 v[24:27], v8 offset:528
	ds_read_b128 v[16:19], v8 offset:544
	ds_read_b128 v[8:11], v8 offset:560
	v_mul_f64 v[46:47], v[46:47], v[52:53]
	v_fmac_f64_e32 v[46:47], v[48:49], v[50:51]
	v_mul_f64 v[48:49], v[54:55], v[60:61]
	v_add_f64 v[46:47], v[46:47], 0
	v_fmac_f64_e32 v[48:49], v[56:57], v[58:59]
	v_add_f64 v[46:47], v[46:47], v[48:49]
	v_mul_f64 v[48:49], v[62:63], v[68:69]
	v_fmac_f64_e32 v[48:49], v[64:65], v[66:67]
	v_add_f64 v[46:47], v[46:47], v[48:49]
	v_mul_f64 v[48:49], v[70:71], v[76:77]
	v_fmac_f64_e32 v[48:49], v[72:73], v[74:75]
	v_add_f64 v[80:81], v[46:47], v[48:49]
	s_waitcnt lgkmcnt(0)
	s_barrier
	ds_write_b128 v45, v[78:81]
	s_waitcnt lgkmcnt(0)
	s_barrier
	s_and_saveexec_b64 s[8:9], s[10:11]
	s_cbranch_execz .LBB193_96
; %bb.95:
	v_lshlrev_b32_e32 v62, 4, v44
	ds_read_b128 v[46:49], v62
	ds_read_b128 v[50:53], v62 offset:16
	ds_read_b128 v[54:57], v62 offset:32
	;; [unrolled: 1-line block ×3, first 2 shown]
	s_waitcnt lgkmcnt(3)
	v_add_f64 v[0:1], v[0:1], v[46:47]
	v_add_f64 v[2:3], v[2:3], v[48:49]
	s_waitcnt lgkmcnt(2)
	v_add_f64 v[0:1], v[0:1], v[50:51]
	v_add_f64 v[46:47], v[2:3], v[52:53]
	s_waitcnt lgkmcnt(1)
	v_add_f64 v[48:49], v[0:1], v[54:55]
	ds_read_b128 v[0:3], v62 offset:64
	v_add_f64 v[46:47], v[46:47], v[56:57]
	s_waitcnt lgkmcnt(1)
	v_add_f64 v[50:51], v[48:49], v[58:59]
	v_add_f64 v[54:55], v[46:47], v[60:61]
	ds_read_b128 v[46:49], v62 offset:80
	s_waitcnt lgkmcnt(1)
	v_add_f64 v[56:57], v[50:51], v[0:1]
	ds_read_b128 v[50:53], v62 offset:96
	v_add_f64 v[54:55], v[54:55], v[2:3]
	ds_read_b128 v[0:3], v62 offset:112
	s_waitcnt lgkmcnt(2)
	v_add_f64 v[46:47], v[56:57], v[46:47]
	v_add_f64 v[48:49], v[54:55], v[48:49]
	s_waitcnt lgkmcnt(1)
	v_add_f64 v[46:47], v[46:47], v[50:51]
	v_add_f64 v[48:49], v[48:49], v[52:53]
	s_waitcnt lgkmcnt(0)
	v_add_f64 v[0:1], v[46:47], v[0:1]
	v_add_f64 v[2:3], v[48:49], v[2:3]
.LBB193_96:
	s_or_b64 exec, exec, s[8:9]
	v_mul_f64 v[46:47], v[30:31], v[34:35]
	v_fma_f64 v[46:47], v[28:29], v[32:33], -v[46:47]
	v_mul_f64 v[28:29], v[28:29], v[34:35]
	v_fmac_f64_e32 v[28:29], v[30:31], v[32:33]
	v_mul_f64 v[32:33], v[22:23], v[26:27]
	v_fma_f64 v[32:33], v[20:21], v[24:25], -v[32:33]
	v_mul_f64 v[20:21], v[20:21], v[26:27]
	v_fmac_f64_e32 v[20:21], v[22:23], v[24:25]
	v_mul_f64 v[24:25], v[14:15], v[18:19]
	v_add_f64 v[30:31], v[46:47], 0
	v_add_f64 v[28:29], v[28:29], 0
	v_fma_f64 v[24:25], v[12:13], v[16:17], -v[24:25]
	v_mul_f64 v[12:13], v[12:13], v[18:19]
	v_add_f64 v[22:23], v[30:31], v[32:33]
	v_add_f64 v[20:21], v[28:29], v[20:21]
	v_fmac_f64_e32 v[12:13], v[14:15], v[16:17]
	v_mul_f64 v[16:17], v[6:7], v[10:11]
	v_mul_f64 v[10:11], v[4:5], v[10:11]
	v_add_f64 v[14:15], v[22:23], v[24:25]
	v_add_f64 v[12:13], v[20:21], v[12:13]
	v_fma_f64 v[16:17], v[4:5], v[8:9], -v[16:17]
	v_fmac_f64_e32 v[10:11], v[6:7], v[8:9]
	v_add_f64 v[4:5], v[14:15], v[16:17]
	v_add_f64 v[6:7], v[12:13], v[10:11]
	s_barrier
	ds_write_b128 v45, v[4:7]
	s_waitcnt lgkmcnt(0)
	s_barrier
	s_and_saveexec_b64 s[8:9], s[4:5]
	s_cbranch_execz .LBB193_98
; %bb.97:
	v_lshlrev_b32_e32 v20, 4, v44
	ds_read_b128 v[4:7], v20
	ds_read_b128 v[8:11], v20 offset:16
	ds_read_b128 v[12:15], v20 offset:32
	;; [unrolled: 1-line block ×3, first 2 shown]
	s_waitcnt lgkmcnt(3)
	v_add_f64 v[0:1], v[0:1], v[4:5]
	v_add_f64 v[2:3], v[2:3], v[6:7]
	s_waitcnt lgkmcnt(2)
	v_add_f64 v[0:1], v[0:1], v[8:9]
	v_add_f64 v[4:5], v[2:3], v[10:11]
	s_waitcnt lgkmcnt(1)
	v_add_f64 v[6:7], v[0:1], v[12:13]
	ds_read_b128 v[0:3], v20 offset:64
	v_add_f64 v[4:5], v[4:5], v[14:15]
	s_waitcnt lgkmcnt(1)
	v_add_f64 v[8:9], v[6:7], v[16:17]
	v_add_f64 v[12:13], v[4:5], v[18:19]
	ds_read_b128 v[4:7], v20 offset:80
	s_waitcnt lgkmcnt(1)
	v_add_f64 v[14:15], v[8:9], v[0:1]
	ds_read_b128 v[8:11], v20 offset:96
	v_add_f64 v[12:13], v[12:13], v[2:3]
	ds_read_b128 v[0:3], v20 offset:112
	s_waitcnt lgkmcnt(2)
	v_add_f64 v[4:5], v[14:15], v[4:5]
	v_add_f64 v[6:7], v[12:13], v[6:7]
	s_waitcnt lgkmcnt(1)
	v_add_f64 v[4:5], v[4:5], v[8:9]
	v_add_f64 v[6:7], v[6:7], v[10:11]
	;; [unrolled: 3-line block ×3, first 2 shown]
.LBB193_98:
	s_or_b64 exec, exec, s[8:9]
	s_mul_hi_u32 s4, s21, s20
	s_mul_i32 s42, s42, s20
	s_add_i32 s4, s4, s42
	s_mul_i32 s8, s21, s20
	s_mul_i32 s4, s4, s33
	s_mul_hi_u32 s5, s8, s33
	s_add_i32 s5, s5, s4
	s_mul_i32 s4, s8, s33
	s_lshl_b64 s[4:5], s[4:5], 4
	s_add_u32 s8, s22, s4
	s_mul_i32 s4, s6, s21
	s_addc_u32 s9, s23, s5
	s_ashr_i32 s5, s4, 31
	s_lshl_b64 s[4:5], s[4:5], 4
	s_add_u32 s16, s8, s4
	v_cmp_le_i32_e32 vcc, s24, v42
	s_addc_u32 s17, s9, s5
	s_and_b64 vcc, s[34:35], vcc
	s_cmp_lt_i32 s6, 1
	v_lshlrev_b32_e32 v154, 4, v42
	s_barrier
	s_cbranch_scc1 .LBB193_105
; %bb.99:
	s_mul_i32 s4, s26, s7
	s_ashr_i32 s5, s4, 31
	s_lshl_b64 s[4:5], s[4:5], 4
	v_mov_b32_e32 v4, s5
	v_subrev_co_u32_e64 v155, s[4:5], s4, v36
	v_subb_co_u32_e64 v156, s[4:5], v37, v4, s[4:5]
	v_mov_b32_e32 v4, s31
	v_subrev_co_u32_e64 v5, s[4:5], s30, v40
	v_subb_co_u32_e64 v4, s[4:5], v41, v4, s[4:5]
	v_sub_co_u32_e64 v7, s[4:5], v5, v38
	v_subb_co_u32_e64 v8, s[4:5], v4, v39, s[4:5]
	v_mul_lo_u32 v4, v149, s28
	v_lshl_add_u32 v4, v4, 2, v42
	v_ashrrev_i32_e32 v5, 31, v4
	v_lshlrev_b64 v[4:5], 4, v[4:5]
	v_add_co_u32_e64 v4, s[4:5], v7, v4
	v_addc_co_u32_e64 v5, s[4:5], v8, v5, s[4:5]
	s_movk_i32 s4, 0xfe00
	v_add_co_u32_e64 v4, s[4:5], s4, v4
	v_addc_co_u32_e64 v5, s[4:5], -1, v5, s[4:5]
	v_sub_co_u32_e64 v7, s[4:5], v4, v154
	v_subbrev_co_u32_e64 v8, s[4:5], 0, v5, s[4:5]
	s_ashr_i32 s25, s24, 31
	s_lshl_b64 s[4:5], s[24:25], 4
	v_mov_b32_e32 v9, s5
	v_add_co_u32_e64 v7, s[4:5], s4, v7
	v_addc_co_u32_e64 v8, s[4:5], v8, v9, s[4:5]
	v_add_co_u32_e64 v7, s[4:5], -16, v7
	v_addc_co_u32_e64 v8, s[4:5], -1, v8, s[4:5]
	v_cndmask_b32_e32 v9, v5, v8, vcc
	v_cndmask_b32_e32 v8, v4, v7, vcc
	v_and_b32_e32 v4, 48, v42
	v_and_b32_e32 v6, 15, v42
	v_lshlrev_b32_e32 v5, 4, v4
	s_movk_i32 s8, 0x430
	v_mad_u32_u24 v159, v6, s8, v5
	v_or_b32_e32 v5, 0xf0, v154
	v_mad_u32_u24 v160, v6, s8, v5
	v_lshlrev_b32_e32 v5, 2, v43
	v_and_b32_e32 v5, 0x7ffc0, v5
	v_mad_u32_u24 v161, v6, s8, v5
	s_ashr_i32 s29, s28, 31
	v_mov_b32_e32 v5, 0x4300
	v_lshl_add_u32 v162, v149, 6, v5
	s_movk_i32 s9, 0x10c0
	v_and_b32_e32 v5, 0x1fff0, v43
	s_lshl_b64 s[10:11], s[28:29], 4
	s_mul_hi_i32 s18, s28, 0xd0
	v_mov_b32_e32 v151, 0
	s_lshl_b32 s7, s7, 6
	v_add_u32_e32 v157, 0x4300, v154
	v_add_u32_e32 v158, 0x4700, v154
	v_cmp_gt_u32_e64 s[4:5], 64, v43
	v_mad_u32_u24 v163, v149, s9, v154
	v_mad_u32_u24 v164, v6, s8, v5
	s_mul_i32 s19, s28, 0xd0
	v_or_b32_e32 v150, v4, v6
	s_mov_b32 s12, 0
	v_mov_b32_e32 v165, s11
	v_mov_b32_e32 v166, s18
	s_branch .LBB193_101
.LBB193_100:                            ;   in Loop: Header=BB193_101 Depth=1
	s_or_b64 exec, exec, s[14:15]
	v_mul_f64 v[132:133], v[6:7], v[22:23]
	v_fma_f64 v[132:133], v[4:5], v[20:21], -v[132:133]
	v_mul_f64 v[4:5], v[4:5], v[22:23]
	v_mul_f64 v[22:23], v[10:11], v[42:43]
	v_add_f64 v[0:1], v[0:1], v[132:133]
	v_fma_f64 v[22:23], v[8:9], v[40:41], -v[22:23]
	v_add_f64 v[0:1], v[0:1], v[22:23]
	v_mul_f64 v[22:23], v[14:15], v[46:47]
	v_fma_f64 v[22:23], v[12:13], v[44:45], -v[22:23]
	v_add_f64 v[0:1], v[0:1], v[22:23]
	v_mul_f64 v[22:23], v[18:19], v[50:51]
	v_fmac_f64_e32 v[4:5], v[6:7], v[20:21]
	v_fma_f64 v[22:23], v[16:17], v[48:49], -v[22:23]
	v_add_f64 v[2:3], v[2:3], v[4:5]
	v_mul_f64 v[4:5], v[26:27], v[70:71]
	v_add_f64 v[0:1], v[0:1], v[22:23]
	v_fma_f64 v[4:5], v[24:25], v[68:69], -v[4:5]
	v_add_f64 v[0:1], v[0:1], v[4:5]
	v_mul_f64 v[4:5], v[34:35], v[82:83]
	v_fma_f64 v[4:5], v[32:33], v[80:81], -v[4:5]
	v_add_f64 v[0:1], v[0:1], v[4:5]
	v_mul_f64 v[4:5], v[30:31], v[78:79]
	;; [unrolled: 3-line block ×4, first 2 shown]
	v_mul_f64 v[8:9], v[8:9], v[42:43]
	v_fma_f64 v[4:5], v[52:53], v[100:101], -v[4:5]
	v_mul_f64 v[12:13], v[12:13], v[46:47]
	v_fmac_f64_e32 v[8:9], v[10:11], v[40:41]
	v_add_f64 v[0:1], v[0:1], v[4:5]
	v_mul_f64 v[4:5], v[62:63], v[118:119]
	v_mul_f64 v[16:17], v[16:17], v[50:51]
	v_add_f64 v[2:3], v[2:3], v[8:9]
	v_fmac_f64_e32 v[12:13], v[14:15], v[44:45]
	v_fma_f64 v[4:5], v[60:61], v[116:117], -v[4:5]
	v_add_f64 v[2:3], v[2:3], v[12:13]
	v_fmac_f64_e32 v[16:17], v[18:19], v[48:49]
	v_mul_f64 v[6:7], v[24:25], v[70:71]
	v_add_f64 v[0:1], v[0:1], v[4:5]
	v_mul_f64 v[4:5], v[58:59], v[114:115]
	v_add_f64 v[2:3], v[2:3], v[16:17]
	v_mul_f64 v[8:9], v[32:33], v[82:83]
	v_fmac_f64_e32 v[6:7], v[26:27], v[68:69]
	v_fma_f64 v[4:5], v[56:57], v[112:113], -v[4:5]
	v_mul_f64 v[10:11], v[28:29], v[78:79]
	v_add_f64 v[2:3], v[2:3], v[6:7]
	v_fmac_f64_e32 v[8:9], v[34:35], v[80:81]
	v_add_f64 v[0:1], v[0:1], v[4:5]
	v_mul_f64 v[4:5], v[66:67], v[110:111]
	v_mul_f64 v[12:13], v[36:37], v[74:75]
	v_add_f64 v[2:3], v[2:3], v[8:9]
	v_fmac_f64_e32 v[10:11], v[30:31], v[76:77]
	v_fma_f64 v[4:5], v[64:65], v[108:109], -v[4:5]
	v_add_f64 v[2:3], v[2:3], v[10:11]
	v_fmac_f64_e32 v[12:13], v[38:39], v[72:73]
	v_mul_f64 v[6:7], v[52:53], v[102:103]
	v_add_f64 v[0:1], v[0:1], v[4:5]
	v_mul_f64 v[4:5], v[90:91], v[106:107]
	v_add_f64 v[2:3], v[2:3], v[12:13]
	v_mul_f64 v[8:9], v[60:61], v[118:119]
	v_fmac_f64_e32 v[6:7], v[54:55], v[100:101]
	v_fma_f64 v[4:5], v[88:89], v[104:105], -v[4:5]
	v_mul_f64 v[10:11], v[56:57], v[114:115]
	v_add_f64 v[2:3], v[2:3], v[6:7]
	v_fmac_f64_e32 v[8:9], v[62:63], v[116:117]
	v_add_f64 v[0:1], v[0:1], v[4:5]
	v_mul_f64 v[4:5], v[94:95], v[122:123]
	v_mul_f64 v[12:13], v[64:65], v[110:111]
	v_add_f64 v[2:3], v[2:3], v[8:9]
	v_fmac_f64_e32 v[10:11], v[58:59], v[112:113]
	v_fma_f64 v[4:5], v[92:93], v[120:121], -v[4:5]
	v_add_f64 v[2:3], v[2:3], v[10:11]
	v_fmac_f64_e32 v[12:13], v[66:67], v[108:109]
	v_mul_f64 v[6:7], v[88:89], v[106:107]
	v_add_f64 v[0:1], v[0:1], v[4:5]
	v_mul_f64 v[4:5], v[86:87], v[126:127]
	v_add_f64 v[2:3], v[2:3], v[12:13]
	v_mul_f64 v[8:9], v[92:93], v[122:123]
	v_fma_f64 v[4:5], v[84:85], v[124:125], -v[4:5]
	v_fmac_f64_e32 v[6:7], v[90:91], v[104:105]
	v_mul_f64 v[10:11], v[84:85], v[126:127]
	v_add_f64 v[0:1], v[0:1], v[4:5]
	v_mul_f64 v[4:5], v[98:99], v[130:131]
	v_fmac_f64_e32 v[8:9], v[94:95], v[120:121]
	v_add_f64 v[2:3], v[2:3], v[6:7]
	v_fma_f64 v[4:5], v[96:97], v[128:129], -v[4:5]
	v_mul_f64 v[12:13], v[96:97], v[130:131]
	v_fmac_f64_e32 v[10:11], v[86:87], v[124:125]
	v_add_f64 v[2:3], v[2:3], v[8:9]
	v_add_f64 v[0:1], v[0:1], v[4:5]
	v_fmac_f64_e32 v[12:13], v[98:99], v[128:129]
	v_add_f64 v[2:3], v[2:3], v[10:11]
	s_add_i32 s6, s6, -1
	s_add_i32 s12, s12, s7
	v_mov_b32_e32 v4, s18
	v_add_co_u32_e64 v8, s[8:9], s19, v152
	v_add_f64 v[2:3], v[2:3], v[12:13]
	v_add_u32_e32 v150, 64, v150
	s_cmp_eq_u32 s6, 0
	v_addc_co_u32_e64 v9, s[8:9], v153, v4, s[8:9]
	s_barrier
	s_cbranch_scc1 .LBB193_105
.LBB193_101:                            ; =>This Inner Loop Header: Depth=1
	s_and_saveexec_b64 s[14:15], s[2:3]
	s_cbranch_execz .LBB193_103
; %bb.102:                              ;   in Loop: Header=BB193_101 Depth=1
	s_ashr_i32 s13, s12, 31
	s_lshl_b64 s[8:9], s[12:13], 4
	v_mov_b32_e32 v5, s9
	v_add_co_u32_e64 v4, s[8:9], s8, v155
	v_addc_co_u32_e64 v5, s[8:9], v156, v5, s[8:9]
	flat_load_dwordx4 v[4:7], v[4:5]
	s_waitcnt vmcnt(0) lgkmcnt(0)
	ds_write2_b64 v157, v[4:5], v[6:7] offset1:1
.LBB193_103:                            ;   in Loop: Header=BB193_101 Depth=1
	s_or_b64 exec, exec, s[14:15]
	v_add_co_u32_e64 v12, s[8:9], s10, v8
	v_addc_co_u32_e64 v13, s[8:9], v9, v165, s[8:9]
	v_add_co_u32_e64 v16, s[8:9], s10, v12
	s_waitcnt lgkmcnt(0)
	s_barrier
	flat_load_dwordx4 v[4:7], v[8:9]
	v_addc_co_u32_e64 v17, s[8:9], v13, v165, s[8:9]
	flat_load_dwordx4 v[8:11], v[12:13]
	v_add_co_u32_e64 v28, s[8:9], s10, v16
	flat_load_dwordx4 v[12:15], v[16:17]
	v_addc_co_u32_e64 v29, s[8:9], v17, v165, s[8:9]
	flat_load_dwordx4 v[16:19], v[28:29]
	ds_read_b128 v[24:27], v158
	ds_read_b128 v[20:23], v162
	v_add_co_u32_e64 v36, s[8:9], s19, v28
	v_addc_co_u32_e64 v37, s[8:9], v29, v166, s[8:9]
	v_add_co_u32_e64 v38, s[8:9], s10, v36
	v_addc_co_u32_e64 v39, s[8:9], v37, v165, s[8:9]
	;; [unrolled: 2-line block ×3, first 2 shown]
	s_waitcnt vmcnt(0) lgkmcnt(0)
	v_mul_f64 v[28:29], v[6:7], v[26:27]
	v_mul_f64 v[30:31], v[4:5], v[26:27]
	v_fma_f64 v[28:29], v[4:5], v[24:25], -v[28:29]
	v_fmac_f64_e32 v[30:31], v[6:7], v[24:25]
	v_mul_f64 v[34:35], v[10:11], v[26:27]
	v_mul_f64 v[32:33], v[8:9], v[26:27]
	ds_write_b128 v163, v[28:31]
	v_fma_f64 v[30:31], v[8:9], v[24:25], -v[34:35]
	v_fmac_f64_e32 v[32:33], v[10:11], v[24:25]
	v_mul_f64 v[28:29], v[14:15], v[26:27]
	v_mul_f64 v[34:35], v[12:13], v[26:27]
	ds_read_b128 v[40:43], v162 offset:16
	ds_write_b128 v163, v[30:33] offset:1072
	v_fma_f64 v[32:33], v[12:13], v[24:25], -v[28:29]
	v_fmac_f64_e32 v[34:35], v[14:15], v[24:25]
	v_mul_f64 v[30:31], v[18:19], v[26:27]
	v_mul_f64 v[28:29], v[16:17], v[26:27]
	ds_read_b128 v[44:47], v162 offset:32
	ds_write_b128 v163, v[32:35] offset:2144
	v_fma_f64 v[26:27], v[16:17], v[24:25], -v[30:31]
	v_fmac_f64_e32 v[28:29], v[18:19], v[24:25]
	ds_read_b128 v[48:51], v162 offset:48
	ds_write_b128 v163, v[26:29] offset:3216
	s_waitcnt lgkmcnt(0)
	s_barrier
	ds_read_b128 v[128:131], v161
	ds_read_b128 v[124:127], v161 offset:16
	ds_read_b128 v[120:123], v161 offset:32
	;; [unrolled: 1-line block ×3, first 2 shown]
	s_waitcnt lgkmcnt(0)
	s_barrier
	flat_load_dwordx4 v[24:27], v[36:37]
	flat_load_dwordx4 v[32:35], v[38:39]
	;; [unrolled: 1-line block ×3, first 2 shown]
	v_add_co_u32_e64 v52, s[8:9], s10, v52
	v_addc_co_u32_e64 v53, s[8:9], v53, v165, s[8:9]
	flat_load_dwordx4 v[36:39], v[52:53]
	v_add_co_u32_e64 v66, s[8:9], s19, v52
	v_addc_co_u32_e64 v67, s[8:9], v53, v166, s[8:9]
	ds_read_b128 v[52:55], v158
	ds_read_b128 v[68:71], v162 offset:256
	v_add_co_u32_e64 v88, s[8:9], s10, v66
	v_addc_co_u32_e64 v89, s[8:9], v67, v165, s[8:9]
	v_add_co_u32_e64 v90, s[8:9], s10, v88
	v_addc_co_u32_e64 v91, s[8:9], v89, v165, s[8:9]
	v_add_f64 v[128:129], v[128:129], 0
	v_add_f64 v[130:131], v[130:131], 0
	;; [unrolled: 1-line block ×7, first 2 shown]
	s_waitcnt vmcnt(0) lgkmcnt(0)
	v_mul_f64 v[58:59], v[26:27], v[54:55]
	v_mul_f64 v[56:57], v[24:25], v[54:55]
	;; [unrolled: 1-line block ×6, first 2 shown]
	v_fmac_f64_e32 v[56:57], v[26:27], v[52:53]
	v_mul_f64 v[74:75], v[38:39], v[54:55]
	v_mul_f64 v[86:87], v[36:37], v[54:55]
	v_fma_f64 v[54:55], v[24:25], v[52:53], -v[58:59]
	v_fma_f64 v[58:59], v[32:33], v[52:53], -v[62:63]
	v_fmac_f64_e32 v[60:61], v[34:35], v[52:53]
	ds_write_b128 v163, v[54:57]
	v_fma_f64 v[62:63], v[28:29], v[52:53], -v[72:73]
	v_fmac_f64_e32 v[64:65], v[30:31], v[52:53]
	ds_read_b128 v[80:83], v162 offset:272
	ds_write_b128 v163, v[58:61] offset:1072
	v_fma_f64 v[84:85], v[36:37], v[52:53], -v[74:75]
	v_fmac_f64_e32 v[86:87], v[38:39], v[52:53]
	ds_read_b128 v[76:79], v162 offset:288
	ds_write_b128 v163, v[62:65] offset:2144
	ds_read_b128 v[72:75], v162 offset:304
	ds_write_b128 v163, v[84:87] offset:3216
	v_add_co_u32_e64 v84, s[8:9], s10, v90
	v_addc_co_u32_e64 v85, s[8:9], v91, v165, s[8:9]
	s_waitcnt lgkmcnt(0)
	s_barrier
	ds_read_b128 v[144:147], v161
	ds_read_b128 v[140:143], v161 offset:16
	ds_read_b128 v[136:139], v161 offset:32
	;; [unrolled: 1-line block ×3, first 2 shown]
	s_waitcnt lgkmcnt(0)
	s_barrier
	flat_load_dwordx4 v[52:55], v[66:67]
	flat_load_dwordx4 v[60:63], v[88:89]
	;; [unrolled: 1-line block ×3, first 2 shown]
	v_add_co_u32_e64 v98, s[8:9], s19, v84
	flat_load_dwordx4 v[64:67], v[84:85]
	v_addc_co_u32_e64 v99, s[8:9], v85, v166, s[8:9]
	ds_read_b128 v[84:87], v158
	ds_read_b128 v[100:103], v162 offset:512
	v_add_co_u32_e64 v152, s[8:9], s10, v98
	v_addc_co_u32_e64 v153, s[8:9], v99, v165, s[8:9]
	v_add_co_u32_e64 v184, s[8:9], s10, v152
	v_addc_co_u32_e64 v185, s[8:9], v153, v165, s[8:9]
	v_add_f64 v[106:107], v[146:147], 0
	v_add_f64 v[106:107], v[106:107], v[142:143]
	;; [unrolled: 1-line block ×4, first 2 shown]
	s_waitcnt vmcnt(0) lgkmcnt(0)
	v_mul_f64 v[90:91], v[54:55], v[86:87]
	v_mul_f64 v[88:89], v[52:53], v[86:87]
	;; [unrolled: 1-line block ×8, first 2 shown]
	v_fma_f64 v[86:87], v[52:53], v[84:85], -v[90:91]
	v_fmac_f64_e32 v[88:89], v[54:55], v[84:85]
	v_fma_f64 v[90:91], v[60:61], v[84:85], -v[94:95]
	v_fmac_f64_e32 v[92:93], v[62:63], v[84:85]
	ds_write_b128 v163, v[86:89]
	v_fma_f64 v[94:95], v[56:57], v[84:85], -v[108:109]
	v_fmac_f64_e32 v[96:97], v[58:59], v[84:85]
	ds_read_b128 v[116:119], v162 offset:528
	ds_write_b128 v163, v[90:93] offset:1072
	v_fma_f64 v[168:169], v[64:65], v[84:85], -v[110:111]
	v_fmac_f64_e32 v[170:171], v[66:67], v[84:85]
	ds_read_b128 v[112:115], v162 offset:544
	ds_write_b128 v163, v[94:97] offset:2144
	ds_read_b128 v[108:111], v162 offset:560
	ds_write_b128 v163, v[168:171] offset:3216
	s_waitcnt lgkmcnt(0)
	s_barrier
	ds_read_b128 v[168:171], v161
	ds_read_b128 v[172:175], v161 offset:16
	ds_read_b128 v[176:179], v161 offset:32
	;; [unrolled: 1-line block ×3, first 2 shown]
	s_waitcnt lgkmcnt(0)
	s_barrier
	flat_load_dwordx4 v[88:91], v[98:99]
	flat_load_dwordx4 v[92:95], v[152:153]
	;; [unrolled: 1-line block ×3, first 2 shown]
	v_add_co_u32_e64 v152, s[8:9], s10, v184
	v_addc_co_u32_e64 v153, s[8:9], v185, v165, s[8:9]
	flat_load_dwordx4 v[96:99], v[152:153]
	v_add_f64 v[184:185], v[120:121], v[104:105]
	v_add_f64 v[104:105], v[144:145], 0
	;; [unrolled: 1-line block ×5, first 2 shown]
	ds_read_b128 v[120:123], v158
	ds_read_b128 v[104:107], v162 offset:768
	v_add_f64 v[124:125], v[168:169], 0
	v_add_f64 v[126:127], v[170:171], 0
	;; [unrolled: 1-line block ×8, first 2 shown]
	s_waitcnt vmcnt(0) lgkmcnt(0)
	v_mul_f64 v[126:127], v[90:91], v[122:123]
	v_mul_f64 v[124:125], v[88:89], v[122:123]
	;; [unrolled: 1-line block ×6, first 2 shown]
	v_fmac_f64_e32 v[124:125], v[90:91], v[120:121]
	v_mul_f64 v[144:145], v[98:99], v[122:123]
	v_mul_f64 v[146:147], v[96:97], v[122:123]
	v_fma_f64 v[122:123], v[88:89], v[120:121], -v[126:127]
	v_fma_f64 v[126:127], v[92:93], v[120:121], -v[130:131]
	v_fmac_f64_e32 v[128:129], v[94:95], v[120:121]
	ds_write_b128 v163, v[122:125]
	v_fma_f64 v[140:141], v[84:85], v[120:121], -v[140:141]
	v_fma_f64 v[144:145], v[96:97], v[120:121], -v[144:145]
	v_fmac_f64_e32 v[142:143], v[86:87], v[120:121]
	v_fmac_f64_e32 v[146:147], v[98:99], v[120:121]
	ds_read_b128 v[120:123], v162 offset:784
	ds_write_b128 v163, v[126:129] offset:1072
	ds_read_b128 v[124:127], v162 offset:800
	ds_write_b128 v163, v[140:143] offset:2144
	;; [unrolled: 2-line block ×3, first 2 shown]
	s_waitcnt lgkmcnt(0)
	s_barrier
	ds_read_b128 v[140:143], v161
	ds_read_b128 v[144:147], v161 offset:16
	ds_read_b128 v[168:171], v161 offset:32
	;; [unrolled: 1-line block ×3, first 2 shown]
	s_waitcnt lgkmcnt(0)
	s_barrier
	ds_write_b128 v164, v[184:187]
	ds_write_b128 v164, v[132:135] offset:256
	ds_write_b128 v164, v[136:139] offset:512
	v_add_f64 v[132:133], v[140:141], 0
	v_add_f64 v[134:135], v[142:143], 0
	;; [unrolled: 1-line block ×8, first 2 shown]
	ds_write_b128 v164, v[132:135] offset:768
	s_waitcnt lgkmcnt(0)
	s_barrier
	s_and_saveexec_b64 s[14:15], s[4:5]
	s_cbranch_execz .LBB193_100
; %bb.104:                              ;   in Loop: Header=BB193_101 Depth=1
	ds_read_b128 v[132:135], v159
	ds_read_b128 v[136:139], v159 offset:16
	ds_read_b128 v[140:143], v159 offset:32
	;; [unrolled: 1-line block ×3, first 2 shown]
	s_waitcnt lgkmcnt(2)
	v_add_f64 v[132:133], v[136:137], v[132:133]
	v_add_f64 v[136:137], v[138:139], v[134:135]
	s_waitcnt lgkmcnt(1)
	v_add_f64 v[138:139], v[132:133], v[140:141]
	ds_read_b128 v[132:135], v159 offset:64
	v_add_f64 v[140:141], v[136:137], v[142:143]
	s_waitcnt lgkmcnt(1)
	v_add_f64 v[142:143], v[138:139], v[144:145]
	ds_read_b128 v[136:139], v159 offset:80
	;; [unrolled: 4-line block ×9, first 2 shown]
	v_add_f64 v[134:135], v[144:145], v[134:135]
	s_waitcnt lgkmcnt(1)
	v_add_f64 v[136:137], v[132:133], v[136:137]
	v_add_f64 v[144:145], v[134:135], v[138:139]
	ds_read_b128 v[132:135], v159 offset:208
	s_waitcnt lgkmcnt(1)
	v_add_f64 v[146:147], v[136:137], v[140:141]
	ds_read_b128 v[136:139], v159 offset:224
	v_add_f64 v[144:145], v[144:145], v[142:143]
	ds_read_b128 v[140:143], v160
	s_waitcnt lgkmcnt(2)
	v_add_f64 v[132:133], v[146:147], v[132:133]
	v_add_f64 v[134:135], v[144:145], v[134:135]
	s_waitcnt lgkmcnt(1)
	v_add_f64 v[132:133], v[132:133], v[136:137]
	v_lshlrev_b64 v[136:137], 4, v[150:151]
	v_add_f64 v[134:135], v[134:135], v[138:139]
	v_mov_b32_e32 v138, s17
	v_add_co_u32_e64 v136, s[8:9], s16, v136
	s_waitcnt lgkmcnt(0)
	v_add_f64 v[132:133], v[132:133], v[140:141]
	v_add_f64 v[134:135], v[134:135], v[142:143]
	v_addc_co_u32_e64 v137, s[8:9], v138, v137, s[8:9]
	global_store_dwordx4 v[136:137], v[132:135], off
	s_branch .LBB193_100
.LBB193_105:
	s_movk_i32 s2, 0x430
	s_or_b64 s[0:1], s[0:1], vcc
	v_mad_u32_u24 v4, v149, s2, v154
	s_xor_b64 s[0:1], s[0:1], -1
	ds_write_b128 v4, v[0:3]
	s_waitcnt lgkmcnt(0)
	s_barrier
	s_and_saveexec_b64 s[2:3], s[0:1]
	s_cbranch_execz .LBB193_107
; %bb.106:
	ds_read_b128 v[0:3], v154 offset:1072
	ds_read_b128 v[4:7], v154
	ds_read_b128 v[8:11], v154 offset:2144
	ds_read_b128 v[12:15], v154 offset:3216
	v_ashrrev_i32_e32 v149, 31, v148
	s_waitcnt lgkmcnt(2)
	v_add_f64 v[0:1], v[0:1], v[4:5]
	v_add_f64 v[2:3], v[2:3], v[6:7]
	v_lshlrev_b64 v[4:5], 4, v[148:149]
	s_waitcnt lgkmcnt(1)
	v_add_f64 v[0:1], v[0:1], v[8:9]
	v_add_f64 v[2:3], v[2:3], v[10:11]
	v_mov_b32_e32 v6, s17
	v_add_co_u32_e32 v4, vcc, s16, v4
	s_waitcnt lgkmcnt(0)
	v_add_f64 v[0:1], v[0:1], v[12:13]
	v_add_f64 v[2:3], v[2:3], v[14:15]
	v_addc_co_u32_e32 v5, vcc, v6, v5, vcc
	global_store_dwordx4 v[4:5], v[0:3], off
.LBB193_107:
	s_endpgm
	.section	.rodata,"a",@progbits
	.p2align	6, 0x0
	.amdhsa_kernel _ZL26rocblas_hemvn_kernel_lowerILb0ELi64ELi4ELi33ELi32ELi16EiPK19rocblas_complex_numIdEPKS3_PS1_EviT6_lT7_lT5_lS8_lS9_lS7_lT8_i
		.amdhsa_group_segment_fixed_size 19200
		.amdhsa_private_segment_fixed_size 0
		.amdhsa_kernarg_size 376
		.amdhsa_user_sgpr_count 6
		.amdhsa_user_sgpr_private_segment_buffer 1
		.amdhsa_user_sgpr_dispatch_ptr 0
		.amdhsa_user_sgpr_queue_ptr 0
		.amdhsa_user_sgpr_kernarg_segment_ptr 1
		.amdhsa_user_sgpr_dispatch_id 0
		.amdhsa_user_sgpr_flat_scratch_init 0
		.amdhsa_user_sgpr_kernarg_preload_length 0
		.amdhsa_user_sgpr_kernarg_preload_offset 0
		.amdhsa_user_sgpr_private_segment_size 0
		.amdhsa_uses_dynamic_stack 0
		.amdhsa_system_sgpr_private_segment_wavefront_offset 0
		.amdhsa_system_sgpr_workgroup_id_x 1
		.amdhsa_system_sgpr_workgroup_id_y 0
		.amdhsa_system_sgpr_workgroup_id_z 1
		.amdhsa_system_sgpr_workgroup_info 0
		.amdhsa_system_vgpr_workitem_id 1
		.amdhsa_next_free_vgpr 188
		.amdhsa_next_free_sgpr 46
		.amdhsa_accum_offset 188
		.amdhsa_reserve_vcc 1
		.amdhsa_reserve_flat_scratch 0
		.amdhsa_float_round_mode_32 0
		.amdhsa_float_round_mode_16_64 0
		.amdhsa_float_denorm_mode_32 3
		.amdhsa_float_denorm_mode_16_64 3
		.amdhsa_dx10_clamp 1
		.amdhsa_ieee_mode 1
		.amdhsa_fp16_overflow 0
		.amdhsa_tg_split 0
		.amdhsa_exception_fp_ieee_invalid_op 0
		.amdhsa_exception_fp_denorm_src 0
		.amdhsa_exception_fp_ieee_div_zero 0
		.amdhsa_exception_fp_ieee_overflow 0
		.amdhsa_exception_fp_ieee_underflow 0
		.amdhsa_exception_fp_ieee_inexact 0
		.amdhsa_exception_int_div_zero 0
	.end_amdhsa_kernel
	.section	.text._ZL26rocblas_hemvn_kernel_lowerILb0ELi64ELi4ELi33ELi32ELi16EiPK19rocblas_complex_numIdEPKS3_PS1_EviT6_lT7_lT5_lS8_lS9_lS7_lT8_i,"axG",@progbits,_ZL26rocblas_hemvn_kernel_lowerILb0ELi64ELi4ELi33ELi32ELi16EiPK19rocblas_complex_numIdEPKS3_PS1_EviT6_lT7_lT5_lS8_lS9_lS7_lT8_i,comdat
.Lfunc_end193:
	.size	_ZL26rocblas_hemvn_kernel_lowerILb0ELi64ELi4ELi33ELi32ELi16EiPK19rocblas_complex_numIdEPKS3_PS1_EviT6_lT7_lT5_lS8_lS9_lS7_lT8_i, .Lfunc_end193-_ZL26rocblas_hemvn_kernel_lowerILb0ELi64ELi4ELi33ELi32ELi16EiPK19rocblas_complex_numIdEPKS3_PS1_EviT6_lT7_lT5_lS8_lS9_lS7_lT8_i
                                        ; -- End function
	.section	.AMDGPU.csdata,"",@progbits
; Kernel info:
; codeLenInByte = 9252
; NumSgprs: 50
; NumVgprs: 188
; NumAgprs: 0
; TotalNumVgprs: 188
; ScratchSize: 0
; MemoryBound: 0
; FloatMode: 240
; IeeeMode: 1
; LDSByteSize: 19200 bytes/workgroup (compile time only)
; SGPRBlocks: 6
; VGPRBlocks: 23
; NumSGPRsForWavesPerEU: 50
; NumVGPRsForWavesPerEU: 188
; AccumOffset: 188
; Occupancy: 2
; WaveLimiterHint : 1
; COMPUTE_PGM_RSRC2:SCRATCH_EN: 0
; COMPUTE_PGM_RSRC2:USER_SGPR: 6
; COMPUTE_PGM_RSRC2:TRAP_HANDLER: 0
; COMPUTE_PGM_RSRC2:TGID_X_EN: 1
; COMPUTE_PGM_RSRC2:TGID_Y_EN: 0
; COMPUTE_PGM_RSRC2:TGID_Z_EN: 1
; COMPUTE_PGM_RSRC2:TIDIG_COMP_CNT: 1
; COMPUTE_PGM_RSRC3_GFX90A:ACCUM_OFFSET: 46
; COMPUTE_PGM_RSRC3_GFX90A:TG_SPLIT: 0
	.section	.text._ZL26rocblas_hemvn_kernel_lowerILb0ELi64ELi4ELi33ELi32ELi16El19rocblas_complex_numIdEPKPKS1_PS1_EviT6_lT7_lT5_lS8_lS9_lS7_lT8_i,"axG",@progbits,_ZL26rocblas_hemvn_kernel_lowerILb0ELi64ELi4ELi33ELi32ELi16El19rocblas_complex_numIdEPKPKS1_PS1_EviT6_lT7_lT5_lS8_lS9_lS7_lT8_i,comdat
	.globl	_ZL26rocblas_hemvn_kernel_lowerILb0ELi64ELi4ELi33ELi32ELi16El19rocblas_complex_numIdEPKPKS1_PS1_EviT6_lT7_lT5_lS8_lS9_lS7_lT8_i ; -- Begin function _ZL26rocblas_hemvn_kernel_lowerILb0ELi64ELi4ELi33ELi32ELi16El19rocblas_complex_numIdEPKPKS1_PS1_EviT6_lT7_lT5_lS8_lS9_lS7_lT8_i
	.p2align	8
	.type	_ZL26rocblas_hemvn_kernel_lowerILb0ELi64ELi4ELi33ELi32ELi16El19rocblas_complex_numIdEPKPKS1_PS1_EviT6_lT7_lT5_lS8_lS9_lS7_lT8_i,@function
_ZL26rocblas_hemvn_kernel_lowerILb0ELi64ELi4ELi33ELi32ELi16El19rocblas_complex_numIdEPKPKS1_PS1_EviT6_lT7_lT5_lS8_lS9_lS7_lT8_i: ; @_ZL26rocblas_hemvn_kernel_lowerILb0ELi64ELi4ELi33ELi32ELi16El19rocblas_complex_numIdEPKPKS1_PS1_EviT6_lT7_lT5_lS8_lS9_lS7_lT8_i
; %bb.0:
	s_load_dwordx2 s[0:1], s[4:5], 0x94
	s_add_u32 s14, s4, 0x88
	s_addc_u32 s15, s5, 0
	s_waitcnt lgkmcnt(0)
	s_lshr_b32 s2, s0, 16
	s_and_b32 s0, s0, 0xffff
	s_and_b32 s1, s1, 0xffff
	s_mul_i32 s0, s2, s0
	s_mul_i32 s0, s0, s1
	s_cmpk_lg_i32 s0, 0x100
	s_cbranch_scc1 .LBB194_107
; %bb.1:
	s_load_dwordx4 s[16:19], s[4:5], 0x8
	s_load_dwordx4 s[0:3], s[4:5], 0x20
	s_load_dwordx2 s[24:25], s[4:5], 0x30
	s_mov_b32 s26, s7
	s_mov_b64 s[8:9], 0
	s_waitcnt lgkmcnt(0)
	v_cmp_neq_f64_e64 s[10:11], s[16:17], 0
	v_cmp_neq_f64_e64 s[12:13], s[18:19], 0
	s_or_b64 s[16:17], s[10:11], s[12:13]
	s_and_b64 vcc, exec, s[16:17]
	s_cbranch_vccnz .LBB194_3
; %bb.2:
	s_load_dwordx4 s[8:11], s[4:5], 0x60
	s_mov_b64 s[12:13], 0
	s_waitcnt lgkmcnt(0)
	v_cmp_neq_f64_e64 s[8:9], s[8:9], 1.0
	v_cmp_neq_f64_e64 s[10:11], s[10:11], 0
	s_or_b64 s[8:9], s[8:9], s[10:11]
	s_cbranch_execz .LBB194_4
	s_branch .LBB194_5
.LBB194_3:
	s_mov_b64 s[12:13], -1
.LBB194_4:
	s_mov_b32 s27, 0
	s_lshl_b64 s[8:9], s[26:27], 3
	s_add_u32 s0, s0, s8
	s_addc_u32 s1, s1, s9
	s_load_dwordx2 s[0:1], s[0:1], 0x0
	s_lshl_b64 s[2:3], s[2:3], 4
	s_mov_b64 s[8:9], -1
	s_waitcnt lgkmcnt(0)
	s_add_u32 s12, s0, s2
	s_addc_u32 s13, s1, s3
.LBB194_5:
	s_andn2_b64 vcc, exec, s[8:9]
	s_cbranch_vccnz .LBB194_107
; %bb.6:
	s_load_dwordx4 s[8:11], s[4:5], 0x40
	s_load_dwordx2 s[22:23], s[4:5], 0x50
	v_cndmask_b32_e64 v1, 0, 1, s[16:17]
	v_cmp_ne_u32_e64 s[0:1], 1, v1
	s_andn2_b64 vcc, exec, s[16:17]
	s_mov_b64 s[2:3], 0
	s_cbranch_vccnz .LBB194_8
; %bb.7:
	s_mov_b32 s27, 0
	s_lshl_b64 s[2:3], s[26:27], 3
	s_waitcnt lgkmcnt(0)
	s_add_u32 s2, s8, s2
	s_addc_u32 s3, s9, s3
	s_load_dwordx2 s[2:3], s[2:3], 0x0
	s_lshl_b64 s[8:9], s[10:11], 4
	s_waitcnt lgkmcnt(0)
	s_add_u32 s2, s2, s8
	s_addc_u32 s3, s3, s9
.LBB194_8:
	s_and_b64 vcc, exec, s[0:1]
	s_cbranch_vccnz .LBB194_107
; %bb.9:
	s_load_dword s27, s[14:15], 0x0
	s_load_dword s7, s[4:5], 0x0
	v_and_b32_e32 v42, 0x3ff, v0
	s_lshl_b32 s30, s6, 6
	v_add_u32_e32 v148, s30, v42
	s_waitcnt lgkmcnt(0)
	s_add_i32 s0, s27, -1
	s_ashr_i32 s33, s7, 31
	s_lshr_b32 s1, s33, 26
	s_add_i32 s1, s7, s1
	s_andn2_b32 s1, s1, 63
	s_sub_i32 s1, s7, s1
	s_cmp_eq_u32 s6, s0
	v_ashrrev_i32_e32 v149, 31, v148
	v_bfe_u32 v154, v0, 10, 10
	s_cselect_b32 s28, s1, 0
	v_mul_lo_u32 v2, v149, s22
	v_mul_lo_u32 v3, v148, s23
	v_mad_u64_u32 v[0:1], s[0:1], v148, s22, 0
	v_add3_u32 v1, v1, v3, v2
	v_lshlrev_b64 v[0:1], 4, v[0:1]
	v_mov_b32_e32 v2, s3
	v_add_co_u32_e32 v36, vcc, s2, v0
	v_addc_co_u32_e32 v37, vcc, v2, v1, vcc
	v_cmp_ne_u32_e64 s[0:1], 0, v154
	v_cmp_eq_u32_e64 s[2:3], 0, v154
	s_and_saveexec_b64 s[8:9], s[2:3]
	s_cbranch_execz .LBB194_14
; %bb.10:
	s_cmp_lg_u32 s28, 0
	s_cselect_b64 s[10:11], -1, 0
	v_cmp_le_i32_e32 vcc, s28, v42
	v_mov_b32_e32 v0, 0x4700
	s_and_b64 s[10:11], s[10:11], vcc
	v_lshl_add_u32 v0, v42, 4, v0
	s_and_saveexec_b64 s[14:15], s[10:11]
	s_xor_b64 s[10:11], exec, s[14:15]
	s_cbranch_execz .LBB194_12
; %bb.11:
	v_mov_b32_e32 v2, 0
	v_mov_b32_e32 v3, v2
	;; [unrolled: 1-line block ×4, first 2 shown]
	ds_write_b128 v0, v[2:5]
                                        ; implicit-def: $vgpr0
.LBB194_12:
	s_andn2_saveexec_b64 s[10:11], s[10:11]
	s_cbranch_execz .LBB194_14
; %bb.13:
	flat_load_dwordx4 v[2:5], v[36:37]
	s_waitcnt vmcnt(0) lgkmcnt(0)
	ds_write2_b64 v0, v[2:3], v[4:5] offset1:1
.LBB194_14:
	s_or_b64 exec, exec, s[8:9]
	s_ashr_i32 s31, s30, 31
	v_lshl_add_u32 v43, v154, 6, v42
	s_lshl_b64 s[8:9], s[30:31], 4
	v_and_b32_e32 v4, 31, v42
	v_lshrrev_b32_e32 v10, 5, v43
	s_add_u32 s10, s12, s8
	v_mov_b32_e32 v5, 0
	s_addc_u32 s11, s13, s9
	v_mad_u64_u32 v[0:1], s[8:9], v10, s24, v[4:5]
	v_mov_b32_e32 v2, v1
	v_mad_u64_u32 v[2:3], s[8:9], v10, s25, v[2:3]
	s_mul_i32 s8, s30, s25
	s_mul_hi_u32 s9, s30, s24
	s_add_i32 s8, s9, s8
	s_mul_i32 s9, s31, s24
	s_add_i32 s9, s8, s9
	s_mul_i32 s8, s30, s24
	s_lshl_b64 s[34:35], s[8:9], 4
	v_mov_b32_e32 v1, v2
	s_add_u32 s8, s34, s10
	v_lshlrev_b64 v[38:39], 4, v[0:1]
	s_addc_u32 s9, s35, s11
	v_mov_b32_e32 v0, s9
	v_add_co_u32_e32 v6, vcc, s8, v38
	s_cmp_lg_u32 s28, 0
	v_addc_co_u32_e32 v7, vcc, v0, v39, vcc
	s_cselect_b64 s[36:37], -1, 0
	s_cmp_eq_u32 s28, 0
	s_cselect_b64 s[38:39], -1, 0
	s_and_b64 vcc, exec, s[36:37]
	s_cbranch_vccnz .LBB194_16
; %bb.15:
	flat_load_dwordx4 v[0:3], v[6:7]
	v_mul_u32_u24_e32 v5, 33, v10
	s_lshl_b64 s[8:9], s[24:25], 7
	v_add_lshl_u32 v5, v5, v4, 4
	v_mov_b32_e32 v11, s9
	v_add_co_u32_e32 v8, vcc, s8, v6
	v_addc_co_u32_e32 v9, vcc, v7, v11, vcc
	v_add_u32_e32 v12, 0x1080, v5
	s_mul_i32 s10, s25, 0x180
	s_waitcnt vmcnt(0) lgkmcnt(0)
	ds_write2_b64 v5, v[0:1], v[2:3] offset1:1
	flat_load_dwordx4 v[0:3], v[8:9]
	v_add_co_u32_e32 v8, vcc, s8, v8
	v_addc_co_u32_e32 v9, vcc, v9, v11, vcc
	v_add_u32_e32 v11, 0x2100, v5
	v_add_u32_e32 v5, 0x3180, v5
	s_waitcnt vmcnt(0) lgkmcnt(0)
	ds_write2_b64 v12, v[0:1], v[2:3] offset1:1
	flat_load_dwordx4 v[0:3], v[8:9]
	v_mov_b32_e32 v8, 0x180
	v_mad_u64_u32 v[8:9], s[8:9], s24, v8, v[6:7]
	v_add_u32_e32 v9, s10, v9
	s_waitcnt vmcnt(0) lgkmcnt(0)
	ds_write2_b64 v11, v[0:1], v[2:3] offset1:1
	flat_load_dwordx4 v[0:3], v[8:9]
	s_waitcnt vmcnt(0) lgkmcnt(0)
	ds_write2_b64 v5, v[0:1], v[2:3] offset1:1
	s_cbranch_execz .LBB194_17
	s_branch .LBB194_34
.LBB194_16:
.LBB194_17:
	v_lshlrev_b32_e32 v2, 4, v4
	v_sub_co_u32_e32 v0, vcc, v6, v2
	s_ashr_i32 s29, s28, 31
	v_subbrev_co_u32_e32 v1, vcc, 0, v7, vcc
	s_lshl_b64 s[10:11], s[28:29], 4
	v_mov_b32_e32 v3, s11
	v_add_co_u32_e32 v0, vcc, s10, v0
	v_addc_co_u32_e32 v1, vcc, v1, v3, vcc
	v_add_co_u32_e32 v0, vcc, -16, v0
	v_addc_co_u32_e32 v1, vcc, -1, v1, vcc
	v_cmp_gt_i32_e32 vcc, s28, v4
	v_mul_u32_u24_e32 v3, 33, v10
	v_cndmask_b32_e32 v1, v1, v7, vcc
	v_cndmask_b32_e32 v0, v0, v6, vcc
	v_cmp_le_i32_e64 s[8:9], s28, v10
	v_add_lshl_u32 v3, v3, v4, 4
	s_and_saveexec_b64 s[12:13], s[8:9]
	s_xor_b64 s[8:9], exec, s[12:13]
	s_cbranch_execz .LBB194_19
; %bb.18:
	v_mov_b32_e32 v12, 0
	v_mov_b32_e32 v13, v12
	v_mov_b32_e32 v14, v12
	v_mov_b32_e32 v15, v12
	ds_write_b128 v3, v[12:15]
.LBB194_19:
	s_andn2_saveexec_b64 s[8:9], s[8:9]
	s_cbranch_execz .LBB194_21
; %bb.20:
	flat_load_dwordx4 v[12:15], v[0:1]
	s_waitcnt vmcnt(0) lgkmcnt(0)
	ds_write2_b64 v3, v[12:13], v[14:15] offset1:1
.LBB194_21:
	s_or_b64 exec, exec, s[8:9]
	v_add_u32_e32 v5, 8, v10
	v_cmp_le_i32_e64 s[8:9], s28, v5
	s_and_saveexec_b64 s[12:13], s[8:9]
	s_xor_b64 s[8:9], exec, s[12:13]
	s_cbranch_execz .LBB194_23
; %bb.22:
	v_mul_u32_u24_e32 v5, 33, v5
	v_mov_b32_e32 v12, 0
	v_add_lshl_u32 v5, v5, v4, 4
	v_mov_b32_e32 v13, v12
	v_mov_b32_e32 v14, v12
	;; [unrolled: 1-line block ×3, first 2 shown]
	ds_write_b128 v5, v[12:15]
.LBB194_23:
	s_andn2_saveexec_b64 s[12:13], s[8:9]
	s_cbranch_execz .LBB194_25
; %bb.24:
	s_lshl_b64 s[8:9], s[24:25], 7
	v_mov_b32_e32 v5, s9
	v_add_co_u32_e64 v8, s[8:9], s8, v0
	v_addc_co_u32_e64 v9, s[8:9], v1, v5, s[8:9]
	flat_load_dwordx4 v[12:15], v[8:9]
	v_add_u32_e32 v5, 0x1080, v3
	s_waitcnt vmcnt(0) lgkmcnt(0)
	ds_write2_b64 v5, v[12:13], v[14:15] offset1:1
.LBB194_25:
	s_or_b64 exec, exec, s[12:13]
	v_add_u32_e32 v5, 16, v10
	v_cmp_le_i32_e64 s[8:9], s28, v5
	s_and_saveexec_b64 s[12:13], s[8:9]
	s_xor_b64 s[8:9], exec, s[12:13]
	s_cbranch_execz .LBB194_27
; %bb.26:
	v_mov_b32_e32 v12, 0
	v_mov_b32_e32 v13, v12
	;; [unrolled: 1-line block ×4, first 2 shown]
	ds_write_b128 v3, v[12:15] offset:8448
.LBB194_27:
	s_andn2_saveexec_b64 s[12:13], s[8:9]
	s_cbranch_execz .LBB194_29
; %bb.28:
	s_lshl_b64 s[8:9], s[24:25], 8
	v_mov_b32_e32 v5, s9
	v_add_co_u32_e64 v8, s[8:9], s8, v0
	v_addc_co_u32_e64 v9, s[8:9], v1, v5, s[8:9]
	flat_load_dwordx4 v[12:15], v[8:9]
	v_add_u32_e32 v5, 0x2100, v3
	s_waitcnt vmcnt(0) lgkmcnt(0)
	ds_write2_b64 v5, v[12:13], v[14:15] offset1:1
.LBB194_29:
	s_or_b64 exec, exec, s[12:13]
	v_add_u32_e32 v5, 24, v10
	v_cmp_le_i32_e64 s[8:9], s28, v5
	s_and_saveexec_b64 s[12:13], s[8:9]
	s_xor_b64 s[8:9], exec, s[12:13]
	s_cbranch_execz .LBB194_31
; %bb.30:
	v_mov_b32_e32 v12, 0
	v_mov_b32_e32 v13, v12
	;; [unrolled: 1-line block ×4, first 2 shown]
	ds_write_b128 v3, v[12:15] offset:12672
                                        ; implicit-def: $vgpr3
.LBB194_31:
	s_andn2_saveexec_b64 s[8:9], s[8:9]
	s_cbranch_execz .LBB194_33
; %bb.32:
	v_mov_b32_e32 v5, 0x180
	v_mad_u64_u32 v[8:9], s[12:13], s24, v5, v[0:1]
	s_mul_i32 s12, s25, 0x180
	v_add_u32_e32 v9, s12, v9
	flat_load_dwordx4 v[12:15], v[8:9]
	v_add_u32_e32 v3, 0x3180, v3
	s_waitcnt vmcnt(0) lgkmcnt(0)
	ds_write2_b64 v3, v[12:13], v[14:15] offset1:1
.LBB194_33:
	s_or_b64 exec, exec, s[8:9]
	v_add_co_u32_e64 v0, s[8:9], v0, v2
	v_addc_co_u32_e64 v1, s[8:9], 0, v1, s[8:9]
	v_mov_b32_e32 v2, s11
	v_subrev_co_u32_e64 v0, s[8:9], s10, v0
	v_subb_co_u32_e64 v1, s[8:9], v1, v2, s[8:9]
	v_add_co_u32_e64 v0, s[8:9], 16, v0
	v_addc_co_u32_e64 v1, s[8:9], 0, v1, s[8:9]
	v_cndmask_b32_e32 v7, v1, v7, vcc
	v_cndmask_b32_e32 v6, v0, v6, vcc
.LBB194_34:
	v_lshlrev_b32_e32 v0, 2, v10
	v_mul_u32_u24_e32 v44, 33, v4
	v_cmp_lt_u32_e64 s[8:9], v0, v4
	v_add_lshl_u32 v5, v0, v44, 4
	s_waitcnt lgkmcnt(0)
	s_barrier
	s_and_saveexec_b64 s[10:11], s[8:9]
	s_cbranch_execz .LBB194_36
; %bb.35:
	v_mul_u32_u24_e32 v1, 0x84, v10
	v_add_lshl_u32 v1, v1, v4, 4
	ds_read_b128 v[12:15], v1
	s_waitcnt lgkmcnt(0)
	ds_write_b128 v5, v[12:15]
.LBB194_36:
	s_or_b64 exec, exec, s[10:11]
	v_or_b32_e32 v1, 1, v0
	v_cmp_lt_u32_e64 s[10:11], v1, v4
	s_and_saveexec_b64 s[12:13], s[10:11]
	s_cbranch_execz .LBB194_38
; %bb.37:
	v_mul_u32_u24_e32 v1, 33, v1
	v_add_lshl_u32 v1, v1, v4, 4
	ds_read_b128 v[12:15], v1
	s_waitcnt lgkmcnt(0)
	ds_write_b128 v5, v[12:15] offset:16
.LBB194_38:
	s_or_b64 exec, exec, s[12:13]
	v_or_b32_e32 v1, 2, v0
	v_cmp_lt_u32_e64 s[12:13], v1, v4
	s_and_saveexec_b64 s[14:15], s[12:13]
	s_cbranch_execz .LBB194_40
; %bb.39:
	v_mul_u32_u24_e32 v1, 33, v1
	v_add_lshl_u32 v1, v1, v4, 4
	ds_read_b128 v[12:15], v1
	s_waitcnt lgkmcnt(0)
	ds_write_b128 v5, v[12:15] offset:32
.LBB194_40:
	s_or_b64 exec, exec, s[14:15]
	v_or_b32_e32 v1, 3, v0
	v_cmp_lt_u32_e64 s[14:15], v1, v4
	v_mad_u32_u24 v1, v1, 33, v4
	v_lshlrev_b32_e32 v11, 4, v1
	s_and_saveexec_b64 s[16:17], s[14:15]
	s_cbranch_execz .LBB194_42
; %bb.41:
	ds_read_b128 v[12:15], v11
	s_waitcnt lgkmcnt(0)
	ds_write_b128 v5, v[12:15] offset:48
.LBB194_42:
	s_or_b64 exec, exec, s[16:17]
	v_mul_u32_u24_e32 v1, 0x84, v10
	v_lshlrev_b32_e32 v14, 4, v0
	s_waitcnt lgkmcnt(0)
	s_barrier
	v_add_lshl_u32 v13, v1, v4, 4
	ds_read_b128 v[0:3], v14 offset:18176
	ds_read_b128 v[16:19], v13
	ds_read_b128 v[20:23], v14 offset:18192
	ds_read_b128 v[24:27], v14 offset:18208
	v_add_u32_e32 v12, 0xfffffbe0, v11
	ds_read_b128 v[28:31], v12
	ds_read_b128 v[32:35], v12 offset:528
	s_waitcnt lgkmcnt(4)
	v_mul_f64 v[8:9], v[2:3], v[18:19]
	v_fma_f64 v[8:9], v[0:1], v[16:17], -v[8:9]
	v_mul_f64 v[0:1], v[0:1], v[18:19]
	v_fmac_f64_e32 v[0:1], v[2:3], v[16:17]
	s_waitcnt lgkmcnt(1)
	v_mul_f64 v[16:17], v[20:21], v[30:31]
	v_add_f64 v[2:3], v[8:9], 0
	v_add_f64 v[0:1], v[0:1], 0
	v_mul_f64 v[8:9], v[22:23], v[30:31]
	v_fmac_f64_e32 v[16:17], v[22:23], v[28:29]
	v_fma_f64 v[8:9], v[20:21], v[28:29], -v[8:9]
	v_add_f64 v[20:21], v[0:1], v[16:17]
	s_waitcnt lgkmcnt(0)
	v_mul_f64 v[0:1], v[26:27], v[34:35]
	v_add_f64 v[8:9], v[2:3], v[8:9]
	v_fma_f64 v[22:23], v[24:25], v[32:33], -v[0:1]
	ds_read_b128 v[0:3], v14 offset:18224
	ds_read_b128 v[16:19], v11
	v_mul_f64 v[24:25], v[24:25], v[34:35]
	v_fmac_f64_e32 v[24:25], v[26:27], v[32:33]
	v_add_f64 v[8:9], v[8:9], v[22:23]
	v_add_f64 v[20:21], v[20:21], v[24:25]
	s_waitcnt lgkmcnt(0)
	v_mul_f64 v[22:23], v[2:3], v[18:19]
	v_mul_f64 v[18:19], v[0:1], v[18:19]
	v_fma_f64 v[22:23], v[0:1], v[16:17], -v[22:23]
	v_fmac_f64_e32 v[18:19], v[2:3], v[16:17]
	v_add_f64 v[0:1], v[8:9], v[22:23]
	v_add_f64 v[2:3], v[20:21], v[18:19]
	v_add_lshl_u32 v45, v10, v44, 4
	s_barrier
	ds_write_b128 v45, v[0:3]
	v_pk_mov_b32 v[0:1], 0, 0
	v_cmp_gt_u32_e64 s[20:21], 32, v43
	v_pk_mov_b32 v[2:3], v[0:1], v[0:1] op_sel:[0,1]
	s_waitcnt lgkmcnt(0)
	s_barrier
	s_and_saveexec_b64 s[16:17], s[20:21]
	s_cbranch_execz .LBB194_44
; %bb.43:
	v_lshlrev_b32_e32 v15, 4, v44
	ds_read_b128 v[0:3], v15
	ds_read_b128 v[16:19], v15 offset:16
	ds_read_b128 v[20:23], v15 offset:32
	;; [unrolled: 1-line block ×3, first 2 shown]
	s_waitcnt lgkmcnt(2)
	v_add_f64 v[0:1], v[16:17], v[0:1]
	v_add_f64 v[8:9], v[18:19], v[2:3]
	s_waitcnt lgkmcnt(1)
	v_add_f64 v[16:17], v[0:1], v[20:21]
	ds_read_b128 v[0:3], v15 offset:64
	v_add_f64 v[8:9], v[8:9], v[22:23]
	s_waitcnt lgkmcnt(1)
	v_add_f64 v[20:21], v[16:17], v[24:25]
	ds_read_b128 v[16:19], v15 offset:80
	;; [unrolled: 4-line block ×3, first 2 shown]
	v_add_f64 v[8:9], v[8:9], v[2:3]
	ds_read_b128 v[0:3], v15 offset:112
	s_waitcnt lgkmcnt(2)
	v_add_f64 v[16:17], v[24:25], v[16:17]
	v_add_f64 v[8:9], v[8:9], v[18:19]
	s_waitcnt lgkmcnt(1)
	v_add_f64 v[16:17], v[16:17], v[20:21]
	v_add_f64 v[8:9], v[8:9], v[22:23]
	;; [unrolled: 3-line block ×3, first 2 shown]
.LBB194_44:
	s_or_b64 exec, exec, s[16:17]
	s_lshl_b64 s[16:17], s[24:25], 9
	v_mov_b32_e32 v9, s17
	v_add_co_u32_e32 v8, vcc, s16, v6
	v_addc_co_u32_e32 v9, vcc, v7, v9, vcc
	v_add_co_u32_e32 v6, vcc, 0x200, v8
	v_cndmask_b32_e64 v7, 0, 1, s[38:39]
	s_mov_b64 s[18:19], vcc
	v_cmp_ne_u32_e64 s[16:17], 1, v7
	s_andn2_b64 vcc, exec, s[38:39]
	v_addc_co_u32_e64 v7, s[18:19], 0, v9, s[18:19]
	s_barrier
	s_cbranch_vccnz .LBB194_46
; %bb.45:
	flat_load_dwordx4 v[16:19], v[6:7]
	v_mul_u32_u24_e32 v15, 33, v10
	s_lshl_b64 s[18:19], s[24:25], 7
	v_add_lshl_u32 v15, v15, v4, 4
	v_mov_b32_e32 v22, s19
	v_add_co_u32_e32 v20, vcc, s18, v8
	v_addc_co_u32_e32 v21, vcc, v9, v22, vcc
	v_add_u32_e32 v23, 0x1080, v15
	s_mul_i32 s29, s25, 0x180
	s_waitcnt vmcnt(0) lgkmcnt(0)
	ds_write2_b64 v15, v[16:17], v[18:19] offset1:1
	flat_load_dwordx4 v[16:19], v[20:21] offset:512
	v_add_co_u32_e32 v20, vcc, s18, v20
	v_addc_co_u32_e32 v21, vcc, v21, v22, vcc
	s_waitcnt vmcnt(0) lgkmcnt(0)
	ds_write2_b64 v23, v[16:17], v[18:19] offset1:1
	flat_load_dwordx4 v[16:19], v[20:21] offset:512
	v_mov_b32_e32 v20, 0x180
	v_mad_u64_u32 v[8:9], s[18:19], s24, v20, v[8:9]
	v_add_u32_e32 v20, 0x2100, v15
	v_add_u32_e32 v9, s29, v9
	s_waitcnt vmcnt(0) lgkmcnt(0)
	ds_write2_b64 v20, v[16:17], v[18:19] offset1:1
	flat_load_dwordx4 v[16:19], v[8:9] offset:512
	v_add_u32_e32 v8, 0x3180, v15
	s_waitcnt vmcnt(0) lgkmcnt(0)
	ds_write2_b64 v8, v[16:17], v[18:19] offset1:1
	s_cbranch_execz .LBB194_47
	s_branch .LBB194_64
.LBB194_46:
.LBB194_47:
	v_or_b32_e32 v8, 32, v4
	v_lshlrev_b32_e32 v9, 4, v8
	v_sub_co_u32_e32 v9, vcc, v6, v9
	s_ashr_i32 s29, s28, 31
	v_subbrev_co_u32_e32 v15, vcc, 0, v7, vcc
	s_lshl_b64 s[38:39], s[28:29], 4
	v_mov_b32_e32 v16, s39
	v_add_co_u32_e32 v9, vcc, s38, v9
	v_addc_co_u32_e32 v15, vcc, v15, v16, vcc
	v_add_co_u32_e32 v16, vcc, -16, v9
	v_addc_co_u32_e32 v9, vcc, -1, v15, vcc
	v_cmp_gt_i32_e64 s[18:19], s28, v8
	s_sub_i32 s29, s28, 32
	v_mul_u32_u24_e32 v15, 33, v10
	v_cndmask_b32_e64 v9, v9, v7, s[18:19]
	v_cndmask_b32_e64 v8, v16, v6, s[18:19]
	v_cmp_le_i32_e32 vcc, s29, v10
	v_add_lshl_u32 v15, v15, v4, 4
	s_and_saveexec_b64 s[40:41], vcc
	s_xor_b64 s[40:41], exec, s[40:41]
	s_cbranch_execz .LBB194_49
; %bb.48:
	v_mov_b32_e32 v16, 0
	v_mov_b32_e32 v17, v16
	;; [unrolled: 1-line block ×4, first 2 shown]
	ds_write_b128 v15, v[16:19]
.LBB194_49:
	s_andn2_saveexec_b64 s[40:41], s[40:41]
	s_cbranch_execz .LBB194_51
; %bb.50:
	flat_load_dwordx4 v[16:19], v[8:9]
	s_waitcnt vmcnt(0) lgkmcnt(0)
	ds_write2_b64 v15, v[16:17], v[18:19] offset1:1
.LBB194_51:
	s_or_b64 exec, exec, s[40:41]
	v_add_u32_e32 v16, 8, v10
	v_cmp_le_i32_e32 vcc, s29, v16
	s_and_saveexec_b64 s[40:41], vcc
	s_xor_b64 s[40:41], exec, s[40:41]
	s_cbranch_execz .LBB194_53
; %bb.52:
	v_mul_u32_u24_e32 v16, 33, v16
	v_add_lshl_u32 v20, v16, v4, 4
	v_mov_b32_e32 v16, 0
	v_mov_b32_e32 v17, v16
	;; [unrolled: 1-line block ×4, first 2 shown]
	ds_write_b128 v20, v[16:19]
.LBB194_53:
	s_andn2_saveexec_b64 s[40:41], s[40:41]
	s_cbranch_execz .LBB194_55
; %bb.54:
	s_lshl_b64 s[42:43], s[24:25], 7
	v_mov_b32_e32 v17, s43
	v_add_co_u32_e32 v16, vcc, s42, v8
	v_addc_co_u32_e32 v17, vcc, v9, v17, vcc
	flat_load_dwordx4 v[16:19], v[16:17]
	v_add_u32_e32 v20, 0x1080, v15
	s_waitcnt vmcnt(0) lgkmcnt(0)
	ds_write2_b64 v20, v[16:17], v[18:19] offset1:1
.LBB194_55:
	s_or_b64 exec, exec, s[40:41]
	v_add_u32_e32 v16, 16, v10
	v_cmp_le_i32_e32 vcc, s29, v16
	s_and_saveexec_b64 s[40:41], vcc
	s_xor_b64 s[40:41], exec, s[40:41]
	s_cbranch_execz .LBB194_57
; %bb.56:
	v_mov_b32_e32 v16, 0
	v_mov_b32_e32 v17, v16
	;; [unrolled: 1-line block ×4, first 2 shown]
	ds_write_b128 v15, v[16:19] offset:8448
.LBB194_57:
	s_andn2_saveexec_b64 s[40:41], s[40:41]
	s_cbranch_execz .LBB194_59
; %bb.58:
	s_lshl_b64 s[42:43], s[24:25], 8
	v_mov_b32_e32 v17, s43
	v_add_co_u32_e32 v16, vcc, s42, v8
	v_addc_co_u32_e32 v17, vcc, v9, v17, vcc
	flat_load_dwordx4 v[16:19], v[16:17]
	v_add_u32_e32 v20, 0x2100, v15
	s_waitcnt vmcnt(0) lgkmcnt(0)
	ds_write2_b64 v20, v[16:17], v[18:19] offset1:1
.LBB194_59:
	s_or_b64 exec, exec, s[40:41]
	v_add_u32_e32 v16, 24, v10
	v_cmp_le_i32_e32 vcc, s29, v16
	s_and_saveexec_b64 s[40:41], vcc
	s_xor_b64 s[40:41], exec, s[40:41]
	s_cbranch_execz .LBB194_61
; %bb.60:
	v_mov_b32_e32 v16, 0
	v_mov_b32_e32 v17, v16
	;; [unrolled: 1-line block ×4, first 2 shown]
	ds_write_b128 v15, v[16:19] offset:12672
                                        ; implicit-def: $vgpr15
.LBB194_61:
	s_andn2_saveexec_b64 s[40:41], s[40:41]
	s_cbranch_execz .LBB194_63
; %bb.62:
	v_mov_b32_e32 v16, 0x180
	v_mad_u64_u32 v[16:17], s[42:43], s24, v16, v[8:9]
	s_mul_i32 s29, s25, 0x180
	v_add_u32_e32 v17, s29, v17
	flat_load_dwordx4 v[16:19], v[16:17]
	v_add_u32_e32 v15, 0x3180, v15
	s_waitcnt vmcnt(0) lgkmcnt(0)
	ds_write2_b64 v15, v[16:17], v[18:19] offset1:1
.LBB194_63:
	s_or_b64 exec, exec, s[40:41]
	v_lshlrev_b32_e32 v15, 4, v4
	v_add_co_u32_e32 v8, vcc, v8, v15
	v_addc_co_u32_e32 v9, vcc, 0, v9, vcc
	v_mov_b32_e32 v15, s39
	v_subrev_co_u32_e32 v8, vcc, s38, v8
	v_subb_co_u32_e32 v9, vcc, v9, v15, vcc
	v_add_co_u32_e32 v8, vcc, 0x210, v8
	v_addc_co_u32_e32 v9, vcc, 0, v9, vcc
	v_cndmask_b32_e64 v7, v9, v7, s[18:19]
	v_cndmask_b32_e64 v6, v8, v6, s[18:19]
.LBB194_64:
	v_add_u32_e32 v8, 0x4700, v14
	v_add_u32_e32 v9, 0x210, v12
	s_lshl_b64 s[18:19], s[24:25], 5
	s_waitcnt lgkmcnt(0)
	s_barrier
	s_and_saveexec_b64 s[38:39], s[8:9]
	s_cbranch_execnz .LBB194_73
; %bb.65:
	s_or_b64 exec, exec, s[38:39]
	s_and_saveexec_b64 s[8:9], s[10:11]
	s_cbranch_execnz .LBB194_74
.LBB194_66:
	s_or_b64 exec, exec, s[8:9]
	s_and_saveexec_b64 s[8:9], s[12:13]
	s_cbranch_execnz .LBB194_75
.LBB194_67:
	s_or_b64 exec, exec, s[8:9]
	s_and_saveexec_b64 s[8:9], s[14:15]
	s_cbranch_execz .LBB194_69
.LBB194_68:
	ds_read_b128 v[14:17], v11
	s_waitcnt lgkmcnt(0)
	ds_write_b128 v5, v[14:17] offset:48
.LBB194_69:
	s_or_b64 exec, exec, s[8:9]
	s_waitcnt lgkmcnt(0)
	s_barrier
	ds_read_b128 v[14:17], v8 offset:512
	ds_read_b128 v[18:21], v13
	ds_read_b128 v[22:25], v8 offset:528
	ds_read_b128 v[26:29], v8 offset:544
	v_cmp_eq_u32_e64 s[8:9], 1, v10
	s_waitcnt lgkmcnt(2)
	v_mul_f64 v[30:31], v[16:17], v[20:21]
	v_fma_f64 v[34:35], v[14:15], v[18:19], -v[30:31]
	ds_read_b128 v[30:33], v8 offset:560
	ds_read_b128 v[46:49], v12
	v_mul_f64 v[14:15], v[14:15], v[20:21]
	v_fmac_f64_e32 v[14:15], v[16:17], v[18:19]
	v_add_f64 v[18:19], v[14:15], 0
	v_add_f64 v[16:17], v[34:35], 0
	s_waitcnt lgkmcnt(0)
	v_mul_f64 v[14:15], v[24:25], v[48:49]
	v_fma_f64 v[20:21], v[22:23], v[46:47], -v[14:15]
	v_mul_f64 v[22:23], v[22:23], v[48:49]
	ds_read_b128 v[12:15], v12 offset:528
	v_fmac_f64_e32 v[22:23], v[24:25], v[46:47]
	v_add_f64 v[20:21], v[16:17], v[20:21]
	v_add_f64 v[22:23], v[18:19], v[22:23]
	ds_read_b128 v[16:19], v11
	s_waitcnt lgkmcnt(1)
	v_mul_f64 v[24:25], v[28:29], v[14:15]
	v_fma_f64 v[24:25], v[26:27], v[12:13], -v[24:25]
	v_mul_f64 v[14:15], v[26:27], v[14:15]
	v_fmac_f64_e32 v[14:15], v[28:29], v[12:13]
	v_add_f64 v[12:13], v[20:21], v[24:25]
	s_waitcnt lgkmcnt(0)
	v_mul_f64 v[20:21], v[32:33], v[18:19]
	v_mul_f64 v[18:19], v[30:31], v[18:19]
	v_add_f64 v[14:15], v[22:23], v[14:15]
	v_fma_f64 v[20:21], v[30:31], v[16:17], -v[20:21]
	v_fmac_f64_e32 v[18:19], v[32:33], v[16:17]
	v_add_f64 v[12:13], v[12:13], v[20:21]
	v_add_f64 v[14:15], v[14:15], v[18:19]
	s_barrier
	ds_write_b128 v45, v[12:15]
	s_waitcnt lgkmcnt(0)
	s_barrier
	s_and_saveexec_b64 s[10:11], s[8:9]
	s_cbranch_execz .LBB194_71
; %bb.70:
	v_lshlrev_b32_e32 v9, 4, v44
	ds_read_b128 v[0:3], v9
	ds_read_b128 v[12:15], v9 offset:16
	ds_read_b128 v[16:19], v9 offset:32
	ds_read_b128 v[20:23], v9 offset:48
	s_waitcnt lgkmcnt(2)
	v_add_f64 v[0:1], v[12:13], v[0:1]
	v_add_f64 v[12:13], v[14:15], v[2:3]
	s_waitcnt lgkmcnt(1)
	v_add_f64 v[14:15], v[0:1], v[16:17]
	ds_read_b128 v[0:3], v9 offset:64
	v_add_f64 v[12:13], v[12:13], v[18:19]
	s_waitcnt lgkmcnt(1)
	v_add_f64 v[16:17], v[14:15], v[20:21]
	v_add_f64 v[20:21], v[12:13], v[22:23]
	ds_read_b128 v[12:15], v9 offset:80
	s_waitcnt lgkmcnt(1)
	v_add_f64 v[22:23], v[16:17], v[0:1]
	ds_read_b128 v[16:19], v9 offset:96
	v_add_f64 v[20:21], v[20:21], v[2:3]
	ds_read_b128 v[0:3], v9 offset:112
	s_waitcnt lgkmcnt(2)
	v_add_f64 v[12:13], v[22:23], v[12:13]
	v_add_f64 v[14:15], v[20:21], v[14:15]
	s_waitcnt lgkmcnt(1)
	v_add_f64 v[12:13], v[12:13], v[16:17]
	v_add_f64 v[14:15], v[14:15], v[18:19]
	;; [unrolled: 3-line block ×3, first 2 shown]
.LBB194_71:
	s_or_b64 exec, exec, s[10:11]
	s_lshl_b64 s[10:11], s[18:19], 4
	v_mov_b32_e32 v9, s11
	v_subrev_co_u32_e64 v40, s[10:11], s10, v6
	s_and_b64 vcc, exec, s[16:17]
	v_subb_co_u32_e64 v41, s[10:11], v7, v9, s[10:11]
	s_barrier
	s_cbranch_vccnz .LBB194_76
; %bb.72:
	flat_load_dwordx4 v[12:15], v[40:41]
	v_mad_u32_u24 v9, v10, 33, v4
	s_lshl_b64 s[10:11], s[24:25], 7
	v_lshlrev_b32_e32 v20, 4, v9
	v_mov_b32_e32 v11, s11
	v_add_co_u32_e32 v6, vcc, s10, v40
	v_addc_co_u32_e32 v7, vcc, v41, v11, vcc
	v_add_u32_e32 v16, 0x1080, v20
	s_mul_i32 s12, s25, 0x180
	s_waitcnt vmcnt(0) lgkmcnt(0)
	ds_write2_b64 v20, v[12:13], v[14:15] offset1:1
	flat_load_dwordx4 v[12:15], v[6:7]
	v_add_co_u32_e32 v6, vcc, s10, v6
	v_addc_co_u32_e32 v7, vcc, v7, v11, vcc
	v_add_u32_e32 v11, 0x2100, v20
	s_waitcnt vmcnt(0) lgkmcnt(0)
	ds_write2_b64 v16, v[12:13], v[14:15] offset1:1
	flat_load_dwordx4 v[12:15], v[6:7]
	v_mov_b32_e32 v6, 0x180
	v_mad_u64_u32 v[6:7], s[10:11], s24, v6, v[40:41]
	v_add_u32_e32 v7, s12, v7
	s_waitcnt vmcnt(0) lgkmcnt(0)
	ds_write2_b64 v11, v[12:13], v[14:15] offset1:1
	flat_load_dwordx4 v[16:19], v[6:7]
	v_add_u32_e32 v11, 8, v10
	v_add_u32_e32 v12, 16, v10
	;; [unrolled: 1-line block ×7, first 2 shown]
	s_waitcnt vmcnt(0) lgkmcnt(0)
	ds_write2_b64 v15, v[16:17], v[18:19] offset1:1
	s_cbranch_execz .LBB194_77
	s_branch .LBB194_94
.LBB194_73:
	ds_read_b128 v[14:17], v13
	s_waitcnt lgkmcnt(0)
	ds_write_b128 v5, v[14:17]
	s_or_b64 exec, exec, s[38:39]
	s_and_saveexec_b64 s[8:9], s[10:11]
	s_cbranch_execz .LBB194_66
.LBB194_74:
	ds_read_b128 v[14:17], v12
	s_waitcnt lgkmcnt(0)
	ds_write_b128 v5, v[14:17] offset:16
	s_or_b64 exec, exec, s[8:9]
	s_and_saveexec_b64 s[8:9], s[12:13]
	s_cbranch_execz .LBB194_67
.LBB194_75:
	ds_read_b128 v[14:17], v9
	s_waitcnt lgkmcnt(0)
	ds_write_b128 v5, v[14:17] offset:32
	s_or_b64 exec, exec, s[8:9]
	s_and_saveexec_b64 s[8:9], s[14:15]
	s_cbranch_execnz .LBB194_68
	s_branch .LBB194_69
.LBB194_76:
                                        ; implicit-def: $vgpr9
                                        ; implicit-def: $vgpr11
                                        ; implicit-def: $vgpr7
                                        ; implicit-def: $vgpr12
                                        ; implicit-def: $vgpr6
                                        ; implicit-def: $vgpr13
                                        ; implicit-def: $vgpr14
.LBB194_77:
	v_or_b32_e32 v6, 32, v4
	v_lshlrev_b32_e32 v7, 4, v6
	v_sub_co_u32_e32 v7, vcc, v40, v7
	s_ashr_i32 s29, s28, 31
	v_subbrev_co_u32_e32 v9, vcc, 0, v41, vcc
	s_lshl_b64 s[12:13], s[28:29], 4
	v_mov_b32_e32 v11, s13
	v_add_co_u32_e32 v7, vcc, s12, v7
	v_addc_co_u32_e32 v9, vcc, v9, v11, vcc
	v_add_co_u32_e32 v11, vcc, -16, v7
	v_addc_co_u32_e32 v7, vcc, -1, v9, vcc
	v_cmp_gt_i32_e64 s[10:11], s28, v6
	v_mad_u32_u24 v9, v10, 33, v4
	v_cndmask_b32_e64 v7, v7, v41, s[10:11]
	v_cndmask_b32_e64 v6, v11, v40, s[10:11]
	v_cmp_le_i32_e32 vcc, s28, v10
	v_lshlrev_b32_e32 v15, 4, v9
	s_and_saveexec_b64 s[14:15], vcc
	s_xor_b64 s[14:15], exec, s[14:15]
	s_cbranch_execz .LBB194_79
; %bb.78:
	v_mov_b32_e32 v16, 0
	v_mov_b32_e32 v17, v16
	;; [unrolled: 1-line block ×4, first 2 shown]
	ds_write_b128 v15, v[16:19]
.LBB194_79:
	s_andn2_saveexec_b64 s[14:15], s[14:15]
	s_cbranch_execz .LBB194_81
; %bb.80:
	flat_load_dwordx4 v[16:19], v[6:7]
	s_waitcnt vmcnt(0) lgkmcnt(0)
	ds_write2_b64 v15, v[16:17], v[18:19] offset1:1
.LBB194_81:
	s_or_b64 exec, exec, s[14:15]
	v_add_u32_e32 v11, 8, v10
	v_cmp_le_i32_e32 vcc, s28, v11
	s_and_saveexec_b64 s[14:15], vcc
	s_xor_b64 s[14:15], exec, s[14:15]
	s_cbranch_execz .LBB194_83
; %bb.82:
	v_mul_u32_u24_e32 v12, 33, v11
	v_mov_b32_e32 v16, 0
	v_add_lshl_u32 v12, v12, v4, 4
	v_mov_b32_e32 v17, v16
	v_mov_b32_e32 v18, v16
	;; [unrolled: 1-line block ×3, first 2 shown]
	ds_write_b128 v12, v[16:19]
.LBB194_83:
	s_andn2_saveexec_b64 s[14:15], s[14:15]
	s_cbranch_execz .LBB194_85
; %bb.84:
	s_lshl_b64 s[16:17], s[24:25], 7
	v_mov_b32_e32 v13, s17
	v_add_co_u32_e32 v12, vcc, s16, v6
	v_addc_co_u32_e32 v13, vcc, v7, v13, vcc
	flat_load_dwordx4 v[16:19], v[12:13]
	v_add_u32_e32 v12, 0x1080, v15
	s_waitcnt vmcnt(0) lgkmcnt(0)
	ds_write2_b64 v12, v[16:17], v[18:19] offset1:1
.LBB194_85:
	s_or_b64 exec, exec, s[14:15]
	v_add_u32_e32 v12, 16, v10
	v_cmp_le_i32_e32 vcc, s28, v12
	s_and_saveexec_b64 s[14:15], vcc
	s_xor_b64 s[14:15], exec, s[14:15]
	s_cbranch_execz .LBB194_87
; %bb.86:
	v_mul_u32_u24_e32 v13, 33, v12
	v_mov_b32_e32 v16, 0
	v_add_lshl_u32 v13, v13, v4, 4
	v_mov_b32_e32 v17, v16
	v_mov_b32_e32 v18, v16
	;; [unrolled: 1-line block ×3, first 2 shown]
	ds_write_b128 v13, v[16:19]
.LBB194_87:
	s_andn2_saveexec_b64 s[14:15], s[14:15]
	s_cbranch_execz .LBB194_89
; %bb.88:
	s_lshl_b64 s[16:17], s[24:25], 8
	v_mov_b32_e32 v13, s17
	v_add_co_u32_e32 v16, vcc, s16, v6
	v_addc_co_u32_e32 v17, vcc, v7, v13, vcc
	flat_load_dwordx4 v[16:19], v[16:17]
	v_add_u32_e32 v13, 0x2100, v15
	s_waitcnt vmcnt(0) lgkmcnt(0)
	ds_write2_b64 v13, v[16:17], v[18:19] offset1:1
.LBB194_89:
	s_or_b64 exec, exec, s[14:15]
	v_add_u32_e32 v13, 24, v10
	v_cmp_le_i32_e32 vcc, s28, v13
                                        ; implicit-def: $vgpr14
	s_and_saveexec_b64 s[14:15], vcc
	s_xor_b64 s[14:15], exec, s[14:15]
	s_cbranch_execz .LBB194_91
; %bb.90:
	v_mov_b32_e32 v16, 0
	v_add_u32_e32 v14, 0x318, v9
	v_mov_b32_e32 v17, v16
	v_mov_b32_e32 v18, v16
	;; [unrolled: 1-line block ×3, first 2 shown]
	ds_write_b128 v15, v[16:19] offset:12672
                                        ; implicit-def: $vgpr15
.LBB194_91:
	s_andn2_saveexec_b64 s[14:15], s[14:15]
	s_cbranch_execz .LBB194_93
; %bb.92:
	v_mov_b32_e32 v14, 0x180
	v_mad_u64_u32 v[16:17], s[16:17], s24, v14, v[6:7]
	s_mul_i32 s16, s25, 0x180
	v_add_u32_e32 v17, s16, v17
	flat_load_dwordx4 v[16:19], v[16:17]
	v_add_u32_e32 v14, 0x318, v9
	v_add_u32_e32 v15, 0x3180, v15
	s_waitcnt vmcnt(0) lgkmcnt(0)
	ds_write2_b64 v15, v[16:17], v[18:19] offset1:1
.LBB194_93:
	s_or_b64 exec, exec, s[14:15]
	v_lshlrev_b32_e32 v4, 4, v4
	v_add_co_u32_e32 v4, vcc, v6, v4
	v_addc_co_u32_e32 v6, vcc, 0, v7, vcc
	v_mov_b32_e32 v7, s13
	v_subrev_co_u32_e32 v4, vcc, s12, v4
	v_subb_co_u32_e32 v6, vcc, v6, v7, vcc
	v_add_co_u32_e32 v4, vcc, 0x210, v4
	v_addc_co_u32_e32 v6, vcc, 0, v6, vcc
	v_cndmask_b32_e64 v41, v6, v41, s[10:11]
	v_cndmask_b32_e64 v40, v4, v40, s[10:11]
	v_add_u32_e32 v7, 0x108, v9
	v_add_u32_e32 v6, 0x210, v9
.LBB194_94:
	v_lshlrev_b32_e32 v4, 4, v9
	v_lshlrev_b32_e32 v9, 4, v10
	s_waitcnt lgkmcnt(0)
	s_barrier
	ds_read_b128 v[46:49], v9 offset:18176
	ds_read_b128 v[50:53], v4
	v_lshlrev_b32_e32 v4, 4, v7
	v_lshlrev_b32_e32 v7, 4, v11
	ds_read_b128 v[54:57], v7 offset:18176
	ds_read_b128 v[58:61], v4
	v_lshlrev_b32_e32 v4, 4, v6
	v_lshlrev_b32_e32 v6, 4, v12
	ds_read_b128 v[62:65], v6 offset:18176
	ds_read_b128 v[66:69], v4
	v_lshlrev_b32_e32 v6, 4, v13
	s_waitcnt lgkmcnt(4)
	v_mul_f64 v[10:11], v[48:49], v[52:53]
	v_lshlrev_b32_e32 v4, 4, v14
	ds_read_b128 v[70:73], v6 offset:18176
	ds_read_b128 v[74:77], v4
	v_fma_f64 v[10:11], v[46:47], v[50:51], -v[10:11]
	s_waitcnt lgkmcnt(4)
	v_mul_f64 v[16:17], v[56:57], v[60:61]
	v_add_f64 v[10:11], v[10:11], 0
	v_fma_f64 v[16:17], v[54:55], v[58:59], -v[16:17]
	v_add_f64 v[6:7], v[10:11], v[16:17]
	s_waitcnt lgkmcnt(2)
	v_mul_f64 v[10:11], v[64:65], v[68:69]
	v_fma_f64 v[10:11], v[62:63], v[66:67], -v[10:11]
	v_add_f64 v[6:7], v[6:7], v[10:11]
	s_waitcnt lgkmcnt(0)
	v_mul_f64 v[10:11], v[72:73], v[76:77]
	v_fma_f64 v[10:11], v[70:71], v[74:75], -v[10:11]
	v_add_f64 v[78:79], v[6:7], v[10:11]
	ds_read_b128 v[28:31], v5
	ds_read_b128 v[20:23], v5 offset:16
	ds_read_b128 v[12:15], v5 offset:32
	;; [unrolled: 1-line block ×7, first 2 shown]
	v_mul_f64 v[46:47], v[46:47], v[52:53]
	v_fmac_f64_e32 v[46:47], v[48:49], v[50:51]
	v_mul_f64 v[48:49], v[54:55], v[60:61]
	v_add_f64 v[46:47], v[46:47], 0
	v_fmac_f64_e32 v[48:49], v[56:57], v[58:59]
	v_add_f64 v[46:47], v[46:47], v[48:49]
	v_mul_f64 v[48:49], v[62:63], v[68:69]
	v_fmac_f64_e32 v[48:49], v[64:65], v[66:67]
	v_add_f64 v[46:47], v[46:47], v[48:49]
	v_mul_f64 v[48:49], v[70:71], v[76:77]
	v_fmac_f64_e32 v[48:49], v[72:73], v[74:75]
	v_add_f64 v[80:81], v[46:47], v[48:49]
	s_waitcnt lgkmcnt(0)
	s_barrier
	ds_write_b128 v45, v[78:81]
	s_waitcnt lgkmcnt(0)
	s_barrier
	s_and_saveexec_b64 s[10:11], s[8:9]
	s_cbranch_execz .LBB194_96
; %bb.95:
	v_lshlrev_b32_e32 v62, 4, v44
	ds_read_b128 v[46:49], v62
	ds_read_b128 v[50:53], v62 offset:16
	ds_read_b128 v[54:57], v62 offset:32
	;; [unrolled: 1-line block ×3, first 2 shown]
	s_waitcnt lgkmcnt(3)
	v_add_f64 v[0:1], v[0:1], v[46:47]
	v_add_f64 v[2:3], v[2:3], v[48:49]
	s_waitcnt lgkmcnt(2)
	v_add_f64 v[0:1], v[0:1], v[50:51]
	v_add_f64 v[46:47], v[2:3], v[52:53]
	s_waitcnt lgkmcnt(1)
	v_add_f64 v[48:49], v[0:1], v[54:55]
	ds_read_b128 v[0:3], v62 offset:64
	v_add_f64 v[46:47], v[46:47], v[56:57]
	s_waitcnt lgkmcnt(1)
	v_add_f64 v[50:51], v[48:49], v[58:59]
	v_add_f64 v[54:55], v[46:47], v[60:61]
	ds_read_b128 v[46:49], v62 offset:80
	s_waitcnt lgkmcnt(1)
	v_add_f64 v[56:57], v[50:51], v[0:1]
	ds_read_b128 v[50:53], v62 offset:96
	v_add_f64 v[54:55], v[54:55], v[2:3]
	ds_read_b128 v[0:3], v62 offset:112
	s_waitcnt lgkmcnt(2)
	v_add_f64 v[46:47], v[56:57], v[46:47]
	v_add_f64 v[48:49], v[54:55], v[48:49]
	s_waitcnt lgkmcnt(1)
	v_add_f64 v[46:47], v[46:47], v[50:51]
	v_add_f64 v[48:49], v[48:49], v[52:53]
	;; [unrolled: 3-line block ×3, first 2 shown]
.LBB194_96:
	s_or_b64 exec, exec, s[10:11]
	v_mul_f64 v[46:47], v[30:31], v[34:35]
	v_fma_f64 v[46:47], v[28:29], v[32:33], -v[46:47]
	v_mul_f64 v[28:29], v[28:29], v[34:35]
	v_fmac_f64_e32 v[28:29], v[30:31], v[32:33]
	v_mul_f64 v[32:33], v[22:23], v[26:27]
	v_fma_f64 v[32:33], v[20:21], v[24:25], -v[32:33]
	v_mul_f64 v[20:21], v[20:21], v[26:27]
	v_fmac_f64_e32 v[20:21], v[22:23], v[24:25]
	v_mul_f64 v[24:25], v[14:15], v[18:19]
	v_add_f64 v[30:31], v[46:47], 0
	v_add_f64 v[28:29], v[28:29], 0
	v_fma_f64 v[24:25], v[12:13], v[16:17], -v[24:25]
	v_mul_f64 v[12:13], v[12:13], v[18:19]
	v_add_f64 v[22:23], v[30:31], v[32:33]
	v_add_f64 v[20:21], v[28:29], v[20:21]
	v_fmac_f64_e32 v[12:13], v[14:15], v[16:17]
	v_mul_f64 v[16:17], v[6:7], v[10:11]
	v_mul_f64 v[10:11], v[4:5], v[10:11]
	v_add_f64 v[14:15], v[22:23], v[24:25]
	v_add_f64 v[12:13], v[20:21], v[12:13]
	v_fma_f64 v[16:17], v[4:5], v[8:9], -v[16:17]
	v_fmac_f64_e32 v[10:11], v[6:7], v[8:9]
	v_add_f64 v[4:5], v[14:15], v[16:17]
	v_add_f64 v[6:7], v[12:13], v[10:11]
	s_barrier
	ds_write_b128 v45, v[4:7]
	s_waitcnt lgkmcnt(0)
	s_barrier
	s_and_saveexec_b64 s[8:9], s[20:21]
	s_cbranch_execz .LBB194_98
; %bb.97:
	v_lshlrev_b32_e32 v20, 4, v44
	ds_read_b128 v[4:7], v20
	ds_read_b128 v[8:11], v20 offset:16
	ds_read_b128 v[12:15], v20 offset:32
	;; [unrolled: 1-line block ×3, first 2 shown]
	s_waitcnt lgkmcnt(3)
	v_add_f64 v[0:1], v[0:1], v[4:5]
	v_add_f64 v[2:3], v[2:3], v[6:7]
	s_waitcnt lgkmcnt(2)
	v_add_f64 v[0:1], v[0:1], v[8:9]
	v_add_f64 v[4:5], v[2:3], v[10:11]
	s_waitcnt lgkmcnt(1)
	v_add_f64 v[6:7], v[0:1], v[12:13]
	ds_read_b128 v[0:3], v20 offset:64
	v_add_f64 v[4:5], v[4:5], v[14:15]
	s_waitcnt lgkmcnt(1)
	v_add_f64 v[8:9], v[6:7], v[16:17]
	v_add_f64 v[12:13], v[4:5], v[18:19]
	ds_read_b128 v[4:7], v20 offset:80
	s_waitcnt lgkmcnt(1)
	v_add_f64 v[14:15], v[8:9], v[0:1]
	ds_read_b128 v[8:11], v20 offset:96
	v_add_f64 v[12:13], v[12:13], v[2:3]
	ds_read_b128 v[0:3], v20 offset:112
	s_waitcnt lgkmcnt(2)
	v_add_f64 v[4:5], v[14:15], v[4:5]
	v_add_f64 v[6:7], v[12:13], v[6:7]
	s_waitcnt lgkmcnt(1)
	v_add_f64 v[4:5], v[4:5], v[8:9]
	v_add_f64 v[6:7], v[6:7], v[10:11]
	;; [unrolled: 3-line block ×3, first 2 shown]
.LBB194_98:
	s_or_b64 exec, exec, s[8:9]
	s_load_dwordx2 s[4:5], s[4:5], 0x78
	s_mul_hi_u32 s8, s7, s26
	s_mul_i32 s33, s33, s26
	s_add_i32 s8, s8, s33
	s_mul_i32 s10, s7, s26
	s_mul_i32 s8, s8, s27
	s_mul_hi_u32 s9, s10, s27
	s_add_i32 s9, s9, s8
	s_mul_i32 s8, s10, s27
	s_lshl_b64 s[8:9], s[8:9], 4
	s_waitcnt lgkmcnt(0)
	s_add_u32 s8, s4, s8
	s_mul_i32 s4, s6, s7
	s_addc_u32 s9, s5, s9
	s_ashr_i32 s5, s4, 31
	s_lshl_b64 s[4:5], s[4:5], 4
	s_add_u32 s7, s8, s4
	v_cmp_le_i32_e32 vcc, s28, v42
	s_addc_u32 s14, s9, s5
	s_and_b64 vcc, s[36:37], vcc
	s_cmp_lt_i32 s6, 1
	v_lshlrev_b32_e32 v155, 4, v42
	s_barrier
	s_cbranch_scc1 .LBB194_105
; %bb.99:
	s_mul_i32 s4, s30, s23
	s_mul_hi_u32 s5, s30, s22
	s_add_i32 s4, s5, s4
	s_mul_i32 s5, s31, s22
	s_add_i32 s5, s4, s5
	s_mul_i32 s4, s30, s22
	s_lshl_b64 s[4:5], s[4:5], 4
	v_mov_b32_e32 v4, s5
	v_subrev_co_u32_e64 v156, s[4:5], s4, v36
	v_subb_co_u32_e64 v157, s[4:5], v37, v4, s[4:5]
	v_mov_b32_e32 v4, s35
	v_subrev_co_u32_e64 v5, s[4:5], s34, v40
	v_subb_co_u32_e64 v4, s[4:5], v41, v4, s[4:5]
	v_lshlrev_b32_e32 v7, 2, v154
	v_sub_co_u32_e64 v8, s[4:5], v5, v38
	v_subb_co_u32_e64 v9, s[4:5], v4, v39, s[4:5]
	v_mad_u64_u32 v[4:5], s[4:5], v7, s24, 0
	v_mov_b32_e32 v6, v5
	v_mad_u64_u32 v[6:7], s[4:5], v7, s25, v[6:7]
	v_mov_b32_e32 v5, v6
	v_lshlrev_b64 v[4:5], 4, v[4:5]
	v_add_co_u32_e64 v4, s[4:5], v8, v4
	v_addc_co_u32_e64 v5, s[4:5], v9, v5, s[4:5]
	s_movk_i32 s4, 0xfe00
	v_add_co_u32_e64 v4, s[4:5], s4, v4
	v_addc_co_u32_e64 v5, s[4:5], -1, v5, s[4:5]
	s_ashr_i32 s29, s28, 31
	s_lshl_b64 s[4:5], s[28:29], 4
	v_mov_b32_e32 v6, s5
	v_add_co_u32_e64 v7, s[4:5], s4, v4
	v_addc_co_u32_e64 v6, s[4:5], v5, v6, s[4:5]
	v_add_co_u32_e64 v7, s[4:5], -16, v7
	v_addc_co_u32_e64 v6, s[4:5], -1, v6, s[4:5]
	v_add_co_u32_e64 v4, s[4:5], v4, v155
	v_addc_co_u32_e64 v5, s[4:5], 0, v5, s[4:5]
	v_cndmask_b32_e32 v8, v4, v7, vcc
	v_and_b32_e32 v4, 48, v42
	v_and_b32_e32 v10, 15, v42
	v_cndmask_b32_e32 v9, v5, v6, vcc
	v_lshlrev_b32_e32 v5, 4, v4
	s_movk_i32 s8, 0x430
	v_mad_u32_u24 v160, v10, s8, v5
	v_or_b32_e32 v5, 0xf0, v155
	v_mad_u32_u24 v161, v10, s8, v5
	v_lshlrev_b32_e32 v5, 2, v43
	v_and_b32_e32 v5, 0x7ffc0, v5
	v_mad_u32_u24 v162, v10, s8, v5
	v_mov_b32_e32 v5, 0x4300
	v_lshl_add_u32 v163, v154, 6, v5
	s_movk_i32 s9, 0x10c0
	v_and_b32_e32 v5, 0x1fff0, v43
	v_mad_u32_u24 v164, v154, s9, v155
	v_mad_u32_u24 v165, v10, s8, v5
	s_mul_i32 s8, s25, 0xd0
	s_mul_hi_u32 s9, s24, 0xd0
	s_lshl_b64 s[10:11], s[24:25], 4
	s_add_i32 s15, s9, s8
	v_mov_b32_e32 v151, 0
	v_add_u32_e32 v158, 0x4300, v155
	v_add_u32_e32 v159, 0x4700, v155
	v_cmp_gt_u32_e64 s[4:5], 64, v43
	s_mul_i32 s16, s24, 0xd0
	v_or_b32_e32 v166, v4, v10
	s_mov_b32 s17, 0
	v_mov_b32_e32 v167, s11
	v_mov_b32_e32 v168, s15
	s_branch .LBB194_101
.LBB194_100:                            ;   in Loop: Header=BB194_101 Depth=1
	s_or_b64 exec, exec, s[12:13]
	v_mul_f64 v[132:133], v[6:7], v[22:23]
	v_fma_f64 v[132:133], v[4:5], v[20:21], -v[132:133]
	v_mul_f64 v[4:5], v[4:5], v[22:23]
	v_mul_f64 v[22:23], v[10:11], v[42:43]
	v_add_f64 v[0:1], v[0:1], v[132:133]
	v_fma_f64 v[22:23], v[8:9], v[40:41], -v[22:23]
	v_add_f64 v[0:1], v[0:1], v[22:23]
	v_mul_f64 v[22:23], v[14:15], v[46:47]
	v_fma_f64 v[22:23], v[12:13], v[44:45], -v[22:23]
	v_add_f64 v[0:1], v[0:1], v[22:23]
	v_mul_f64 v[22:23], v[18:19], v[50:51]
	v_fmac_f64_e32 v[4:5], v[6:7], v[20:21]
	v_fma_f64 v[22:23], v[16:17], v[48:49], -v[22:23]
	v_add_f64 v[2:3], v[2:3], v[4:5]
	v_mul_f64 v[4:5], v[26:27], v[70:71]
	v_add_f64 v[0:1], v[0:1], v[22:23]
	v_fma_f64 v[4:5], v[24:25], v[68:69], -v[4:5]
	v_add_f64 v[0:1], v[0:1], v[4:5]
	v_mul_f64 v[4:5], v[34:35], v[82:83]
	v_fma_f64 v[4:5], v[32:33], v[80:81], -v[4:5]
	v_add_f64 v[0:1], v[0:1], v[4:5]
	v_mul_f64 v[4:5], v[30:31], v[78:79]
	;; [unrolled: 3-line block ×4, first 2 shown]
	v_mul_f64 v[8:9], v[8:9], v[42:43]
	v_fma_f64 v[4:5], v[52:53], v[100:101], -v[4:5]
	v_mul_f64 v[12:13], v[12:13], v[46:47]
	v_fmac_f64_e32 v[8:9], v[10:11], v[40:41]
	v_add_f64 v[0:1], v[0:1], v[4:5]
	v_mul_f64 v[4:5], v[62:63], v[118:119]
	v_mul_f64 v[16:17], v[16:17], v[50:51]
	v_add_f64 v[2:3], v[2:3], v[8:9]
	v_fmac_f64_e32 v[12:13], v[14:15], v[44:45]
	v_fma_f64 v[4:5], v[60:61], v[116:117], -v[4:5]
	v_add_f64 v[2:3], v[2:3], v[12:13]
	v_fmac_f64_e32 v[16:17], v[18:19], v[48:49]
	v_mul_f64 v[6:7], v[24:25], v[70:71]
	v_add_f64 v[0:1], v[0:1], v[4:5]
	v_mul_f64 v[4:5], v[58:59], v[114:115]
	v_add_f64 v[2:3], v[2:3], v[16:17]
	v_mul_f64 v[8:9], v[32:33], v[82:83]
	v_fmac_f64_e32 v[6:7], v[26:27], v[68:69]
	v_fma_f64 v[4:5], v[56:57], v[112:113], -v[4:5]
	v_mul_f64 v[10:11], v[28:29], v[78:79]
	v_add_f64 v[2:3], v[2:3], v[6:7]
	v_fmac_f64_e32 v[8:9], v[34:35], v[80:81]
	v_add_f64 v[0:1], v[0:1], v[4:5]
	v_mul_f64 v[4:5], v[66:67], v[110:111]
	v_mul_f64 v[12:13], v[36:37], v[74:75]
	v_add_f64 v[2:3], v[2:3], v[8:9]
	v_fmac_f64_e32 v[10:11], v[30:31], v[76:77]
	v_fma_f64 v[4:5], v[64:65], v[108:109], -v[4:5]
	v_add_f64 v[2:3], v[2:3], v[10:11]
	v_fmac_f64_e32 v[12:13], v[38:39], v[72:73]
	v_mul_f64 v[6:7], v[52:53], v[102:103]
	v_add_f64 v[0:1], v[0:1], v[4:5]
	v_mul_f64 v[4:5], v[90:91], v[106:107]
	v_add_f64 v[2:3], v[2:3], v[12:13]
	v_mul_f64 v[8:9], v[60:61], v[118:119]
	v_fmac_f64_e32 v[6:7], v[54:55], v[100:101]
	v_fma_f64 v[4:5], v[88:89], v[104:105], -v[4:5]
	v_mul_f64 v[10:11], v[56:57], v[114:115]
	v_add_f64 v[2:3], v[2:3], v[6:7]
	v_fmac_f64_e32 v[8:9], v[62:63], v[116:117]
	v_add_f64 v[0:1], v[0:1], v[4:5]
	v_mul_f64 v[4:5], v[94:95], v[122:123]
	v_mul_f64 v[12:13], v[64:65], v[110:111]
	v_add_f64 v[2:3], v[2:3], v[8:9]
	v_fmac_f64_e32 v[10:11], v[58:59], v[112:113]
	v_fma_f64 v[4:5], v[92:93], v[120:121], -v[4:5]
	v_add_f64 v[2:3], v[2:3], v[10:11]
	v_fmac_f64_e32 v[12:13], v[66:67], v[108:109]
	v_mul_f64 v[6:7], v[88:89], v[106:107]
	v_add_f64 v[0:1], v[0:1], v[4:5]
	v_mul_f64 v[4:5], v[86:87], v[126:127]
	v_add_f64 v[2:3], v[2:3], v[12:13]
	v_mul_f64 v[8:9], v[92:93], v[122:123]
	v_fma_f64 v[4:5], v[84:85], v[124:125], -v[4:5]
	v_fmac_f64_e32 v[6:7], v[90:91], v[104:105]
	v_mul_f64 v[10:11], v[84:85], v[126:127]
	v_add_f64 v[0:1], v[0:1], v[4:5]
	v_mul_f64 v[4:5], v[98:99], v[130:131]
	v_fmac_f64_e32 v[8:9], v[94:95], v[120:121]
	v_add_f64 v[2:3], v[2:3], v[6:7]
	v_fma_f64 v[4:5], v[96:97], v[128:129], -v[4:5]
	v_mul_f64 v[12:13], v[96:97], v[130:131]
	v_fmac_f64_e32 v[10:11], v[86:87], v[124:125]
	v_add_f64 v[2:3], v[2:3], v[8:9]
	v_add_f64 v[0:1], v[0:1], v[4:5]
	v_fmac_f64_e32 v[12:13], v[98:99], v[128:129]
	v_add_f64 v[2:3], v[2:3], v[10:11]
	s_add_i32 s17, s17, 64
	s_add_i32 s6, s6, -1
	v_mov_b32_e32 v4, s15
	v_add_co_u32_e64 v8, s[8:9], s16, v152
	v_add_f64 v[2:3], v[2:3], v[12:13]
	s_cmp_eq_u32 s6, 0
	v_addc_co_u32_e64 v9, s[8:9], v153, v4, s[8:9]
	s_barrier
	s_cbranch_scc1 .LBB194_105
.LBB194_101:                            ; =>This Inner Loop Header: Depth=1
	s_and_saveexec_b64 s[12:13], s[2:3]
	s_cbranch_execz .LBB194_103
; %bb.102:                              ;   in Loop: Header=BB194_101 Depth=1
	s_mul_i32 s8, s17, s23
	s_mul_hi_u32 s9, s17, s22
	s_add_i32 s9, s9, s8
	s_mul_i32 s8, s17, s22
	s_lshl_b64 s[8:9], s[8:9], 4
	v_mov_b32_e32 v5, s9
	v_add_co_u32_e64 v4, s[8:9], s8, v156
	v_addc_co_u32_e64 v5, s[8:9], v157, v5, s[8:9]
	flat_load_dwordx4 v[4:7], v[4:5]
	s_waitcnt vmcnt(0) lgkmcnt(0)
	ds_write2_b64 v158, v[4:5], v[6:7] offset1:1
.LBB194_103:                            ;   in Loop: Header=BB194_101 Depth=1
	s_or_b64 exec, exec, s[12:13]
	v_add_co_u32_e64 v12, s[8:9], s10, v8
	v_addc_co_u32_e64 v13, s[8:9], v9, v167, s[8:9]
	v_add_co_u32_e64 v16, s[8:9], s10, v12
	s_waitcnt lgkmcnt(0)
	s_barrier
	flat_load_dwordx4 v[4:7], v[8:9]
	v_addc_co_u32_e64 v17, s[8:9], v13, v167, s[8:9]
	flat_load_dwordx4 v[8:11], v[12:13]
	v_add_co_u32_e64 v28, s[8:9], s10, v16
	flat_load_dwordx4 v[12:15], v[16:17]
	v_addc_co_u32_e64 v29, s[8:9], v17, v167, s[8:9]
	flat_load_dwordx4 v[16:19], v[28:29]
	ds_read_b128 v[24:27], v159
	ds_read_b128 v[20:23], v163
	v_add_co_u32_e64 v36, s[8:9], s16, v28
	v_addc_co_u32_e64 v37, s[8:9], v29, v168, s[8:9]
	v_add_co_u32_e64 v38, s[8:9], s10, v36
	v_addc_co_u32_e64 v39, s[8:9], v37, v167, s[8:9]
	;; [unrolled: 2-line block ×3, first 2 shown]
	s_waitcnt vmcnt(0) lgkmcnt(0)
	v_mul_f64 v[28:29], v[6:7], v[26:27]
	v_mul_f64 v[30:31], v[4:5], v[26:27]
	v_fma_f64 v[28:29], v[4:5], v[24:25], -v[28:29]
	v_fmac_f64_e32 v[30:31], v[6:7], v[24:25]
	v_mul_f64 v[34:35], v[10:11], v[26:27]
	v_mul_f64 v[32:33], v[8:9], v[26:27]
	ds_write_b128 v164, v[28:31]
	v_fma_f64 v[30:31], v[8:9], v[24:25], -v[34:35]
	v_fmac_f64_e32 v[32:33], v[10:11], v[24:25]
	v_mul_f64 v[28:29], v[14:15], v[26:27]
	v_mul_f64 v[34:35], v[12:13], v[26:27]
	ds_read_b128 v[40:43], v163 offset:16
	ds_write_b128 v164, v[30:33] offset:1072
	v_fma_f64 v[32:33], v[12:13], v[24:25], -v[28:29]
	v_fmac_f64_e32 v[34:35], v[14:15], v[24:25]
	v_mul_f64 v[30:31], v[18:19], v[26:27]
	v_mul_f64 v[28:29], v[16:17], v[26:27]
	ds_read_b128 v[44:47], v163 offset:32
	ds_write_b128 v164, v[32:35] offset:2144
	v_fma_f64 v[26:27], v[16:17], v[24:25], -v[30:31]
	v_fmac_f64_e32 v[28:29], v[18:19], v[24:25]
	ds_read_b128 v[48:51], v163 offset:48
	ds_write_b128 v164, v[26:29] offset:3216
	s_waitcnt lgkmcnt(0)
	s_barrier
	ds_read_b128 v[128:131], v162
	ds_read_b128 v[124:127], v162 offset:16
	ds_read_b128 v[120:123], v162 offset:32
	;; [unrolled: 1-line block ×3, first 2 shown]
	s_waitcnt lgkmcnt(0)
	s_barrier
	flat_load_dwordx4 v[24:27], v[36:37]
	flat_load_dwordx4 v[32:35], v[38:39]
	flat_load_dwordx4 v[28:31], v[52:53]
	v_add_co_u32_e64 v52, s[8:9], s10, v52
	v_addc_co_u32_e64 v53, s[8:9], v53, v167, s[8:9]
	flat_load_dwordx4 v[36:39], v[52:53]
	v_add_co_u32_e64 v66, s[8:9], s16, v52
	v_addc_co_u32_e64 v67, s[8:9], v53, v168, s[8:9]
	ds_read_b128 v[52:55], v159
	ds_read_b128 v[68:71], v163 offset:256
	v_add_co_u32_e64 v88, s[8:9], s10, v66
	v_addc_co_u32_e64 v89, s[8:9], v67, v167, s[8:9]
	v_add_co_u32_e64 v90, s[8:9], s10, v88
	v_addc_co_u32_e64 v91, s[8:9], v89, v167, s[8:9]
	v_add_f64 v[128:129], v[128:129], 0
	v_add_f64 v[130:131], v[130:131], 0
	;; [unrolled: 1-line block ×7, first 2 shown]
	s_waitcnt vmcnt(0) lgkmcnt(0)
	v_mul_f64 v[58:59], v[26:27], v[54:55]
	v_mul_f64 v[56:57], v[24:25], v[54:55]
	;; [unrolled: 1-line block ×6, first 2 shown]
	v_fmac_f64_e32 v[56:57], v[26:27], v[52:53]
	v_mul_f64 v[74:75], v[38:39], v[54:55]
	v_mul_f64 v[86:87], v[36:37], v[54:55]
	v_fma_f64 v[54:55], v[24:25], v[52:53], -v[58:59]
	v_fma_f64 v[58:59], v[32:33], v[52:53], -v[62:63]
	v_fmac_f64_e32 v[60:61], v[34:35], v[52:53]
	ds_write_b128 v164, v[54:57]
	v_fma_f64 v[62:63], v[28:29], v[52:53], -v[72:73]
	v_fmac_f64_e32 v[64:65], v[30:31], v[52:53]
	ds_read_b128 v[80:83], v163 offset:272
	ds_write_b128 v164, v[58:61] offset:1072
	v_fma_f64 v[84:85], v[36:37], v[52:53], -v[74:75]
	v_fmac_f64_e32 v[86:87], v[38:39], v[52:53]
	ds_read_b128 v[76:79], v163 offset:288
	ds_write_b128 v164, v[62:65] offset:2144
	ds_read_b128 v[72:75], v163 offset:304
	ds_write_b128 v164, v[84:87] offset:3216
	v_add_co_u32_e64 v84, s[8:9], s10, v90
	v_addc_co_u32_e64 v85, s[8:9], v91, v167, s[8:9]
	s_waitcnt lgkmcnt(0)
	s_barrier
	ds_read_b128 v[144:147], v162
	ds_read_b128 v[140:143], v162 offset:16
	ds_read_b128 v[136:139], v162 offset:32
	ds_read_b128 v[132:135], v162 offset:48
	s_waitcnt lgkmcnt(0)
	s_barrier
	flat_load_dwordx4 v[52:55], v[66:67]
	flat_load_dwordx4 v[60:63], v[88:89]
	;; [unrolled: 1-line block ×3, first 2 shown]
	v_add_co_u32_e64 v98, s[8:9], s16, v84
	flat_load_dwordx4 v[64:67], v[84:85]
	v_addc_co_u32_e64 v99, s[8:9], v85, v168, s[8:9]
	ds_read_b128 v[84:87], v159
	ds_read_b128 v[100:103], v163 offset:512
	v_add_co_u32_e64 v152, s[8:9], s10, v98
	v_addc_co_u32_e64 v153, s[8:9], v99, v167, s[8:9]
	v_add_co_u32_e64 v186, s[8:9], s10, v152
	v_addc_co_u32_e64 v187, s[8:9], v153, v167, s[8:9]
	v_add_f64 v[106:107], v[146:147], 0
	v_add_f64 v[106:107], v[106:107], v[142:143]
	;; [unrolled: 1-line block ×4, first 2 shown]
	s_waitcnt vmcnt(0) lgkmcnt(0)
	v_mul_f64 v[90:91], v[54:55], v[86:87]
	v_mul_f64 v[88:89], v[52:53], v[86:87]
	v_mul_f64 v[94:95], v[62:63], v[86:87]
	v_mul_f64 v[92:93], v[60:61], v[86:87]
	v_mul_f64 v[108:109], v[58:59], v[86:87]
	v_mul_f64 v[96:97], v[56:57], v[86:87]
	v_mul_f64 v[110:111], v[66:67], v[86:87]
	v_mul_f64 v[172:173], v[64:65], v[86:87]
	v_fma_f64 v[86:87], v[52:53], v[84:85], -v[90:91]
	v_fmac_f64_e32 v[88:89], v[54:55], v[84:85]
	v_fma_f64 v[90:91], v[60:61], v[84:85], -v[94:95]
	v_fmac_f64_e32 v[92:93], v[62:63], v[84:85]
	ds_write_b128 v164, v[86:89]
	v_fma_f64 v[94:95], v[56:57], v[84:85], -v[108:109]
	v_fmac_f64_e32 v[96:97], v[58:59], v[84:85]
	ds_read_b128 v[116:119], v163 offset:528
	ds_write_b128 v164, v[90:93] offset:1072
	v_fma_f64 v[170:171], v[64:65], v[84:85], -v[110:111]
	v_fmac_f64_e32 v[172:173], v[66:67], v[84:85]
	ds_read_b128 v[112:115], v163 offset:544
	ds_write_b128 v164, v[94:97] offset:2144
	ds_read_b128 v[108:111], v163 offset:560
	ds_write_b128 v164, v[170:173] offset:3216
	s_waitcnt lgkmcnt(0)
	s_barrier
	ds_read_b128 v[170:173], v162
	ds_read_b128 v[174:177], v162 offset:16
	ds_read_b128 v[178:181], v162 offset:32
	;; [unrolled: 1-line block ×3, first 2 shown]
	s_waitcnt lgkmcnt(0)
	s_barrier
	flat_load_dwordx4 v[88:91], v[98:99]
	flat_load_dwordx4 v[92:95], v[152:153]
	;; [unrolled: 1-line block ×3, first 2 shown]
	v_add_co_u32_e64 v152, s[8:9], s10, v186
	v_addc_co_u32_e64 v153, s[8:9], v187, v167, s[8:9]
	flat_load_dwordx4 v[96:99], v[152:153]
	v_add_f64 v[186:187], v[120:121], v[104:105]
	v_add_f64 v[104:105], v[144:145], 0
	;; [unrolled: 1-line block ×5, first 2 shown]
	ds_read_b128 v[120:123], v159
	ds_read_b128 v[104:107], v163 offset:768
	v_add_f64 v[124:125], v[170:171], 0
	v_add_f64 v[126:127], v[172:173], 0
	;; [unrolled: 1-line block ×8, first 2 shown]
	s_waitcnt vmcnt(0) lgkmcnt(0)
	v_mul_f64 v[126:127], v[90:91], v[122:123]
	v_mul_f64 v[124:125], v[88:89], v[122:123]
	;; [unrolled: 1-line block ×6, first 2 shown]
	v_fmac_f64_e32 v[124:125], v[90:91], v[120:121]
	v_mul_f64 v[144:145], v[98:99], v[122:123]
	v_mul_f64 v[146:147], v[96:97], v[122:123]
	v_fma_f64 v[122:123], v[88:89], v[120:121], -v[126:127]
	v_fma_f64 v[126:127], v[92:93], v[120:121], -v[130:131]
	v_fmac_f64_e32 v[128:129], v[94:95], v[120:121]
	ds_write_b128 v164, v[122:125]
	v_fma_f64 v[140:141], v[84:85], v[120:121], -v[140:141]
	v_fma_f64 v[144:145], v[96:97], v[120:121], -v[144:145]
	v_fmac_f64_e32 v[142:143], v[86:87], v[120:121]
	v_fmac_f64_e32 v[146:147], v[98:99], v[120:121]
	ds_read_b128 v[120:123], v163 offset:784
	ds_write_b128 v164, v[126:129] offset:1072
	ds_read_b128 v[124:127], v163 offset:800
	ds_write_b128 v164, v[140:143] offset:2144
	;; [unrolled: 2-line block ×3, first 2 shown]
	s_waitcnt lgkmcnt(0)
	s_barrier
	ds_read_b128 v[140:143], v162
	ds_read_b128 v[144:147], v162 offset:16
	ds_read_b128 v[170:173], v162 offset:32
	;; [unrolled: 1-line block ×3, first 2 shown]
	s_waitcnt lgkmcnt(0)
	s_barrier
	ds_write_b128 v165, v[186:189]
	ds_write_b128 v165, v[132:135] offset:256
	ds_write_b128 v165, v[136:139] offset:512
	v_add_f64 v[132:133], v[140:141], 0
	v_add_f64 v[134:135], v[142:143], 0
	;; [unrolled: 1-line block ×8, first 2 shown]
	ds_write_b128 v165, v[132:135] offset:768
	s_waitcnt lgkmcnt(0)
	s_barrier
	s_and_saveexec_b64 s[12:13], s[4:5]
	s_cbranch_execz .LBB194_100
; %bb.104:                              ;   in Loop: Header=BB194_101 Depth=1
	ds_read_b128 v[132:135], v160
	ds_read_b128 v[136:139], v160 offset:16
	ds_read_b128 v[140:143], v160 offset:32
	ds_read_b128 v[144:147], v160 offset:48
	v_add_u32_e32 v150, s17, v166
	s_waitcnt lgkmcnt(2)
	v_add_f64 v[132:133], v[136:137], v[132:133]
	v_add_f64 v[136:137], v[138:139], v[134:135]
	s_waitcnt lgkmcnt(1)
	v_add_f64 v[138:139], v[132:133], v[140:141]
	ds_read_b128 v[132:135], v160 offset:64
	v_add_f64 v[140:141], v[136:137], v[142:143]
	s_waitcnt lgkmcnt(1)
	v_add_f64 v[142:143], v[138:139], v[144:145]
	ds_read_b128 v[136:139], v160 offset:80
	;; [unrolled: 4-line block ×9, first 2 shown]
	v_add_f64 v[134:135], v[144:145], v[134:135]
	s_waitcnt lgkmcnt(1)
	v_add_f64 v[136:137], v[132:133], v[136:137]
	v_add_f64 v[144:145], v[134:135], v[138:139]
	ds_read_b128 v[132:135], v160 offset:208
	s_waitcnt lgkmcnt(1)
	v_add_f64 v[146:147], v[136:137], v[140:141]
	ds_read_b128 v[136:139], v160 offset:224
	v_add_f64 v[144:145], v[144:145], v[142:143]
	ds_read_b128 v[140:143], v161
	s_waitcnt lgkmcnt(2)
	v_add_f64 v[132:133], v[146:147], v[132:133]
	v_add_f64 v[134:135], v[144:145], v[134:135]
	s_waitcnt lgkmcnt(1)
	v_add_f64 v[132:133], v[132:133], v[136:137]
	v_lshlrev_b64 v[136:137], 4, v[150:151]
	v_add_f64 v[134:135], v[134:135], v[138:139]
	v_mov_b32_e32 v138, s14
	v_add_co_u32_e64 v136, s[8:9], s7, v136
	s_waitcnt lgkmcnt(0)
	v_add_f64 v[132:133], v[132:133], v[140:141]
	v_add_f64 v[134:135], v[134:135], v[142:143]
	v_addc_co_u32_e64 v137, s[8:9], v138, v137, s[8:9]
	global_store_dwordx4 v[136:137], v[132:135], off
	s_branch .LBB194_100
.LBB194_105:
	s_movk_i32 s2, 0x430
	s_or_b64 s[0:1], s[0:1], vcc
	v_mad_u32_u24 v4, v154, s2, v155
	s_xor_b64 s[0:1], s[0:1], -1
	ds_write_b128 v4, v[0:3]
	s_waitcnt lgkmcnt(0)
	s_barrier
	s_and_saveexec_b64 s[2:3], s[0:1]
	s_cbranch_execz .LBB194_107
; %bb.106:
	ds_read_b128 v[0:3], v155 offset:1072
	ds_read_b128 v[4:7], v155
	ds_read_b128 v[8:11], v155 offset:2144
	ds_read_b128 v[12:15], v155 offset:3216
	s_waitcnt lgkmcnt(2)
	v_add_f64 v[0:1], v[0:1], v[4:5]
	v_add_f64 v[2:3], v[2:3], v[6:7]
	v_lshlrev_b64 v[4:5], 4, v[148:149]
	s_waitcnt lgkmcnt(1)
	v_add_f64 v[0:1], v[0:1], v[8:9]
	v_add_f64 v[2:3], v[2:3], v[10:11]
	v_mov_b32_e32 v6, s14
	v_add_co_u32_e32 v4, vcc, s7, v4
	s_waitcnt lgkmcnt(0)
	v_add_f64 v[0:1], v[0:1], v[12:13]
	v_add_f64 v[2:3], v[2:3], v[14:15]
	v_addc_co_u32_e32 v5, vcc, v6, v5, vcc
	global_store_dwordx4 v[4:5], v[0:3], off
.LBB194_107:
	s_endpgm
	.section	.rodata,"a",@progbits
	.p2align	6, 0x0
	.amdhsa_kernel _ZL26rocblas_hemvn_kernel_lowerILb0ELi64ELi4ELi33ELi32ELi16El19rocblas_complex_numIdEPKPKS1_PS1_EviT6_lT7_lT5_lS8_lS9_lS7_lT8_i
		.amdhsa_group_segment_fixed_size 19200
		.amdhsa_private_segment_fixed_size 0
		.amdhsa_kernarg_size 392
		.amdhsa_user_sgpr_count 6
		.amdhsa_user_sgpr_private_segment_buffer 1
		.amdhsa_user_sgpr_dispatch_ptr 0
		.amdhsa_user_sgpr_queue_ptr 0
		.amdhsa_user_sgpr_kernarg_segment_ptr 1
		.amdhsa_user_sgpr_dispatch_id 0
		.amdhsa_user_sgpr_flat_scratch_init 0
		.amdhsa_user_sgpr_kernarg_preload_length 0
		.amdhsa_user_sgpr_kernarg_preload_offset 0
		.amdhsa_user_sgpr_private_segment_size 0
		.amdhsa_uses_dynamic_stack 0
		.amdhsa_system_sgpr_private_segment_wavefront_offset 0
		.amdhsa_system_sgpr_workgroup_id_x 1
		.amdhsa_system_sgpr_workgroup_id_y 0
		.amdhsa_system_sgpr_workgroup_id_z 1
		.amdhsa_system_sgpr_workgroup_info 0
		.amdhsa_system_vgpr_workitem_id 1
		.amdhsa_next_free_vgpr 190
		.amdhsa_next_free_sgpr 44
		.amdhsa_accum_offset 192
		.amdhsa_reserve_vcc 1
		.amdhsa_reserve_flat_scratch 0
		.amdhsa_float_round_mode_32 0
		.amdhsa_float_round_mode_16_64 0
		.amdhsa_float_denorm_mode_32 3
		.amdhsa_float_denorm_mode_16_64 3
		.amdhsa_dx10_clamp 1
		.amdhsa_ieee_mode 1
		.amdhsa_fp16_overflow 0
		.amdhsa_tg_split 0
		.amdhsa_exception_fp_ieee_invalid_op 0
		.amdhsa_exception_fp_denorm_src 0
		.amdhsa_exception_fp_ieee_div_zero 0
		.amdhsa_exception_fp_ieee_overflow 0
		.amdhsa_exception_fp_ieee_underflow 0
		.amdhsa_exception_fp_ieee_inexact 0
		.amdhsa_exception_int_div_zero 0
	.end_amdhsa_kernel
	.section	.text._ZL26rocblas_hemvn_kernel_lowerILb0ELi64ELi4ELi33ELi32ELi16El19rocblas_complex_numIdEPKPKS1_PS1_EviT6_lT7_lT5_lS8_lS9_lS7_lT8_i,"axG",@progbits,_ZL26rocblas_hemvn_kernel_lowerILb0ELi64ELi4ELi33ELi32ELi16El19rocblas_complex_numIdEPKPKS1_PS1_EviT6_lT7_lT5_lS8_lS9_lS7_lT8_i,comdat
.Lfunc_end194:
	.size	_ZL26rocblas_hemvn_kernel_lowerILb0ELi64ELi4ELi33ELi32ELi16El19rocblas_complex_numIdEPKPKS1_PS1_EviT6_lT7_lT5_lS8_lS9_lS7_lT8_i, .Lfunc_end194-_ZL26rocblas_hemvn_kernel_lowerILb0ELi64ELi4ELi33ELi32ELi16El19rocblas_complex_numIdEPKPKS1_PS1_EviT6_lT7_lT5_lS8_lS9_lS7_lT8_i
                                        ; -- End function
	.section	.AMDGPU.csdata,"",@progbits
; Kernel info:
; codeLenInByte = 9208
; NumSgprs: 48
; NumVgprs: 190
; NumAgprs: 0
; TotalNumVgprs: 190
; ScratchSize: 0
; MemoryBound: 0
; FloatMode: 240
; IeeeMode: 1
; LDSByteSize: 19200 bytes/workgroup (compile time only)
; SGPRBlocks: 5
; VGPRBlocks: 23
; NumSGPRsForWavesPerEU: 48
; NumVGPRsForWavesPerEU: 190
; AccumOffset: 192
; Occupancy: 2
; WaveLimiterHint : 0
; COMPUTE_PGM_RSRC2:SCRATCH_EN: 0
; COMPUTE_PGM_RSRC2:USER_SGPR: 6
; COMPUTE_PGM_RSRC2:TRAP_HANDLER: 0
; COMPUTE_PGM_RSRC2:TGID_X_EN: 1
; COMPUTE_PGM_RSRC2:TGID_Y_EN: 0
; COMPUTE_PGM_RSRC2:TGID_Z_EN: 1
; COMPUTE_PGM_RSRC2:TIDIG_COMP_CNT: 1
; COMPUTE_PGM_RSRC3_GFX90A:ACCUM_OFFSET: 47
; COMPUTE_PGM_RSRC3_GFX90A:TG_SPLIT: 0
	.section	.text._ZL26rocblas_hemvn_kernel_lowerILb0ELi64ELi4ELi33ELi32ELi16Ei19rocblas_complex_numIdEPKPKS1_PS1_EviT6_lT7_lT5_lS8_lS9_lS7_lT8_i,"axG",@progbits,_ZL26rocblas_hemvn_kernel_lowerILb0ELi64ELi4ELi33ELi32ELi16Ei19rocblas_complex_numIdEPKPKS1_PS1_EviT6_lT7_lT5_lS8_lS9_lS7_lT8_i,comdat
	.globl	_ZL26rocblas_hemvn_kernel_lowerILb0ELi64ELi4ELi33ELi32ELi16Ei19rocblas_complex_numIdEPKPKS1_PS1_EviT6_lT7_lT5_lS8_lS9_lS7_lT8_i ; -- Begin function _ZL26rocblas_hemvn_kernel_lowerILb0ELi64ELi4ELi33ELi32ELi16Ei19rocblas_complex_numIdEPKPKS1_PS1_EviT6_lT7_lT5_lS8_lS9_lS7_lT8_i
	.p2align	8
	.type	_ZL26rocblas_hemvn_kernel_lowerILb0ELi64ELi4ELi33ELi32ELi16Ei19rocblas_complex_numIdEPKPKS1_PS1_EviT6_lT7_lT5_lS8_lS9_lS7_lT8_i,@function
_ZL26rocblas_hemvn_kernel_lowerILb0ELi64ELi4ELi33ELi32ELi16Ei19rocblas_complex_numIdEPKPKS1_PS1_EviT6_lT7_lT5_lS8_lS9_lS7_lT8_i: ; @_ZL26rocblas_hemvn_kernel_lowerILb0ELi64ELi4ELi33ELi32ELi16Ei19rocblas_complex_numIdEPKPKS1_PS1_EviT6_lT7_lT5_lS8_lS9_lS7_lT8_i
; %bb.0:
	s_load_dwordx2 s[0:1], s[4:5], 0x94
	s_add_u32 s2, s4, 0x88
	s_mov_b32 s22, s7
	s_addc_u32 s3, s5, 0
	s_waitcnt lgkmcnt(0)
	s_lshr_b32 s7, s0, 16
	s_and_b32 s0, s0, 0xffff
	s_and_b32 s1, s1, 0xffff
	s_mul_i32 s0, s7, s0
	s_mul_i32 s0, s0, s1
	s_cmpk_lg_i32 s0, 0x100
	s_cbranch_scc1 .LBB195_107
; %bb.1:
	s_load_dwordx4 s[8:11], s[4:5], 0x8
	s_mov_b64 s[0:1], 0
	s_waitcnt lgkmcnt(0)
	v_cmp_neq_f64_e64 s[8:9], s[8:9], 0
	v_cmp_neq_f64_e64 s[10:11], s[10:11], 0
	s_or_b64 s[10:11], s[8:9], s[10:11]
	s_and_b64 vcc, exec, s[10:11]
	s_cbranch_vccnz .LBB195_3
; %bb.2:
	s_load_dwordx4 s[12:15], s[4:5], 0x60
	s_mov_b64 s[8:9], 0
	s_waitcnt lgkmcnt(0)
	v_cmp_neq_f64_e64 s[0:1], s[12:13], 1.0
	v_cmp_neq_f64_e64 s[12:13], s[14:15], 0
	s_or_b64 s[0:1], s[0:1], s[12:13]
	s_cbranch_execz .LBB195_4
	s_branch .LBB195_5
.LBB195_3:
	s_mov_b64 s[8:9], -1
.LBB195_4:
	s_load_dwordx4 s[12:15], s[4:5], 0x20
	s_mov_b32 s23, 0
	s_lshl_b64 s[0:1], s[22:23], 3
	s_waitcnt lgkmcnt(0)
	s_add_u32 s0, s12, s0
	s_addc_u32 s1, s13, s1
	s_load_dwordx2 s[0:1], s[0:1], 0x0
	s_lshl_b64 s[8:9], s[14:15], 4
	s_waitcnt lgkmcnt(0)
	s_add_u32 s8, s0, s8
	s_addc_u32 s9, s1, s9
	s_mov_b64 s[0:1], -1
.LBB195_5:
	s_andn2_b64 vcc, exec, s[0:1]
	s_cbranch_vccnz .LBB195_107
; %bb.6:
	v_cndmask_b32_e64 v1, 0, 1, s[10:11]
	v_cmp_ne_u32_e64 s[0:1], 1, v1
	s_andn2_b64 vcc, exec, s[10:11]
	s_mov_b64 s[10:11], 0
	s_cbranch_vccnz .LBB195_8
; %bb.7:
	s_load_dwordx4 s[12:15], s[4:5], 0x40
	s_mov_b32 s23, 0
	s_lshl_b64 s[10:11], s[22:23], 3
	s_waitcnt lgkmcnt(0)
	s_add_u32 s10, s12, s10
	s_addc_u32 s11, s13, s11
	s_load_dwordx2 s[10:11], s[10:11], 0x0
	s_lshl_b64 s[12:13], s[14:15], 4
	s_waitcnt lgkmcnt(0)
	s_add_u32 s10, s10, s12
	s_addc_u32 s11, s11, s13
.LBB195_8:
	s_and_b64 vcc, exec, s[0:1]
	s_cbranch_vccnz .LBB195_107
; %bb.9:
	s_load_dword s33, s[2:3], 0x0
	s_load_dword s23, s[4:5], 0x0
	s_load_dword s7, s[4:5], 0x50
	v_and_b32_e32 v42, 0x3ff, v0
	s_lshl_b32 s26, s6, 6
	v_add_u32_e32 v148, s26, v42
	s_waitcnt lgkmcnt(0)
	s_ashr_i32 s42, s23, 31
	s_lshr_b32 s1, s42, 26
	v_bfe_u32 v149, v0, 10, 10
	s_add_i32 s1, s23, s1
	v_mul_lo_u32 v0, v148, s7
	s_andn2_b32 s1, s1, 63
	v_ashrrev_i32_e32 v1, 31, v0
	s_add_i32 s0, s33, -1
	s_sub_i32 s1, s23, s1
	v_lshlrev_b64 v[0:1], 4, v[0:1]
	s_cmp_eq_u32 s6, s0
	v_mov_b32_e32 v2, s11
	v_add_co_u32_e32 v36, vcc, s10, v0
	s_cselect_b32 s24, s1, 0
	v_addc_co_u32_e32 v37, vcc, v2, v1, vcc
	v_cmp_ne_u32_e64 s[0:1], 0, v149
	v_cmp_eq_u32_e64 s[2:3], 0, v149
	s_and_saveexec_b64 s[10:11], s[2:3]
	s_cbranch_execz .LBB195_14
; %bb.10:
	s_cmp_lg_u32 s24, 0
	s_cselect_b64 s[12:13], -1, 0
	v_cmp_le_i32_e32 vcc, s24, v42
	v_mov_b32_e32 v0, 0x4700
	s_and_b64 s[12:13], s[12:13], vcc
	v_lshl_add_u32 v0, v42, 4, v0
	s_and_saveexec_b64 s[14:15], s[12:13]
	s_xor_b64 s[12:13], exec, s[14:15]
	s_cbranch_execz .LBB195_12
; %bb.11:
	v_mov_b32_e32 v2, 0
	v_mov_b32_e32 v3, v2
	;; [unrolled: 1-line block ×4, first 2 shown]
	ds_write_b128 v0, v[2:5]
                                        ; implicit-def: $vgpr0
.LBB195_12:
	s_andn2_saveexec_b64 s[12:13], s[12:13]
	s_cbranch_execz .LBB195_14
; %bb.13:
	flat_load_dwordx4 v[2:5], v[36:37]
	s_waitcnt vmcnt(0) lgkmcnt(0)
	ds_write2_b64 v0, v[2:3], v[4:5] offset1:1
.LBB195_14:
	s_or_b64 exec, exec, s[10:11]
	s_load_dword s28, s[4:5], 0x30
	s_ashr_i32 s27, s26, 31
	v_lshl_add_u32 v43, v149, 6, v42
	s_lshl_b64 s[10:11], s[26:27], 4
	v_and_b32_e32 v4, 31, v42
	v_lshrrev_b32_e32 v5, 5, v43
	s_add_u32 s10, s8, s10
	s_addc_u32 s11, s9, s11
	s_waitcnt lgkmcnt(0)
	v_mad_u64_u32 v[0:1], s[8:9], v5, s28, v[4:5]
	s_mul_i32 s8, s26, s28
	s_ashr_i32 s9, s8, 31
	s_lshl_b64 s[30:31], s[8:9], 4
	v_ashrrev_i32_e32 v1, 31, v0
	s_add_u32 s8, s30, s10
	v_lshlrev_b64 v[38:39], 4, v[0:1]
	s_addc_u32 s9, s31, s11
	v_mov_b32_e32 v0, s9
	v_add_co_u32_e32 v6, vcc, s8, v38
	s_cmp_lg_u32 s24, 0
	v_addc_co_u32_e32 v7, vcc, v0, v39, vcc
	s_cselect_b64 s[34:35], -1, 0
	s_cmp_eq_u32 s24, 0
	s_cselect_b64 s[36:37], -1, 0
	s_and_b64 vcc, exec, s[34:35]
	s_cbranch_vccnz .LBB195_16
; %bb.15:
	flat_load_dwordx4 v[0:3], v[6:7]
	s_lshl_b32 s8, s28, 3
	s_ashr_i32 s9, s8, 31
	v_mul_u32_u24_e32 v8, 33, v5
	s_lshl_b64 s[8:9], s[8:9], 4
	v_add_lshl_u32 v10, v8, v4, 4
	v_mov_b32_e32 v9, s9
	v_add_co_u32_e32 v8, vcc, s8, v6
	v_addc_co_u32_e32 v9, vcc, v7, v9, vcc
	s_ashr_i32 s29, s28, 31
	s_lshl_b64 s[8:9], s[28:29], 7
	v_add_u32_e32 v11, 0x1080, v10
	v_mov_b32_e32 v12, s9
	s_waitcnt vmcnt(0) lgkmcnt(0)
	ds_write2_b64 v10, v[0:1], v[2:3] offset1:1
	flat_load_dwordx4 v[0:3], v[8:9]
	v_add_co_u32_e32 v8, vcc, s8, v8
	v_addc_co_u32_e32 v9, vcc, v9, v12, vcc
	s_waitcnt vmcnt(0) lgkmcnt(0)
	ds_write2_b64 v11, v[0:1], v[2:3] offset1:1
	flat_load_dwordx4 v[0:3], v[8:9]
	v_add_u32_e32 v11, 0x2100, v10
	v_add_co_u32_e32 v8, vcc, s8, v8
	v_addc_co_u32_e32 v9, vcc, v9, v12, vcc
	s_waitcnt vmcnt(0) lgkmcnt(0)
	ds_write2_b64 v11, v[0:1], v[2:3] offset1:1
	flat_load_dwordx4 v[0:3], v[8:9]
	v_add_u32_e32 v8, 0x3180, v10
	s_waitcnt vmcnt(0) lgkmcnt(0)
	ds_write2_b64 v8, v[0:1], v[2:3] offset1:1
	s_cbranch_execz .LBB195_17
	s_branch .LBB195_34
.LBB195_16:
.LBB195_17:
	v_lshlrev_b32_e32 v2, 4, v4
	v_sub_co_u32_e32 v0, vcc, v6, v2
	s_ashr_i32 s25, s24, 31
	v_subbrev_co_u32_e32 v1, vcc, 0, v7, vcc
	s_lshl_b64 s[10:11], s[24:25], 4
	v_mov_b32_e32 v3, s11
	v_add_co_u32_e32 v0, vcc, s10, v0
	v_addc_co_u32_e32 v1, vcc, v1, v3, vcc
	v_add_co_u32_e32 v0, vcc, -16, v0
	v_addc_co_u32_e32 v1, vcc, -1, v1, vcc
	v_cmp_gt_i32_e32 vcc, s24, v4
	v_mul_u32_u24_e32 v3, 33, v5
	v_cndmask_b32_e32 v1, v1, v7, vcc
	v_cndmask_b32_e32 v0, v0, v6, vcc
	v_cmp_le_i32_e64 s[8:9], s24, v5
	v_add_lshl_u32 v3, v3, v4, 4
	s_and_saveexec_b64 s[12:13], s[8:9]
	s_xor_b64 s[8:9], exec, s[12:13]
	s_cbranch_execz .LBB195_19
; %bb.18:
	v_mov_b32_e32 v8, 0
	v_mov_b32_e32 v9, v8
	v_mov_b32_e32 v10, v8
	v_mov_b32_e32 v11, v8
	ds_write_b128 v3, v[8:11]
.LBB195_19:
	s_andn2_saveexec_b64 s[8:9], s[8:9]
	s_cbranch_execz .LBB195_21
; %bb.20:
	flat_load_dwordx4 v[8:11], v[0:1]
	s_waitcnt vmcnt(0) lgkmcnt(0)
	ds_write2_b64 v3, v[8:9], v[10:11] offset1:1
.LBB195_21:
	s_or_b64 exec, exec, s[8:9]
	v_add_u32_e32 v8, 8, v5
	v_cmp_le_i32_e64 s[8:9], s24, v8
	s_and_saveexec_b64 s[12:13], s[8:9]
	s_xor_b64 s[8:9], exec, s[12:13]
	s_cbranch_execz .LBB195_23
; %bb.22:
	v_mul_u32_u24_e32 v8, 33, v8
	v_add_lshl_u32 v12, v8, v4, 4
	v_mov_b32_e32 v8, 0
	v_mov_b32_e32 v9, v8
	;; [unrolled: 1-line block ×4, first 2 shown]
	ds_write_b128 v12, v[8:11]
.LBB195_23:
	s_andn2_saveexec_b64 s[12:13], s[8:9]
	s_cbranch_execz .LBB195_25
; %bb.24:
	s_lshl_b32 s8, s28, 3
	s_ashr_i32 s9, s8, 31
	s_lshl_b64 s[8:9], s[8:9], 4
	v_mov_b32_e32 v9, s9
	v_add_co_u32_e64 v8, s[8:9], s8, v0
	v_addc_co_u32_e64 v9, s[8:9], v1, v9, s[8:9]
	flat_load_dwordx4 v[8:11], v[8:9]
	v_add_u32_e32 v12, 0x1080, v3
	s_waitcnt vmcnt(0) lgkmcnt(0)
	ds_write2_b64 v12, v[8:9], v[10:11] offset1:1
.LBB195_25:
	s_or_b64 exec, exec, s[12:13]
	v_add_u32_e32 v8, 16, v5
	v_cmp_le_i32_e64 s[8:9], s24, v8
	s_and_saveexec_b64 s[12:13], s[8:9]
	s_xor_b64 s[8:9], exec, s[12:13]
	s_cbranch_execz .LBB195_27
; %bb.26:
	v_mul_u32_u24_e32 v8, 33, v8
	v_add_lshl_u32 v12, v8, v4, 4
	v_mov_b32_e32 v8, 0
	v_mov_b32_e32 v9, v8
	;; [unrolled: 1-line block ×4, first 2 shown]
	ds_write_b128 v12, v[8:11]
.LBB195_27:
	s_andn2_saveexec_b64 s[12:13], s[8:9]
	s_cbranch_execz .LBB195_29
; %bb.28:
	s_lshl_b32 s8, s28, 4
	s_ashr_i32 s9, s8, 31
	s_lshl_b64 s[8:9], s[8:9], 4
	v_mov_b32_e32 v9, s9
	v_add_co_u32_e64 v8, s[8:9], s8, v0
	v_addc_co_u32_e64 v9, s[8:9], v1, v9, s[8:9]
	flat_load_dwordx4 v[8:11], v[8:9]
	v_add_u32_e32 v12, 0x2100, v3
	s_waitcnt vmcnt(0) lgkmcnt(0)
	ds_write2_b64 v12, v[8:9], v[10:11] offset1:1
.LBB195_29:
	s_or_b64 exec, exec, s[12:13]
	v_add_u32_e32 v8, 24, v5
	v_cmp_le_i32_e64 s[8:9], s24, v8
	s_and_saveexec_b64 s[12:13], s[8:9]
	s_xor_b64 s[8:9], exec, s[12:13]
	s_cbranch_execz .LBB195_31
; %bb.30:
	v_mov_b32_e32 v8, 0
	v_mov_b32_e32 v9, v8
	;; [unrolled: 1-line block ×4, first 2 shown]
	ds_write_b128 v3, v[8:11] offset:12672
                                        ; implicit-def: $vgpr3
.LBB195_31:
	s_andn2_saveexec_b64 s[12:13], s[8:9]
	s_cbranch_execz .LBB195_33
; %bb.32:
	s_mul_i32 s8, s28, 24
	s_ashr_i32 s9, s8, 31
	s_lshl_b64 s[8:9], s[8:9], 4
	v_mov_b32_e32 v9, s9
	v_add_co_u32_e64 v8, s[8:9], s8, v0
	v_addc_co_u32_e64 v9, s[8:9], v1, v9, s[8:9]
	flat_load_dwordx4 v[8:11], v[8:9]
	v_add_u32_e32 v3, 0x3180, v3
	s_waitcnt vmcnt(0) lgkmcnt(0)
	ds_write2_b64 v3, v[8:9], v[10:11] offset1:1
.LBB195_33:
	s_or_b64 exec, exec, s[12:13]
	v_add_co_u32_e64 v0, s[8:9], v0, v2
	v_addc_co_u32_e64 v1, s[8:9], 0, v1, s[8:9]
	v_mov_b32_e32 v2, s11
	v_subrev_co_u32_e64 v0, s[8:9], s10, v0
	v_subb_co_u32_e64 v1, s[8:9], v1, v2, s[8:9]
	v_add_co_u32_e64 v0, s[8:9], 16, v0
	v_addc_co_u32_e64 v1, s[8:9], 0, v1, s[8:9]
	v_cndmask_b32_e32 v7, v1, v7, vcc
	v_cndmask_b32_e32 v6, v0, v6, vcc
.LBB195_34:
	v_lshlrev_b32_e32 v0, 2, v5
	v_mul_u32_u24_e32 v44, 33, v4
	v_cmp_lt_u32_e64 s[8:9], v0, v4
	v_add_lshl_u32 v10, v0, v44, 4
	s_waitcnt lgkmcnt(0)
	s_barrier
	s_and_saveexec_b64 s[10:11], s[8:9]
	s_cbranch_execz .LBB195_36
; %bb.35:
	v_mul_u32_u24_e32 v1, 0x84, v5
	v_add_lshl_u32 v1, v1, v4, 4
	ds_read_b128 v[12:15], v1
	s_waitcnt lgkmcnt(0)
	ds_write_b128 v10, v[12:15]
.LBB195_36:
	s_or_b64 exec, exec, s[10:11]
	v_or_b32_e32 v1, 1, v0
	v_cmp_lt_u32_e64 s[10:11], v1, v4
	s_and_saveexec_b64 s[12:13], s[10:11]
	s_cbranch_execz .LBB195_38
; %bb.37:
	v_mul_u32_u24_e32 v1, 33, v1
	v_add_lshl_u32 v1, v1, v4, 4
	ds_read_b128 v[12:15], v1
	s_waitcnt lgkmcnt(0)
	ds_write_b128 v10, v[12:15] offset:16
.LBB195_38:
	s_or_b64 exec, exec, s[12:13]
	v_or_b32_e32 v1, 2, v0
	v_cmp_lt_u32_e64 s[12:13], v1, v4
	s_and_saveexec_b64 s[14:15], s[12:13]
	s_cbranch_execz .LBB195_40
; %bb.39:
	v_mul_u32_u24_e32 v1, 33, v1
	v_add_lshl_u32 v1, v1, v4, 4
	ds_read_b128 v[12:15], v1
	s_waitcnt lgkmcnt(0)
	ds_write_b128 v10, v[12:15] offset:32
.LBB195_40:
	s_or_b64 exec, exec, s[14:15]
	v_or_b32_e32 v1, 3, v0
	v_cmp_lt_u32_e64 s[14:15], v1, v4
	v_mad_u32_u24 v1, v1, 33, v4
	v_lshlrev_b32_e32 v11, 4, v1
	s_and_saveexec_b64 s[16:17], s[14:15]
	s_cbranch_execz .LBB195_42
; %bb.41:
	ds_read_b128 v[12:15], v11
	s_waitcnt lgkmcnt(0)
	ds_write_b128 v10, v[12:15] offset:48
.LBB195_42:
	s_or_b64 exec, exec, s[16:17]
	v_mul_u32_u24_e32 v1, 0x84, v5
	v_lshlrev_b32_e32 v14, 4, v0
	s_waitcnt lgkmcnt(0)
	s_barrier
	v_add_lshl_u32 v13, v1, v4, 4
	ds_read_b128 v[0:3], v14 offset:18176
	ds_read_b128 v[16:19], v13
	ds_read_b128 v[20:23], v14 offset:18192
	ds_read_b128 v[24:27], v14 offset:18208
	v_add_u32_e32 v12, 0xfffffbe0, v11
	ds_read_b128 v[28:31], v12
	ds_read_b128 v[32:35], v12 offset:528
	s_waitcnt lgkmcnt(4)
	v_mul_f64 v[8:9], v[2:3], v[18:19]
	v_fma_f64 v[8:9], v[0:1], v[16:17], -v[8:9]
	v_mul_f64 v[0:1], v[0:1], v[18:19]
	v_fmac_f64_e32 v[0:1], v[2:3], v[16:17]
	s_waitcnt lgkmcnt(1)
	v_mul_f64 v[16:17], v[20:21], v[30:31]
	v_add_f64 v[2:3], v[8:9], 0
	v_add_f64 v[0:1], v[0:1], 0
	v_mul_f64 v[8:9], v[22:23], v[30:31]
	v_fmac_f64_e32 v[16:17], v[22:23], v[28:29]
	v_fma_f64 v[8:9], v[20:21], v[28:29], -v[8:9]
	v_add_f64 v[20:21], v[0:1], v[16:17]
	s_waitcnt lgkmcnt(0)
	v_mul_f64 v[0:1], v[26:27], v[34:35]
	v_add_f64 v[8:9], v[2:3], v[8:9]
	v_fma_f64 v[22:23], v[24:25], v[32:33], -v[0:1]
	ds_read_b128 v[0:3], v14 offset:18224
	ds_read_b128 v[16:19], v11
	v_mul_f64 v[24:25], v[24:25], v[34:35]
	v_fmac_f64_e32 v[24:25], v[26:27], v[32:33]
	v_add_f64 v[8:9], v[8:9], v[22:23]
	v_add_f64 v[20:21], v[20:21], v[24:25]
	s_waitcnt lgkmcnt(0)
	v_mul_f64 v[22:23], v[2:3], v[18:19]
	v_mul_f64 v[18:19], v[0:1], v[18:19]
	v_fma_f64 v[22:23], v[0:1], v[16:17], -v[22:23]
	v_fmac_f64_e32 v[18:19], v[2:3], v[16:17]
	v_add_f64 v[0:1], v[8:9], v[22:23]
	v_add_f64 v[2:3], v[20:21], v[18:19]
	v_add_lshl_u32 v45, v5, v44, 4
	s_barrier
	ds_write_b128 v45, v[0:3]
	v_pk_mov_b32 v[0:1], 0, 0
	v_cmp_gt_u32_e64 s[20:21], 32, v43
	v_pk_mov_b32 v[2:3], v[0:1], v[0:1] op_sel:[0,1]
	s_waitcnt lgkmcnt(0)
	s_barrier
	s_and_saveexec_b64 s[16:17], s[20:21]
	s_cbranch_execz .LBB195_44
; %bb.43:
	v_lshlrev_b32_e32 v15, 4, v44
	ds_read_b128 v[0:3], v15
	ds_read_b128 v[16:19], v15 offset:16
	ds_read_b128 v[20:23], v15 offset:32
	;; [unrolled: 1-line block ×3, first 2 shown]
	s_waitcnt lgkmcnt(2)
	v_add_f64 v[0:1], v[16:17], v[0:1]
	v_add_f64 v[8:9], v[18:19], v[2:3]
	s_waitcnt lgkmcnt(1)
	v_add_f64 v[16:17], v[0:1], v[20:21]
	ds_read_b128 v[0:3], v15 offset:64
	v_add_f64 v[8:9], v[8:9], v[22:23]
	s_waitcnt lgkmcnt(1)
	v_add_f64 v[20:21], v[16:17], v[24:25]
	ds_read_b128 v[16:19], v15 offset:80
	;; [unrolled: 4-line block ×3, first 2 shown]
	v_add_f64 v[8:9], v[8:9], v[2:3]
	ds_read_b128 v[0:3], v15 offset:112
	s_waitcnt lgkmcnt(2)
	v_add_f64 v[16:17], v[24:25], v[16:17]
	v_add_f64 v[8:9], v[8:9], v[18:19]
	s_waitcnt lgkmcnt(1)
	v_add_f64 v[16:17], v[16:17], v[20:21]
	v_add_f64 v[8:9], v[8:9], v[22:23]
	;; [unrolled: 3-line block ×3, first 2 shown]
.LBB195_44:
	s_or_b64 exec, exec, s[16:17]
	s_lshl_b32 s16, s28, 5
	s_ashr_i32 s17, s16, 31
	s_lshl_b64 s[38:39], s[16:17], 4
	v_mov_b32_e32 v9, s39
	v_add_co_u32_e32 v8, vcc, s38, v6
	v_addc_co_u32_e32 v9, vcc, v7, v9, vcc
	v_add_co_u32_e32 v6, vcc, 0x200, v8
	v_cndmask_b32_e64 v7, 0, 1, s[36:37]
	s_mov_b64 s[18:19], vcc
	v_cmp_ne_u32_e64 s[16:17], 1, v7
	s_andn2_b64 vcc, exec, s[36:37]
	v_addc_co_u32_e64 v7, s[18:19], 0, v9, s[18:19]
	s_barrier
	s_cbranch_vccnz .LBB195_46
; %bb.45:
	flat_load_dwordx4 v[16:19], v[6:7]
	s_lshl_b32 s18, s28, 3
	s_ashr_i32 s19, s18, 31
	v_mul_u32_u24_e32 v15, 33, v5
	s_lshl_b64 s[18:19], s[18:19], 4
	v_add_lshl_u32 v15, v15, v4, 4
	v_mov_b32_e32 v20, s19
	v_add_co_u32_e32 v8, vcc, s18, v8
	v_addc_co_u32_e32 v9, vcc, v9, v20, vcc
	s_ashr_i32 s29, s28, 31
	s_lshl_b64 s[18:19], s[28:29], 7
	v_add_u32_e32 v20, 0x1080, v15
	v_mov_b32_e32 v21, s19
	s_waitcnt vmcnt(0) lgkmcnt(0)
	ds_write2_b64 v15, v[16:17], v[18:19] offset1:1
	flat_load_dwordx4 v[16:19], v[8:9] offset:512
	v_add_co_u32_e32 v8, vcc, s18, v8
	v_addc_co_u32_e32 v9, vcc, v9, v21, vcc
	s_waitcnt vmcnt(0) lgkmcnt(0)
	ds_write2_b64 v20, v[16:17], v[18:19] offset1:1
	flat_load_dwordx4 v[16:19], v[8:9] offset:512
	v_add_u32_e32 v20, 0x2100, v15
	v_add_co_u32_e32 v8, vcc, s18, v8
	v_addc_co_u32_e32 v9, vcc, v9, v21, vcc
	s_waitcnt vmcnt(0) lgkmcnt(0)
	ds_write2_b64 v20, v[16:17], v[18:19] offset1:1
	flat_load_dwordx4 v[16:19], v[8:9] offset:512
	v_add_u32_e32 v8, 0x3180, v15
	s_waitcnt vmcnt(0) lgkmcnt(0)
	ds_write2_b64 v8, v[16:17], v[18:19] offset1:1
	s_cbranch_execz .LBB195_47
	s_branch .LBB195_64
.LBB195_46:
.LBB195_47:
	v_or_b32_e32 v8, 32, v4
	v_lshlrev_b32_e32 v9, 4, v8
	v_sub_co_u32_e32 v9, vcc, v6, v9
	s_ashr_i32 s25, s24, 31
	v_subbrev_co_u32_e32 v15, vcc, 0, v7, vcc
	s_lshl_b64 s[36:37], s[24:25], 4
	v_mov_b32_e32 v16, s37
	v_add_co_u32_e32 v9, vcc, s36, v9
	v_addc_co_u32_e32 v15, vcc, v15, v16, vcc
	v_add_co_u32_e32 v16, vcc, -16, v9
	v_addc_co_u32_e32 v9, vcc, -1, v15, vcc
	v_cmp_gt_i32_e64 s[18:19], s24, v8
	s_sub_i32 s25, s24, 32
	v_mul_u32_u24_e32 v15, 33, v5
	v_cndmask_b32_e64 v9, v9, v7, s[18:19]
	v_cndmask_b32_e64 v8, v16, v6, s[18:19]
	v_cmp_le_i32_e32 vcc, s25, v5
	v_add_lshl_u32 v15, v15, v4, 4
	s_and_saveexec_b64 s[40:41], vcc
	s_xor_b64 s[40:41], exec, s[40:41]
	s_cbranch_execz .LBB195_49
; %bb.48:
	v_mov_b32_e32 v16, 0
	v_mov_b32_e32 v17, v16
	;; [unrolled: 1-line block ×4, first 2 shown]
	ds_write_b128 v15, v[16:19]
.LBB195_49:
	s_andn2_saveexec_b64 s[40:41], s[40:41]
	s_cbranch_execz .LBB195_51
; %bb.50:
	flat_load_dwordx4 v[16:19], v[8:9]
	s_waitcnt vmcnt(0) lgkmcnt(0)
	ds_write2_b64 v15, v[16:17], v[18:19] offset1:1
.LBB195_51:
	s_or_b64 exec, exec, s[40:41]
	v_add_u32_e32 v16, 8, v5
	v_cmp_le_i32_e32 vcc, s25, v16
	s_and_saveexec_b64 s[40:41], vcc
	s_xor_b64 s[40:41], exec, s[40:41]
	s_cbranch_execz .LBB195_53
; %bb.52:
	v_mul_u32_u24_e32 v16, 33, v16
	v_add_lshl_u32 v20, v16, v4, 4
	v_mov_b32_e32 v16, 0
	v_mov_b32_e32 v17, v16
	v_mov_b32_e32 v18, v16
	v_mov_b32_e32 v19, v16
	ds_write_b128 v20, v[16:19]
.LBB195_53:
	s_andn2_saveexec_b64 s[40:41], s[40:41]
	s_cbranch_execz .LBB195_55
; %bb.54:
	s_lshl_b32 s44, s28, 3
	s_ashr_i32 s45, s44, 31
	s_lshl_b64 s[44:45], s[44:45], 4
	v_mov_b32_e32 v17, s45
	v_add_co_u32_e32 v16, vcc, s44, v8
	v_addc_co_u32_e32 v17, vcc, v9, v17, vcc
	flat_load_dwordx4 v[16:19], v[16:17]
	v_add_u32_e32 v20, 0x1080, v15
	s_waitcnt vmcnt(0) lgkmcnt(0)
	ds_write2_b64 v20, v[16:17], v[18:19] offset1:1
.LBB195_55:
	s_or_b64 exec, exec, s[40:41]
	v_add_u32_e32 v16, 16, v5
	v_cmp_le_i32_e32 vcc, s25, v16
	s_and_saveexec_b64 s[40:41], vcc
	s_xor_b64 s[40:41], exec, s[40:41]
	s_cbranch_execz .LBB195_57
; %bb.56:
	v_mul_u32_u24_e32 v16, 33, v16
	v_add_lshl_u32 v20, v16, v4, 4
	v_mov_b32_e32 v16, 0
	v_mov_b32_e32 v17, v16
	;; [unrolled: 1-line block ×4, first 2 shown]
	ds_write_b128 v20, v[16:19]
.LBB195_57:
	s_andn2_saveexec_b64 s[40:41], s[40:41]
	s_cbranch_execz .LBB195_59
; %bb.58:
	s_lshl_b32 s44, s28, 4
	s_ashr_i32 s45, s44, 31
	s_lshl_b64 s[44:45], s[44:45], 4
	v_mov_b32_e32 v17, s45
	v_add_co_u32_e32 v16, vcc, s44, v8
	v_addc_co_u32_e32 v17, vcc, v9, v17, vcc
	flat_load_dwordx4 v[16:19], v[16:17]
	v_add_u32_e32 v20, 0x2100, v15
	s_waitcnt vmcnt(0) lgkmcnt(0)
	ds_write2_b64 v20, v[16:17], v[18:19] offset1:1
.LBB195_59:
	s_or_b64 exec, exec, s[40:41]
	v_add_u32_e32 v16, 24, v5
	v_cmp_le_i32_e32 vcc, s25, v16
	s_and_saveexec_b64 s[40:41], vcc
	s_xor_b64 s[40:41], exec, s[40:41]
	s_cbranch_execz .LBB195_61
; %bb.60:
	v_mov_b32_e32 v16, 0
	v_mov_b32_e32 v17, v16
	;; [unrolled: 1-line block ×4, first 2 shown]
	ds_write_b128 v15, v[16:19] offset:12672
                                        ; implicit-def: $vgpr15
.LBB195_61:
	s_andn2_saveexec_b64 s[40:41], s[40:41]
	s_cbranch_execz .LBB195_63
; %bb.62:
	s_mul_i32 s44, s28, 24
	s_ashr_i32 s45, s44, 31
	s_lshl_b64 s[44:45], s[44:45], 4
	v_mov_b32_e32 v17, s45
	v_add_co_u32_e32 v16, vcc, s44, v8
	v_addc_co_u32_e32 v17, vcc, v9, v17, vcc
	flat_load_dwordx4 v[16:19], v[16:17]
	v_add_u32_e32 v15, 0x3180, v15
	s_waitcnt vmcnt(0) lgkmcnt(0)
	ds_write2_b64 v15, v[16:17], v[18:19] offset1:1
.LBB195_63:
	s_or_b64 exec, exec, s[40:41]
	v_lshlrev_b32_e32 v15, 4, v4
	v_add_co_u32_e32 v8, vcc, v8, v15
	v_addc_co_u32_e32 v9, vcc, 0, v9, vcc
	v_mov_b32_e32 v15, s37
	v_subrev_co_u32_e32 v8, vcc, s36, v8
	v_subb_co_u32_e32 v9, vcc, v9, v15, vcc
	v_add_co_u32_e32 v8, vcc, 0x210, v8
	v_addc_co_u32_e32 v9, vcc, 0, v9, vcc
	v_cndmask_b32_e64 v7, v9, v7, s[18:19]
	v_cndmask_b32_e64 v6, v8, v6, s[18:19]
.LBB195_64:
	v_add_u32_e32 v8, 0x4700, v14
	v_add_u32_e32 v9, 0x210, v12
	s_waitcnt lgkmcnt(0)
	s_barrier
	s_and_saveexec_b64 s[18:19], s[8:9]
	s_cbranch_execnz .LBB195_73
; %bb.65:
	s_or_b64 exec, exec, s[18:19]
	s_and_saveexec_b64 s[8:9], s[10:11]
	s_cbranch_execnz .LBB195_74
.LBB195_66:
	s_or_b64 exec, exec, s[8:9]
	s_and_saveexec_b64 s[8:9], s[12:13]
	s_cbranch_execnz .LBB195_75
.LBB195_67:
	s_or_b64 exec, exec, s[8:9]
	s_and_saveexec_b64 s[8:9], s[14:15]
	s_cbranch_execz .LBB195_69
.LBB195_68:
	ds_read_b128 v[14:17], v11
	s_waitcnt lgkmcnt(0)
	ds_write_b128 v10, v[14:17] offset:48
.LBB195_69:
	s_or_b64 exec, exec, s[8:9]
	s_waitcnt lgkmcnt(0)
	s_barrier
	ds_read_b128 v[14:17], v8 offset:512
	ds_read_b128 v[18:21], v13
	ds_read_b128 v[22:25], v8 offset:528
	ds_read_b128 v[26:29], v8 offset:544
	v_cmp_eq_u32_e64 s[8:9], 1, v5
	s_waitcnt lgkmcnt(2)
	v_mul_f64 v[30:31], v[16:17], v[20:21]
	v_fma_f64 v[34:35], v[14:15], v[18:19], -v[30:31]
	ds_read_b128 v[30:33], v8 offset:560
	ds_read_b128 v[46:49], v12
	v_mul_f64 v[14:15], v[14:15], v[20:21]
	v_fmac_f64_e32 v[14:15], v[16:17], v[18:19]
	v_add_f64 v[18:19], v[14:15], 0
	v_add_f64 v[16:17], v[34:35], 0
	s_waitcnt lgkmcnt(0)
	v_mul_f64 v[14:15], v[24:25], v[48:49]
	v_fma_f64 v[20:21], v[22:23], v[46:47], -v[14:15]
	v_mul_f64 v[22:23], v[22:23], v[48:49]
	ds_read_b128 v[12:15], v12 offset:528
	v_fmac_f64_e32 v[22:23], v[24:25], v[46:47]
	v_add_f64 v[20:21], v[16:17], v[20:21]
	v_add_f64 v[22:23], v[18:19], v[22:23]
	ds_read_b128 v[16:19], v11
	s_waitcnt lgkmcnt(1)
	v_mul_f64 v[24:25], v[28:29], v[14:15]
	v_fma_f64 v[24:25], v[26:27], v[12:13], -v[24:25]
	v_mul_f64 v[14:15], v[26:27], v[14:15]
	v_fmac_f64_e32 v[14:15], v[28:29], v[12:13]
	v_add_f64 v[12:13], v[20:21], v[24:25]
	s_waitcnt lgkmcnt(0)
	v_mul_f64 v[20:21], v[32:33], v[18:19]
	v_mul_f64 v[18:19], v[30:31], v[18:19]
	v_add_f64 v[14:15], v[22:23], v[14:15]
	v_fma_f64 v[20:21], v[30:31], v[16:17], -v[20:21]
	v_fmac_f64_e32 v[18:19], v[32:33], v[16:17]
	v_add_f64 v[12:13], v[12:13], v[20:21]
	v_add_f64 v[14:15], v[14:15], v[18:19]
	s_barrier
	ds_write_b128 v45, v[12:15]
	s_waitcnt lgkmcnt(0)
	s_barrier
	s_and_saveexec_b64 s[10:11], s[8:9]
	s_cbranch_execz .LBB195_71
; %bb.70:
	v_lshlrev_b32_e32 v9, 4, v44
	ds_read_b128 v[0:3], v9
	ds_read_b128 v[12:15], v9 offset:16
	ds_read_b128 v[16:19], v9 offset:32
	;; [unrolled: 1-line block ×3, first 2 shown]
	s_waitcnt lgkmcnt(2)
	v_add_f64 v[0:1], v[12:13], v[0:1]
	v_add_f64 v[12:13], v[14:15], v[2:3]
	s_waitcnt lgkmcnt(1)
	v_add_f64 v[14:15], v[0:1], v[16:17]
	ds_read_b128 v[0:3], v9 offset:64
	v_add_f64 v[12:13], v[12:13], v[18:19]
	s_waitcnt lgkmcnt(1)
	v_add_f64 v[16:17], v[14:15], v[20:21]
	v_add_f64 v[20:21], v[12:13], v[22:23]
	ds_read_b128 v[12:15], v9 offset:80
	s_waitcnt lgkmcnt(1)
	v_add_f64 v[22:23], v[16:17], v[0:1]
	ds_read_b128 v[16:19], v9 offset:96
	v_add_f64 v[20:21], v[20:21], v[2:3]
	ds_read_b128 v[0:3], v9 offset:112
	s_waitcnt lgkmcnt(2)
	v_add_f64 v[12:13], v[22:23], v[12:13]
	v_add_f64 v[14:15], v[20:21], v[14:15]
	s_waitcnt lgkmcnt(1)
	v_add_f64 v[12:13], v[12:13], v[16:17]
	v_add_f64 v[14:15], v[14:15], v[18:19]
	;; [unrolled: 3-line block ×3, first 2 shown]
.LBB195_71:
	s_or_b64 exec, exec, s[10:11]
	v_mov_b32_e32 v9, s39
	v_subrev_co_u32_e64 v40, s[10:11], s38, v6
	s_and_b64 vcc, exec, s[16:17]
	v_subb_co_u32_e64 v41, s[10:11], v7, v9, s[10:11]
	s_barrier
	s_cbranch_vccnz .LBB195_76
; %bb.72:
	flat_load_dwordx4 v[12:15], v[40:41]
	s_lshl_b32 s10, s28, 3
	s_ashr_i32 s11, s10, 31
	v_mad_u32_u24 v9, v5, 33, v4
	s_lshl_b64 s[10:11], s[10:11], 4
	v_lshlrev_b32_e32 v20, 4, v9
	v_mov_b32_e32 v7, s11
	v_add_co_u32_e32 v6, vcc, s10, v40
	v_addc_co_u32_e32 v7, vcc, v41, v7, vcc
	s_ashr_i32 s29, s28, 31
	s_lshl_b64 s[10:11], s[28:29], 7
	v_add_u32_e32 v11, 0x1080, v20
	v_mov_b32_e32 v16, s11
	s_waitcnt vmcnt(0) lgkmcnt(0)
	ds_write2_b64 v20, v[12:13], v[14:15] offset1:1
	flat_load_dwordx4 v[12:15], v[6:7]
	v_add_co_u32_e32 v6, vcc, s10, v6
	v_addc_co_u32_e32 v7, vcc, v7, v16, vcc
	s_waitcnt vmcnt(0) lgkmcnt(0)
	ds_write2_b64 v11, v[12:13], v[14:15] offset1:1
	flat_load_dwordx4 v[12:15], v[6:7]
	v_add_u32_e32 v11, 0x2100, v20
	v_add_co_u32_e32 v6, vcc, s10, v6
	v_addc_co_u32_e32 v7, vcc, v7, v16, vcc
	s_waitcnt vmcnt(0) lgkmcnt(0)
	ds_write2_b64 v11, v[12:13], v[14:15] offset1:1
	flat_load_dwordx4 v[16:19], v[6:7]
	v_add_u32_e32 v11, 8, v5
	v_add_u32_e32 v12, 16, v5
	;; [unrolled: 1-line block ×7, first 2 shown]
	s_waitcnt vmcnt(0) lgkmcnt(0)
	ds_write2_b64 v15, v[16:17], v[18:19] offset1:1
	s_cbranch_execz .LBB195_77
	s_branch .LBB195_94
.LBB195_73:
	ds_read_b128 v[14:17], v13
	s_waitcnt lgkmcnt(0)
	ds_write_b128 v10, v[14:17]
	s_or_b64 exec, exec, s[18:19]
	s_and_saveexec_b64 s[8:9], s[10:11]
	s_cbranch_execz .LBB195_66
.LBB195_74:
	ds_read_b128 v[14:17], v12
	s_waitcnt lgkmcnt(0)
	ds_write_b128 v10, v[14:17] offset:16
	s_or_b64 exec, exec, s[8:9]
	s_and_saveexec_b64 s[8:9], s[12:13]
	s_cbranch_execz .LBB195_67
.LBB195_75:
	ds_read_b128 v[14:17], v9
	s_waitcnt lgkmcnt(0)
	ds_write_b128 v10, v[14:17] offset:32
	s_or_b64 exec, exec, s[8:9]
	s_and_saveexec_b64 s[8:9], s[14:15]
	s_cbranch_execnz .LBB195_68
	s_branch .LBB195_69
.LBB195_76:
                                        ; implicit-def: $vgpr9
                                        ; implicit-def: $vgpr11
                                        ; implicit-def: $vgpr7
                                        ; implicit-def: $vgpr12
                                        ; implicit-def: $vgpr6
                                        ; implicit-def: $vgpr13
                                        ; implicit-def: $vgpr14
.LBB195_77:
	v_or_b32_e32 v6, 32, v4
	v_lshlrev_b32_e32 v7, 4, v6
	v_sub_co_u32_e32 v7, vcc, v40, v7
	s_ashr_i32 s25, s24, 31
	v_subbrev_co_u32_e32 v9, vcc, 0, v41, vcc
	s_lshl_b64 s[12:13], s[24:25], 4
	v_mov_b32_e32 v11, s13
	v_add_co_u32_e32 v7, vcc, s12, v7
	v_addc_co_u32_e32 v9, vcc, v9, v11, vcc
	v_add_co_u32_e32 v11, vcc, -16, v7
	v_addc_co_u32_e32 v7, vcc, -1, v9, vcc
	v_cmp_gt_i32_e64 s[10:11], s24, v6
	v_mad_u32_u24 v9, v5, 33, v4
	v_cndmask_b32_e64 v7, v7, v41, s[10:11]
	v_cndmask_b32_e64 v6, v11, v40, s[10:11]
	v_cmp_le_i32_e32 vcc, s24, v5
	v_lshlrev_b32_e32 v15, 4, v9
	s_and_saveexec_b64 s[14:15], vcc
	s_xor_b64 s[14:15], exec, s[14:15]
	s_cbranch_execz .LBB195_79
; %bb.78:
	v_mov_b32_e32 v16, 0
	v_mov_b32_e32 v17, v16
	;; [unrolled: 1-line block ×4, first 2 shown]
	ds_write_b128 v15, v[16:19]
.LBB195_79:
	s_andn2_saveexec_b64 s[14:15], s[14:15]
	s_cbranch_execz .LBB195_81
; %bb.80:
	flat_load_dwordx4 v[16:19], v[6:7]
	s_waitcnt vmcnt(0) lgkmcnt(0)
	ds_write2_b64 v15, v[16:17], v[18:19] offset1:1
.LBB195_81:
	s_or_b64 exec, exec, s[14:15]
	v_add_u32_e32 v11, 8, v5
	v_cmp_le_i32_e32 vcc, s24, v11
	s_and_saveexec_b64 s[14:15], vcc
	s_xor_b64 s[14:15], exec, s[14:15]
	s_cbranch_execz .LBB195_83
; %bb.82:
	v_mul_u32_u24_e32 v12, 33, v11
	v_mov_b32_e32 v16, 0
	v_add_lshl_u32 v12, v12, v4, 4
	v_mov_b32_e32 v17, v16
	v_mov_b32_e32 v18, v16
	;; [unrolled: 1-line block ×3, first 2 shown]
	ds_write_b128 v12, v[16:19]
.LBB195_83:
	s_andn2_saveexec_b64 s[14:15], s[14:15]
	s_cbranch_execz .LBB195_85
; %bb.84:
	s_lshl_b32 s16, s28, 3
	s_ashr_i32 s17, s16, 31
	s_lshl_b64 s[16:17], s[16:17], 4
	v_mov_b32_e32 v13, s17
	v_add_co_u32_e32 v12, vcc, s16, v6
	v_addc_co_u32_e32 v13, vcc, v7, v13, vcc
	flat_load_dwordx4 v[16:19], v[12:13]
	v_add_u32_e32 v12, 0x1080, v15
	s_waitcnt vmcnt(0) lgkmcnt(0)
	ds_write2_b64 v12, v[16:17], v[18:19] offset1:1
.LBB195_85:
	s_or_b64 exec, exec, s[14:15]
	v_add_u32_e32 v12, 16, v5
	v_cmp_le_i32_e32 vcc, s24, v12
	s_and_saveexec_b64 s[14:15], vcc
	s_xor_b64 s[14:15], exec, s[14:15]
	s_cbranch_execz .LBB195_87
; %bb.86:
	v_mul_u32_u24_e32 v13, 33, v12
	v_mov_b32_e32 v16, 0
	v_add_lshl_u32 v13, v13, v4, 4
	v_mov_b32_e32 v17, v16
	v_mov_b32_e32 v18, v16
	;; [unrolled: 1-line block ×3, first 2 shown]
	ds_write_b128 v13, v[16:19]
.LBB195_87:
	s_andn2_saveexec_b64 s[14:15], s[14:15]
	s_cbranch_execz .LBB195_89
; %bb.88:
	s_lshl_b32 s16, s28, 4
	s_ashr_i32 s17, s16, 31
	s_lshl_b64 s[16:17], s[16:17], 4
	v_mov_b32_e32 v13, s17
	v_add_co_u32_e32 v16, vcc, s16, v6
	v_addc_co_u32_e32 v17, vcc, v7, v13, vcc
	flat_load_dwordx4 v[16:19], v[16:17]
	v_add_u32_e32 v13, 0x2100, v15
	s_waitcnt vmcnt(0) lgkmcnt(0)
	ds_write2_b64 v13, v[16:17], v[18:19] offset1:1
.LBB195_89:
	s_or_b64 exec, exec, s[14:15]
	v_add_u32_e32 v13, 24, v5
	v_cmp_le_i32_e32 vcc, s24, v13
                                        ; implicit-def: $vgpr14
	s_and_saveexec_b64 s[14:15], vcc
	s_xor_b64 s[14:15], exec, s[14:15]
	s_cbranch_execz .LBB195_91
; %bb.90:
	v_mad_u32_u24 v14, v13, 33, v4
	v_mov_b32_e32 v16, 0
	v_lshlrev_b32_e32 v15, 4, v14
	v_mov_b32_e32 v17, v16
	v_mov_b32_e32 v18, v16
	;; [unrolled: 1-line block ×3, first 2 shown]
	ds_write_b128 v15, v[16:19]
                                        ; implicit-def: $vgpr15
.LBB195_91:
	s_andn2_saveexec_b64 s[14:15], s[14:15]
	s_cbranch_execz .LBB195_93
; %bb.92:
	s_mul_i32 s16, s28, 24
	s_ashr_i32 s17, s16, 31
	s_lshl_b64 s[16:17], s[16:17], 4
	v_mov_b32_e32 v14, s17
	v_add_co_u32_e32 v16, vcc, s16, v6
	v_addc_co_u32_e32 v17, vcc, v7, v14, vcc
	flat_load_dwordx4 v[16:19], v[16:17]
	v_add_u32_e32 v14, 0x318, v9
	v_add_u32_e32 v15, 0x3180, v15
	s_waitcnt vmcnt(0) lgkmcnt(0)
	ds_write2_b64 v15, v[16:17], v[18:19] offset1:1
.LBB195_93:
	s_or_b64 exec, exec, s[14:15]
	v_lshlrev_b32_e32 v4, 4, v4
	v_add_co_u32_e32 v4, vcc, v6, v4
	v_addc_co_u32_e32 v6, vcc, 0, v7, vcc
	v_mov_b32_e32 v7, s13
	v_subrev_co_u32_e32 v4, vcc, s12, v4
	v_subb_co_u32_e32 v6, vcc, v6, v7, vcc
	v_add_co_u32_e32 v4, vcc, 0x210, v4
	v_addc_co_u32_e32 v6, vcc, 0, v6, vcc
	v_cndmask_b32_e64 v41, v6, v41, s[10:11]
	v_cndmask_b32_e64 v40, v4, v40, s[10:11]
	v_add_u32_e32 v7, 0x108, v9
	v_add_u32_e32 v6, 0x210, v9
.LBB195_94:
	v_lshlrev_b32_e32 v5, 4, v5
	s_waitcnt lgkmcnt(0)
	s_barrier
	v_lshlrev_b32_e32 v4, 4, v9
	ds_read_b128 v[46:49], v5 offset:18176
	ds_read_b128 v[50:53], v4
	v_lshlrev_b32_e32 v5, 4, v11
	v_lshlrev_b32_e32 v4, 4, v7
	ds_read_b128 v[54:57], v5 offset:18176
	ds_read_b128 v[58:61], v4
	v_lshlrev_b32_e32 v7, 4, v12
	;; [unrolled: 4-line block ×3, first 2 shown]
	v_lshlrev_b32_e32 v6, 4, v14
	ds_read_b128 v[70:73], v7 offset:18176
	ds_read_b128 v[74:77], v6
	s_waitcnt lgkmcnt(6)
	v_mul_f64 v[4:5], v[48:49], v[52:53]
	v_fma_f64 v[4:5], v[46:47], v[50:51], -v[4:5]
	s_waitcnt lgkmcnt(4)
	v_mul_f64 v[16:17], v[56:57], v[60:61]
	v_add_f64 v[4:5], v[4:5], 0
	v_fma_f64 v[16:17], v[54:55], v[58:59], -v[16:17]
	s_waitcnt lgkmcnt(2)
	v_mul_f64 v[6:7], v[64:65], v[68:69]
	v_add_f64 v[4:5], v[4:5], v[16:17]
	v_fma_f64 v[6:7], v[62:63], v[66:67], -v[6:7]
	v_add_f64 v[4:5], v[4:5], v[6:7]
	s_waitcnt lgkmcnt(0)
	v_mul_f64 v[6:7], v[72:73], v[76:77]
	v_fma_f64 v[6:7], v[70:71], v[74:75], -v[6:7]
	v_add_f64 v[78:79], v[4:5], v[6:7]
	ds_read_b128 v[28:31], v10
	ds_read_b128 v[20:23], v10 offset:16
	ds_read_b128 v[12:15], v10 offset:32
	;; [unrolled: 1-line block ×7, first 2 shown]
	v_mul_f64 v[46:47], v[46:47], v[52:53]
	v_fmac_f64_e32 v[46:47], v[48:49], v[50:51]
	v_mul_f64 v[48:49], v[54:55], v[60:61]
	v_add_f64 v[46:47], v[46:47], 0
	v_fmac_f64_e32 v[48:49], v[56:57], v[58:59]
	v_add_f64 v[46:47], v[46:47], v[48:49]
	v_mul_f64 v[48:49], v[62:63], v[68:69]
	v_fmac_f64_e32 v[48:49], v[64:65], v[66:67]
	v_add_f64 v[46:47], v[46:47], v[48:49]
	v_mul_f64 v[48:49], v[70:71], v[76:77]
	v_fmac_f64_e32 v[48:49], v[72:73], v[74:75]
	v_add_f64 v[80:81], v[46:47], v[48:49]
	s_waitcnt lgkmcnt(0)
	s_barrier
	ds_write_b128 v45, v[78:81]
	s_waitcnt lgkmcnt(0)
	s_barrier
	s_and_saveexec_b64 s[10:11], s[8:9]
	s_cbranch_execz .LBB195_96
; %bb.95:
	v_lshlrev_b32_e32 v62, 4, v44
	ds_read_b128 v[46:49], v62
	ds_read_b128 v[50:53], v62 offset:16
	ds_read_b128 v[54:57], v62 offset:32
	;; [unrolled: 1-line block ×3, first 2 shown]
	s_waitcnt lgkmcnt(3)
	v_add_f64 v[0:1], v[0:1], v[46:47]
	v_add_f64 v[2:3], v[2:3], v[48:49]
	s_waitcnt lgkmcnt(2)
	v_add_f64 v[0:1], v[0:1], v[50:51]
	v_add_f64 v[46:47], v[2:3], v[52:53]
	s_waitcnt lgkmcnt(1)
	v_add_f64 v[48:49], v[0:1], v[54:55]
	ds_read_b128 v[0:3], v62 offset:64
	v_add_f64 v[46:47], v[46:47], v[56:57]
	s_waitcnt lgkmcnt(1)
	v_add_f64 v[50:51], v[48:49], v[58:59]
	v_add_f64 v[54:55], v[46:47], v[60:61]
	ds_read_b128 v[46:49], v62 offset:80
	s_waitcnt lgkmcnt(1)
	v_add_f64 v[56:57], v[50:51], v[0:1]
	ds_read_b128 v[50:53], v62 offset:96
	v_add_f64 v[54:55], v[54:55], v[2:3]
	ds_read_b128 v[0:3], v62 offset:112
	s_waitcnt lgkmcnt(2)
	v_add_f64 v[46:47], v[56:57], v[46:47]
	v_add_f64 v[48:49], v[54:55], v[48:49]
	s_waitcnt lgkmcnt(1)
	v_add_f64 v[46:47], v[46:47], v[50:51]
	v_add_f64 v[48:49], v[48:49], v[52:53]
	;; [unrolled: 3-line block ×3, first 2 shown]
.LBB195_96:
	s_or_b64 exec, exec, s[10:11]
	v_mul_f64 v[46:47], v[30:31], v[34:35]
	v_fma_f64 v[46:47], v[28:29], v[32:33], -v[46:47]
	v_mul_f64 v[28:29], v[28:29], v[34:35]
	v_fmac_f64_e32 v[28:29], v[30:31], v[32:33]
	v_mul_f64 v[32:33], v[22:23], v[26:27]
	v_fma_f64 v[32:33], v[20:21], v[24:25], -v[32:33]
	v_mul_f64 v[20:21], v[20:21], v[26:27]
	v_fmac_f64_e32 v[20:21], v[22:23], v[24:25]
	v_mul_f64 v[24:25], v[14:15], v[18:19]
	v_add_f64 v[30:31], v[46:47], 0
	v_add_f64 v[28:29], v[28:29], 0
	v_fma_f64 v[24:25], v[12:13], v[16:17], -v[24:25]
	v_mul_f64 v[12:13], v[12:13], v[18:19]
	v_add_f64 v[22:23], v[30:31], v[32:33]
	v_add_f64 v[20:21], v[28:29], v[20:21]
	v_fmac_f64_e32 v[12:13], v[14:15], v[16:17]
	v_mul_f64 v[16:17], v[6:7], v[10:11]
	v_mul_f64 v[10:11], v[4:5], v[10:11]
	v_add_f64 v[14:15], v[22:23], v[24:25]
	v_add_f64 v[12:13], v[20:21], v[12:13]
	v_fma_f64 v[16:17], v[4:5], v[8:9], -v[16:17]
	v_fmac_f64_e32 v[10:11], v[6:7], v[8:9]
	v_add_f64 v[4:5], v[14:15], v[16:17]
	v_add_f64 v[6:7], v[12:13], v[10:11]
	s_barrier
	ds_write_b128 v45, v[4:7]
	s_waitcnt lgkmcnt(0)
	s_barrier
	s_and_saveexec_b64 s[8:9], s[20:21]
	s_cbranch_execz .LBB195_98
; %bb.97:
	v_lshlrev_b32_e32 v20, 4, v44
	ds_read_b128 v[4:7], v20
	ds_read_b128 v[8:11], v20 offset:16
	ds_read_b128 v[12:15], v20 offset:32
	ds_read_b128 v[16:19], v20 offset:48
	s_waitcnt lgkmcnt(3)
	v_add_f64 v[0:1], v[0:1], v[4:5]
	v_add_f64 v[2:3], v[2:3], v[6:7]
	s_waitcnt lgkmcnt(2)
	v_add_f64 v[0:1], v[0:1], v[8:9]
	v_add_f64 v[4:5], v[2:3], v[10:11]
	s_waitcnt lgkmcnt(1)
	v_add_f64 v[6:7], v[0:1], v[12:13]
	ds_read_b128 v[0:3], v20 offset:64
	v_add_f64 v[4:5], v[4:5], v[14:15]
	s_waitcnt lgkmcnt(1)
	v_add_f64 v[8:9], v[6:7], v[16:17]
	v_add_f64 v[12:13], v[4:5], v[18:19]
	ds_read_b128 v[4:7], v20 offset:80
	s_waitcnt lgkmcnt(1)
	v_add_f64 v[14:15], v[8:9], v[0:1]
	ds_read_b128 v[8:11], v20 offset:96
	v_add_f64 v[12:13], v[12:13], v[2:3]
	ds_read_b128 v[0:3], v20 offset:112
	s_waitcnt lgkmcnt(2)
	v_add_f64 v[4:5], v[14:15], v[4:5]
	v_add_f64 v[6:7], v[12:13], v[6:7]
	s_waitcnt lgkmcnt(1)
	v_add_f64 v[4:5], v[4:5], v[8:9]
	v_add_f64 v[6:7], v[6:7], v[10:11]
	s_waitcnt lgkmcnt(0)
	v_add_f64 v[0:1], v[4:5], v[0:1]
	v_add_f64 v[2:3], v[6:7], v[2:3]
.LBB195_98:
	s_or_b64 exec, exec, s[8:9]
	s_load_dwordx2 s[4:5], s[4:5], 0x78
	s_mul_hi_u32 s8, s23, s22
	s_mul_i32 s42, s42, s22
	s_add_i32 s8, s8, s42
	s_mul_i32 s10, s23, s22
	s_mul_i32 s8, s8, s33
	s_mul_hi_u32 s9, s10, s33
	s_add_i32 s9, s9, s8
	s_mul_i32 s8, s10, s33
	s_lshl_b64 s[8:9], s[8:9], 4
	s_waitcnt lgkmcnt(0)
	s_add_u32 s8, s4, s8
	s_mul_i32 s4, s6, s23
	s_addc_u32 s9, s5, s9
	s_ashr_i32 s5, s4, 31
	s_lshl_b64 s[4:5], s[4:5], 4
	s_add_u32 s16, s8, s4
	v_cmp_le_i32_e32 vcc, s24, v42
	s_addc_u32 s17, s9, s5
	s_and_b64 vcc, s[34:35], vcc
	s_cmp_lt_i32 s6, 1
	v_lshlrev_b32_e32 v154, 4, v42
	s_barrier
	s_cbranch_scc1 .LBB195_105
; %bb.99:
	s_mul_i32 s4, s26, s7
	s_ashr_i32 s5, s4, 31
	s_lshl_b64 s[4:5], s[4:5], 4
	v_mov_b32_e32 v4, s5
	v_subrev_co_u32_e64 v155, s[4:5], s4, v36
	v_subb_co_u32_e64 v156, s[4:5], v37, v4, s[4:5]
	v_mov_b32_e32 v4, s31
	v_subrev_co_u32_e64 v5, s[4:5], s30, v40
	v_subb_co_u32_e64 v4, s[4:5], v41, v4, s[4:5]
	v_sub_co_u32_e64 v7, s[4:5], v5, v38
	v_subb_co_u32_e64 v8, s[4:5], v4, v39, s[4:5]
	v_mul_lo_u32 v4, v149, s28
	v_lshl_add_u32 v4, v4, 2, v42
	v_ashrrev_i32_e32 v5, 31, v4
	v_lshlrev_b64 v[4:5], 4, v[4:5]
	v_add_co_u32_e64 v4, s[4:5], v7, v4
	v_addc_co_u32_e64 v5, s[4:5], v8, v5, s[4:5]
	s_movk_i32 s4, 0xfe00
	v_add_co_u32_e64 v4, s[4:5], s4, v4
	v_addc_co_u32_e64 v5, s[4:5], -1, v5, s[4:5]
	v_sub_co_u32_e64 v7, s[4:5], v4, v154
	v_subbrev_co_u32_e64 v8, s[4:5], 0, v5, s[4:5]
	s_ashr_i32 s25, s24, 31
	s_lshl_b64 s[4:5], s[24:25], 4
	v_mov_b32_e32 v9, s5
	v_add_co_u32_e64 v7, s[4:5], s4, v7
	v_addc_co_u32_e64 v8, s[4:5], v8, v9, s[4:5]
	v_add_co_u32_e64 v7, s[4:5], -16, v7
	v_addc_co_u32_e64 v8, s[4:5], -1, v8, s[4:5]
	v_cndmask_b32_e32 v9, v5, v8, vcc
	v_cndmask_b32_e32 v8, v4, v7, vcc
	v_and_b32_e32 v4, 48, v42
	v_and_b32_e32 v6, 15, v42
	v_lshlrev_b32_e32 v5, 4, v4
	s_movk_i32 s8, 0x430
	v_mad_u32_u24 v159, v6, s8, v5
	v_or_b32_e32 v5, 0xf0, v154
	v_mad_u32_u24 v160, v6, s8, v5
	v_lshlrev_b32_e32 v5, 2, v43
	v_and_b32_e32 v5, 0x7ffc0, v5
	v_mad_u32_u24 v161, v6, s8, v5
	s_ashr_i32 s29, s28, 31
	v_mov_b32_e32 v5, 0x4300
	v_lshl_add_u32 v162, v149, 6, v5
	s_movk_i32 s9, 0x10c0
	v_and_b32_e32 v5, 0x1fff0, v43
	s_lshl_b64 s[10:11], s[28:29], 4
	s_mul_hi_i32 s18, s28, 0xd0
	v_mov_b32_e32 v151, 0
	s_lshl_b32 s7, s7, 6
	v_add_u32_e32 v157, 0x4300, v154
	v_add_u32_e32 v158, 0x4700, v154
	v_cmp_gt_u32_e64 s[4:5], 64, v43
	v_mad_u32_u24 v163, v149, s9, v154
	v_mad_u32_u24 v164, v6, s8, v5
	s_mul_i32 s19, s28, 0xd0
	v_or_b32_e32 v150, v4, v6
	s_mov_b32 s12, 0
	v_mov_b32_e32 v165, s11
	v_mov_b32_e32 v166, s18
	s_branch .LBB195_101
.LBB195_100:                            ;   in Loop: Header=BB195_101 Depth=1
	s_or_b64 exec, exec, s[14:15]
	v_mul_f64 v[132:133], v[6:7], v[22:23]
	v_fma_f64 v[132:133], v[4:5], v[20:21], -v[132:133]
	v_mul_f64 v[4:5], v[4:5], v[22:23]
	v_mul_f64 v[22:23], v[10:11], v[42:43]
	v_add_f64 v[0:1], v[0:1], v[132:133]
	v_fma_f64 v[22:23], v[8:9], v[40:41], -v[22:23]
	v_add_f64 v[0:1], v[0:1], v[22:23]
	v_mul_f64 v[22:23], v[14:15], v[46:47]
	v_fma_f64 v[22:23], v[12:13], v[44:45], -v[22:23]
	v_add_f64 v[0:1], v[0:1], v[22:23]
	v_mul_f64 v[22:23], v[18:19], v[50:51]
	v_fmac_f64_e32 v[4:5], v[6:7], v[20:21]
	v_fma_f64 v[22:23], v[16:17], v[48:49], -v[22:23]
	v_add_f64 v[2:3], v[2:3], v[4:5]
	v_mul_f64 v[4:5], v[26:27], v[70:71]
	v_add_f64 v[0:1], v[0:1], v[22:23]
	v_fma_f64 v[4:5], v[24:25], v[68:69], -v[4:5]
	v_add_f64 v[0:1], v[0:1], v[4:5]
	v_mul_f64 v[4:5], v[34:35], v[82:83]
	v_fma_f64 v[4:5], v[32:33], v[80:81], -v[4:5]
	v_add_f64 v[0:1], v[0:1], v[4:5]
	v_mul_f64 v[4:5], v[30:31], v[78:79]
	;; [unrolled: 3-line block ×4, first 2 shown]
	v_mul_f64 v[8:9], v[8:9], v[42:43]
	v_fma_f64 v[4:5], v[52:53], v[100:101], -v[4:5]
	v_mul_f64 v[12:13], v[12:13], v[46:47]
	v_fmac_f64_e32 v[8:9], v[10:11], v[40:41]
	v_add_f64 v[0:1], v[0:1], v[4:5]
	v_mul_f64 v[4:5], v[62:63], v[118:119]
	v_mul_f64 v[16:17], v[16:17], v[50:51]
	v_add_f64 v[2:3], v[2:3], v[8:9]
	v_fmac_f64_e32 v[12:13], v[14:15], v[44:45]
	v_fma_f64 v[4:5], v[60:61], v[116:117], -v[4:5]
	v_add_f64 v[2:3], v[2:3], v[12:13]
	v_fmac_f64_e32 v[16:17], v[18:19], v[48:49]
	v_mul_f64 v[6:7], v[24:25], v[70:71]
	v_add_f64 v[0:1], v[0:1], v[4:5]
	v_mul_f64 v[4:5], v[58:59], v[114:115]
	v_add_f64 v[2:3], v[2:3], v[16:17]
	v_mul_f64 v[8:9], v[32:33], v[82:83]
	v_fmac_f64_e32 v[6:7], v[26:27], v[68:69]
	v_fma_f64 v[4:5], v[56:57], v[112:113], -v[4:5]
	v_mul_f64 v[10:11], v[28:29], v[78:79]
	v_add_f64 v[2:3], v[2:3], v[6:7]
	v_fmac_f64_e32 v[8:9], v[34:35], v[80:81]
	v_add_f64 v[0:1], v[0:1], v[4:5]
	v_mul_f64 v[4:5], v[66:67], v[110:111]
	v_mul_f64 v[12:13], v[36:37], v[74:75]
	v_add_f64 v[2:3], v[2:3], v[8:9]
	v_fmac_f64_e32 v[10:11], v[30:31], v[76:77]
	v_fma_f64 v[4:5], v[64:65], v[108:109], -v[4:5]
	v_add_f64 v[2:3], v[2:3], v[10:11]
	v_fmac_f64_e32 v[12:13], v[38:39], v[72:73]
	v_mul_f64 v[6:7], v[52:53], v[102:103]
	v_add_f64 v[0:1], v[0:1], v[4:5]
	v_mul_f64 v[4:5], v[90:91], v[106:107]
	v_add_f64 v[2:3], v[2:3], v[12:13]
	v_mul_f64 v[8:9], v[60:61], v[118:119]
	v_fmac_f64_e32 v[6:7], v[54:55], v[100:101]
	v_fma_f64 v[4:5], v[88:89], v[104:105], -v[4:5]
	v_mul_f64 v[10:11], v[56:57], v[114:115]
	v_add_f64 v[2:3], v[2:3], v[6:7]
	v_fmac_f64_e32 v[8:9], v[62:63], v[116:117]
	v_add_f64 v[0:1], v[0:1], v[4:5]
	v_mul_f64 v[4:5], v[94:95], v[122:123]
	v_mul_f64 v[12:13], v[64:65], v[110:111]
	v_add_f64 v[2:3], v[2:3], v[8:9]
	v_fmac_f64_e32 v[10:11], v[58:59], v[112:113]
	v_fma_f64 v[4:5], v[92:93], v[120:121], -v[4:5]
	v_add_f64 v[2:3], v[2:3], v[10:11]
	v_fmac_f64_e32 v[12:13], v[66:67], v[108:109]
	v_mul_f64 v[6:7], v[88:89], v[106:107]
	v_add_f64 v[0:1], v[0:1], v[4:5]
	v_mul_f64 v[4:5], v[86:87], v[126:127]
	v_add_f64 v[2:3], v[2:3], v[12:13]
	v_mul_f64 v[8:9], v[92:93], v[122:123]
	v_fma_f64 v[4:5], v[84:85], v[124:125], -v[4:5]
	v_fmac_f64_e32 v[6:7], v[90:91], v[104:105]
	v_mul_f64 v[10:11], v[84:85], v[126:127]
	v_add_f64 v[0:1], v[0:1], v[4:5]
	v_mul_f64 v[4:5], v[98:99], v[130:131]
	v_fmac_f64_e32 v[8:9], v[94:95], v[120:121]
	v_add_f64 v[2:3], v[2:3], v[6:7]
	v_fma_f64 v[4:5], v[96:97], v[128:129], -v[4:5]
	v_mul_f64 v[12:13], v[96:97], v[130:131]
	v_fmac_f64_e32 v[10:11], v[86:87], v[124:125]
	v_add_f64 v[2:3], v[2:3], v[8:9]
	v_add_f64 v[0:1], v[0:1], v[4:5]
	v_fmac_f64_e32 v[12:13], v[98:99], v[128:129]
	v_add_f64 v[2:3], v[2:3], v[10:11]
	s_add_i32 s6, s6, -1
	s_add_i32 s12, s12, s7
	v_mov_b32_e32 v4, s18
	v_add_co_u32_e64 v8, s[8:9], s19, v152
	v_add_f64 v[2:3], v[2:3], v[12:13]
	v_add_u32_e32 v150, 64, v150
	s_cmp_eq_u32 s6, 0
	v_addc_co_u32_e64 v9, s[8:9], v153, v4, s[8:9]
	s_barrier
	s_cbranch_scc1 .LBB195_105
.LBB195_101:                            ; =>This Inner Loop Header: Depth=1
	s_and_saveexec_b64 s[14:15], s[2:3]
	s_cbranch_execz .LBB195_103
; %bb.102:                              ;   in Loop: Header=BB195_101 Depth=1
	s_ashr_i32 s13, s12, 31
	s_lshl_b64 s[8:9], s[12:13], 4
	v_mov_b32_e32 v5, s9
	v_add_co_u32_e64 v4, s[8:9], s8, v155
	v_addc_co_u32_e64 v5, s[8:9], v156, v5, s[8:9]
	flat_load_dwordx4 v[4:7], v[4:5]
	s_waitcnt vmcnt(0) lgkmcnt(0)
	ds_write2_b64 v157, v[4:5], v[6:7] offset1:1
.LBB195_103:                            ;   in Loop: Header=BB195_101 Depth=1
	s_or_b64 exec, exec, s[14:15]
	v_add_co_u32_e64 v12, s[8:9], s10, v8
	v_addc_co_u32_e64 v13, s[8:9], v9, v165, s[8:9]
	v_add_co_u32_e64 v16, s[8:9], s10, v12
	s_waitcnt lgkmcnt(0)
	s_barrier
	flat_load_dwordx4 v[4:7], v[8:9]
	v_addc_co_u32_e64 v17, s[8:9], v13, v165, s[8:9]
	flat_load_dwordx4 v[8:11], v[12:13]
	v_add_co_u32_e64 v28, s[8:9], s10, v16
	flat_load_dwordx4 v[12:15], v[16:17]
	v_addc_co_u32_e64 v29, s[8:9], v17, v165, s[8:9]
	flat_load_dwordx4 v[16:19], v[28:29]
	ds_read_b128 v[24:27], v158
	ds_read_b128 v[20:23], v162
	v_add_co_u32_e64 v36, s[8:9], s19, v28
	v_addc_co_u32_e64 v37, s[8:9], v29, v166, s[8:9]
	v_add_co_u32_e64 v38, s[8:9], s10, v36
	v_addc_co_u32_e64 v39, s[8:9], v37, v165, s[8:9]
	;; [unrolled: 2-line block ×3, first 2 shown]
	s_waitcnt vmcnt(0) lgkmcnt(0)
	v_mul_f64 v[28:29], v[6:7], v[26:27]
	v_mul_f64 v[30:31], v[4:5], v[26:27]
	v_fma_f64 v[28:29], v[4:5], v[24:25], -v[28:29]
	v_fmac_f64_e32 v[30:31], v[6:7], v[24:25]
	v_mul_f64 v[34:35], v[10:11], v[26:27]
	v_mul_f64 v[32:33], v[8:9], v[26:27]
	ds_write_b128 v163, v[28:31]
	v_fma_f64 v[30:31], v[8:9], v[24:25], -v[34:35]
	v_fmac_f64_e32 v[32:33], v[10:11], v[24:25]
	v_mul_f64 v[28:29], v[14:15], v[26:27]
	v_mul_f64 v[34:35], v[12:13], v[26:27]
	ds_read_b128 v[40:43], v162 offset:16
	ds_write_b128 v163, v[30:33] offset:1072
	v_fma_f64 v[32:33], v[12:13], v[24:25], -v[28:29]
	v_fmac_f64_e32 v[34:35], v[14:15], v[24:25]
	v_mul_f64 v[30:31], v[18:19], v[26:27]
	v_mul_f64 v[28:29], v[16:17], v[26:27]
	ds_read_b128 v[44:47], v162 offset:32
	ds_write_b128 v163, v[32:35] offset:2144
	v_fma_f64 v[26:27], v[16:17], v[24:25], -v[30:31]
	v_fmac_f64_e32 v[28:29], v[18:19], v[24:25]
	ds_read_b128 v[48:51], v162 offset:48
	ds_write_b128 v163, v[26:29] offset:3216
	s_waitcnt lgkmcnt(0)
	s_barrier
	ds_read_b128 v[128:131], v161
	ds_read_b128 v[124:127], v161 offset:16
	ds_read_b128 v[120:123], v161 offset:32
	;; [unrolled: 1-line block ×3, first 2 shown]
	s_waitcnt lgkmcnt(0)
	s_barrier
	flat_load_dwordx4 v[24:27], v[36:37]
	flat_load_dwordx4 v[32:35], v[38:39]
	;; [unrolled: 1-line block ×3, first 2 shown]
	v_add_co_u32_e64 v52, s[8:9], s10, v52
	v_addc_co_u32_e64 v53, s[8:9], v53, v165, s[8:9]
	flat_load_dwordx4 v[36:39], v[52:53]
	v_add_co_u32_e64 v66, s[8:9], s19, v52
	v_addc_co_u32_e64 v67, s[8:9], v53, v166, s[8:9]
	ds_read_b128 v[52:55], v158
	ds_read_b128 v[68:71], v162 offset:256
	v_add_co_u32_e64 v88, s[8:9], s10, v66
	v_addc_co_u32_e64 v89, s[8:9], v67, v165, s[8:9]
	v_add_co_u32_e64 v90, s[8:9], s10, v88
	v_addc_co_u32_e64 v91, s[8:9], v89, v165, s[8:9]
	v_add_f64 v[128:129], v[128:129], 0
	v_add_f64 v[130:131], v[130:131], 0
	;; [unrolled: 1-line block ×7, first 2 shown]
	s_waitcnt vmcnt(0) lgkmcnt(0)
	v_mul_f64 v[58:59], v[26:27], v[54:55]
	v_mul_f64 v[56:57], v[24:25], v[54:55]
	;; [unrolled: 1-line block ×6, first 2 shown]
	v_fmac_f64_e32 v[56:57], v[26:27], v[52:53]
	v_mul_f64 v[74:75], v[38:39], v[54:55]
	v_mul_f64 v[86:87], v[36:37], v[54:55]
	v_fma_f64 v[54:55], v[24:25], v[52:53], -v[58:59]
	v_fma_f64 v[58:59], v[32:33], v[52:53], -v[62:63]
	v_fmac_f64_e32 v[60:61], v[34:35], v[52:53]
	ds_write_b128 v163, v[54:57]
	v_fma_f64 v[62:63], v[28:29], v[52:53], -v[72:73]
	v_fmac_f64_e32 v[64:65], v[30:31], v[52:53]
	ds_read_b128 v[80:83], v162 offset:272
	ds_write_b128 v163, v[58:61] offset:1072
	v_fma_f64 v[84:85], v[36:37], v[52:53], -v[74:75]
	v_fmac_f64_e32 v[86:87], v[38:39], v[52:53]
	ds_read_b128 v[76:79], v162 offset:288
	ds_write_b128 v163, v[62:65] offset:2144
	ds_read_b128 v[72:75], v162 offset:304
	ds_write_b128 v163, v[84:87] offset:3216
	v_add_co_u32_e64 v84, s[8:9], s10, v90
	v_addc_co_u32_e64 v85, s[8:9], v91, v165, s[8:9]
	s_waitcnt lgkmcnt(0)
	s_barrier
	ds_read_b128 v[144:147], v161
	ds_read_b128 v[140:143], v161 offset:16
	ds_read_b128 v[136:139], v161 offset:32
	;; [unrolled: 1-line block ×3, first 2 shown]
	s_waitcnt lgkmcnt(0)
	s_barrier
	flat_load_dwordx4 v[52:55], v[66:67]
	flat_load_dwordx4 v[60:63], v[88:89]
	;; [unrolled: 1-line block ×3, first 2 shown]
	v_add_co_u32_e64 v98, s[8:9], s19, v84
	flat_load_dwordx4 v[64:67], v[84:85]
	v_addc_co_u32_e64 v99, s[8:9], v85, v166, s[8:9]
	ds_read_b128 v[84:87], v158
	ds_read_b128 v[100:103], v162 offset:512
	v_add_co_u32_e64 v152, s[8:9], s10, v98
	v_addc_co_u32_e64 v153, s[8:9], v99, v165, s[8:9]
	v_add_co_u32_e64 v184, s[8:9], s10, v152
	v_addc_co_u32_e64 v185, s[8:9], v153, v165, s[8:9]
	v_add_f64 v[106:107], v[146:147], 0
	v_add_f64 v[106:107], v[106:107], v[142:143]
	;; [unrolled: 1-line block ×4, first 2 shown]
	s_waitcnt vmcnt(0) lgkmcnt(0)
	v_mul_f64 v[90:91], v[54:55], v[86:87]
	v_mul_f64 v[88:89], v[52:53], v[86:87]
	;; [unrolled: 1-line block ×8, first 2 shown]
	v_fma_f64 v[86:87], v[52:53], v[84:85], -v[90:91]
	v_fmac_f64_e32 v[88:89], v[54:55], v[84:85]
	v_fma_f64 v[90:91], v[60:61], v[84:85], -v[94:95]
	v_fmac_f64_e32 v[92:93], v[62:63], v[84:85]
	ds_write_b128 v163, v[86:89]
	v_fma_f64 v[94:95], v[56:57], v[84:85], -v[108:109]
	v_fmac_f64_e32 v[96:97], v[58:59], v[84:85]
	ds_read_b128 v[116:119], v162 offset:528
	ds_write_b128 v163, v[90:93] offset:1072
	v_fma_f64 v[168:169], v[64:65], v[84:85], -v[110:111]
	v_fmac_f64_e32 v[170:171], v[66:67], v[84:85]
	ds_read_b128 v[112:115], v162 offset:544
	ds_write_b128 v163, v[94:97] offset:2144
	ds_read_b128 v[108:111], v162 offset:560
	ds_write_b128 v163, v[168:171] offset:3216
	s_waitcnt lgkmcnt(0)
	s_barrier
	ds_read_b128 v[168:171], v161
	ds_read_b128 v[172:175], v161 offset:16
	ds_read_b128 v[176:179], v161 offset:32
	ds_read_b128 v[180:183], v161 offset:48
	s_waitcnt lgkmcnt(0)
	s_barrier
	flat_load_dwordx4 v[88:91], v[98:99]
	flat_load_dwordx4 v[92:95], v[152:153]
	;; [unrolled: 1-line block ×3, first 2 shown]
	v_add_co_u32_e64 v152, s[8:9], s10, v184
	v_addc_co_u32_e64 v153, s[8:9], v185, v165, s[8:9]
	flat_load_dwordx4 v[96:99], v[152:153]
	v_add_f64 v[184:185], v[120:121], v[104:105]
	v_add_f64 v[104:105], v[144:145], 0
	;; [unrolled: 1-line block ×5, first 2 shown]
	ds_read_b128 v[120:123], v158
	ds_read_b128 v[104:107], v162 offset:768
	v_add_f64 v[124:125], v[168:169], 0
	v_add_f64 v[126:127], v[170:171], 0
	;; [unrolled: 1-line block ×8, first 2 shown]
	s_waitcnt vmcnt(0) lgkmcnt(0)
	v_mul_f64 v[126:127], v[90:91], v[122:123]
	v_mul_f64 v[124:125], v[88:89], v[122:123]
	;; [unrolled: 1-line block ×6, first 2 shown]
	v_fmac_f64_e32 v[124:125], v[90:91], v[120:121]
	v_mul_f64 v[144:145], v[98:99], v[122:123]
	v_mul_f64 v[146:147], v[96:97], v[122:123]
	v_fma_f64 v[122:123], v[88:89], v[120:121], -v[126:127]
	v_fma_f64 v[126:127], v[92:93], v[120:121], -v[130:131]
	v_fmac_f64_e32 v[128:129], v[94:95], v[120:121]
	ds_write_b128 v163, v[122:125]
	v_fma_f64 v[140:141], v[84:85], v[120:121], -v[140:141]
	v_fma_f64 v[144:145], v[96:97], v[120:121], -v[144:145]
	v_fmac_f64_e32 v[142:143], v[86:87], v[120:121]
	v_fmac_f64_e32 v[146:147], v[98:99], v[120:121]
	ds_read_b128 v[120:123], v162 offset:784
	ds_write_b128 v163, v[126:129] offset:1072
	ds_read_b128 v[124:127], v162 offset:800
	ds_write_b128 v163, v[140:143] offset:2144
	;; [unrolled: 2-line block ×3, first 2 shown]
	s_waitcnt lgkmcnt(0)
	s_barrier
	ds_read_b128 v[140:143], v161
	ds_read_b128 v[144:147], v161 offset:16
	ds_read_b128 v[168:171], v161 offset:32
	;; [unrolled: 1-line block ×3, first 2 shown]
	s_waitcnt lgkmcnt(0)
	s_barrier
	ds_write_b128 v164, v[184:187]
	ds_write_b128 v164, v[132:135] offset:256
	ds_write_b128 v164, v[136:139] offset:512
	v_add_f64 v[132:133], v[140:141], 0
	v_add_f64 v[134:135], v[142:143], 0
	;; [unrolled: 1-line block ×8, first 2 shown]
	ds_write_b128 v164, v[132:135] offset:768
	s_waitcnt lgkmcnt(0)
	s_barrier
	s_and_saveexec_b64 s[14:15], s[4:5]
	s_cbranch_execz .LBB195_100
; %bb.104:                              ;   in Loop: Header=BB195_101 Depth=1
	ds_read_b128 v[132:135], v159
	ds_read_b128 v[136:139], v159 offset:16
	ds_read_b128 v[140:143], v159 offset:32
	;; [unrolled: 1-line block ×3, first 2 shown]
	s_waitcnt lgkmcnt(2)
	v_add_f64 v[132:133], v[136:137], v[132:133]
	v_add_f64 v[136:137], v[138:139], v[134:135]
	s_waitcnt lgkmcnt(1)
	v_add_f64 v[138:139], v[132:133], v[140:141]
	ds_read_b128 v[132:135], v159 offset:64
	v_add_f64 v[140:141], v[136:137], v[142:143]
	s_waitcnt lgkmcnt(1)
	v_add_f64 v[142:143], v[138:139], v[144:145]
	ds_read_b128 v[136:139], v159 offset:80
	;; [unrolled: 4-line block ×9, first 2 shown]
	v_add_f64 v[134:135], v[144:145], v[134:135]
	s_waitcnt lgkmcnt(1)
	v_add_f64 v[136:137], v[132:133], v[136:137]
	v_add_f64 v[144:145], v[134:135], v[138:139]
	ds_read_b128 v[132:135], v159 offset:208
	s_waitcnt lgkmcnt(1)
	v_add_f64 v[146:147], v[136:137], v[140:141]
	ds_read_b128 v[136:139], v159 offset:224
	v_add_f64 v[144:145], v[144:145], v[142:143]
	ds_read_b128 v[140:143], v160
	s_waitcnt lgkmcnt(2)
	v_add_f64 v[132:133], v[146:147], v[132:133]
	v_add_f64 v[134:135], v[144:145], v[134:135]
	s_waitcnt lgkmcnt(1)
	v_add_f64 v[132:133], v[132:133], v[136:137]
	v_lshlrev_b64 v[136:137], 4, v[150:151]
	v_add_f64 v[134:135], v[134:135], v[138:139]
	v_mov_b32_e32 v138, s17
	v_add_co_u32_e64 v136, s[8:9], s16, v136
	s_waitcnt lgkmcnt(0)
	v_add_f64 v[132:133], v[132:133], v[140:141]
	v_add_f64 v[134:135], v[134:135], v[142:143]
	v_addc_co_u32_e64 v137, s[8:9], v138, v137, s[8:9]
	global_store_dwordx4 v[136:137], v[132:135], off
	s_branch .LBB195_100
.LBB195_105:
	s_movk_i32 s2, 0x430
	s_or_b64 s[0:1], s[0:1], vcc
	v_mad_u32_u24 v4, v149, s2, v154
	s_xor_b64 s[0:1], s[0:1], -1
	ds_write_b128 v4, v[0:3]
	s_waitcnt lgkmcnt(0)
	s_barrier
	s_and_saveexec_b64 s[2:3], s[0:1]
	s_cbranch_execz .LBB195_107
; %bb.106:
	ds_read_b128 v[0:3], v154 offset:1072
	ds_read_b128 v[4:7], v154
	ds_read_b128 v[8:11], v154 offset:2144
	ds_read_b128 v[12:15], v154 offset:3216
	v_ashrrev_i32_e32 v149, 31, v148
	s_waitcnt lgkmcnt(2)
	v_add_f64 v[0:1], v[0:1], v[4:5]
	v_add_f64 v[2:3], v[2:3], v[6:7]
	v_lshlrev_b64 v[4:5], 4, v[148:149]
	s_waitcnt lgkmcnt(1)
	v_add_f64 v[0:1], v[0:1], v[8:9]
	v_add_f64 v[2:3], v[2:3], v[10:11]
	v_mov_b32_e32 v6, s17
	v_add_co_u32_e32 v4, vcc, s16, v4
	s_waitcnt lgkmcnt(0)
	v_add_f64 v[0:1], v[0:1], v[12:13]
	v_add_f64 v[2:3], v[2:3], v[14:15]
	v_addc_co_u32_e32 v5, vcc, v6, v5, vcc
	global_store_dwordx4 v[4:5], v[0:3], off
.LBB195_107:
	s_endpgm
	.section	.rodata,"a",@progbits
	.p2align	6, 0x0
	.amdhsa_kernel _ZL26rocblas_hemvn_kernel_lowerILb0ELi64ELi4ELi33ELi32ELi16Ei19rocblas_complex_numIdEPKPKS1_PS1_EviT6_lT7_lT5_lS8_lS9_lS7_lT8_i
		.amdhsa_group_segment_fixed_size 19200
		.amdhsa_private_segment_fixed_size 0
		.amdhsa_kernarg_size 392
		.amdhsa_user_sgpr_count 6
		.amdhsa_user_sgpr_private_segment_buffer 1
		.amdhsa_user_sgpr_dispatch_ptr 0
		.amdhsa_user_sgpr_queue_ptr 0
		.amdhsa_user_sgpr_kernarg_segment_ptr 1
		.amdhsa_user_sgpr_dispatch_id 0
		.amdhsa_user_sgpr_flat_scratch_init 0
		.amdhsa_user_sgpr_kernarg_preload_length 0
		.amdhsa_user_sgpr_kernarg_preload_offset 0
		.amdhsa_user_sgpr_private_segment_size 0
		.amdhsa_uses_dynamic_stack 0
		.amdhsa_system_sgpr_private_segment_wavefront_offset 0
		.amdhsa_system_sgpr_workgroup_id_x 1
		.amdhsa_system_sgpr_workgroup_id_y 0
		.amdhsa_system_sgpr_workgroup_id_z 1
		.amdhsa_system_sgpr_workgroup_info 0
		.amdhsa_system_vgpr_workitem_id 1
		.amdhsa_next_free_vgpr 188
		.amdhsa_next_free_sgpr 46
		.amdhsa_accum_offset 188
		.amdhsa_reserve_vcc 1
		.amdhsa_reserve_flat_scratch 0
		.amdhsa_float_round_mode_32 0
		.amdhsa_float_round_mode_16_64 0
		.amdhsa_float_denorm_mode_32 3
		.amdhsa_float_denorm_mode_16_64 3
		.amdhsa_dx10_clamp 1
		.amdhsa_ieee_mode 1
		.amdhsa_fp16_overflow 0
		.amdhsa_tg_split 0
		.amdhsa_exception_fp_ieee_invalid_op 0
		.amdhsa_exception_fp_denorm_src 0
		.amdhsa_exception_fp_ieee_div_zero 0
		.amdhsa_exception_fp_ieee_overflow 0
		.amdhsa_exception_fp_ieee_underflow 0
		.amdhsa_exception_fp_ieee_inexact 0
		.amdhsa_exception_int_div_zero 0
	.end_amdhsa_kernel
	.section	.text._ZL26rocblas_hemvn_kernel_lowerILb0ELi64ELi4ELi33ELi32ELi16Ei19rocblas_complex_numIdEPKPKS1_PS1_EviT6_lT7_lT5_lS8_lS9_lS7_lT8_i,"axG",@progbits,_ZL26rocblas_hemvn_kernel_lowerILb0ELi64ELi4ELi33ELi32ELi16Ei19rocblas_complex_numIdEPKPKS1_PS1_EviT6_lT7_lT5_lS8_lS9_lS7_lT8_i,comdat
.Lfunc_end195:
	.size	_ZL26rocblas_hemvn_kernel_lowerILb0ELi64ELi4ELi33ELi32ELi16Ei19rocblas_complex_numIdEPKPKS1_PS1_EviT6_lT7_lT5_lS8_lS9_lS7_lT8_i, .Lfunc_end195-_ZL26rocblas_hemvn_kernel_lowerILb0ELi64ELi4ELi33ELi32ELi16Ei19rocblas_complex_numIdEPKPKS1_PS1_EviT6_lT7_lT5_lS8_lS9_lS7_lT8_i
                                        ; -- End function
	.section	.AMDGPU.csdata,"",@progbits
; Kernel info:
; codeLenInByte = 9196
; NumSgprs: 50
; NumVgprs: 188
; NumAgprs: 0
; TotalNumVgprs: 188
; ScratchSize: 0
; MemoryBound: 0
; FloatMode: 240
; IeeeMode: 1
; LDSByteSize: 19200 bytes/workgroup (compile time only)
; SGPRBlocks: 6
; VGPRBlocks: 23
; NumSGPRsForWavesPerEU: 50
; NumVGPRsForWavesPerEU: 188
; AccumOffset: 188
; Occupancy: 2
; WaveLimiterHint : 1
; COMPUTE_PGM_RSRC2:SCRATCH_EN: 0
; COMPUTE_PGM_RSRC2:USER_SGPR: 6
; COMPUTE_PGM_RSRC2:TRAP_HANDLER: 0
; COMPUTE_PGM_RSRC2:TGID_X_EN: 1
; COMPUTE_PGM_RSRC2:TGID_Y_EN: 0
; COMPUTE_PGM_RSRC2:TGID_Z_EN: 1
; COMPUTE_PGM_RSRC2:TIDIG_COMP_CNT: 1
; COMPUTE_PGM_RSRC3_GFX90A:ACCUM_OFFSET: 46
; COMPUTE_PGM_RSRC3_GFX90A:TG_SPLIT: 0
	.text
	.p2alignl 6, 3212836864
	.fill 256, 4, 3212836864
	.type	__hip_cuid_aa5948aafb374b84,@object ; @__hip_cuid_aa5948aafb374b84
	.section	.bss,"aw",@nobits
	.globl	__hip_cuid_aa5948aafb374b84
__hip_cuid_aa5948aafb374b84:
	.byte	0                               ; 0x0
	.size	__hip_cuid_aa5948aafb374b84, 1

	.ident	"AMD clang version 19.0.0git (https://github.com/RadeonOpenCompute/llvm-project roc-6.4.0 25133 c7fe45cf4b819c5991fe208aaa96edf142730f1d)"
	.section	".note.GNU-stack","",@progbits
	.addrsig
	.addrsig_sym __hip_cuid_aa5948aafb374b84
	.amdgpu_metadata
---
amdhsa.kernels:
  - .agpr_count:     0
    .args:
      - .offset:         0
        .size:           4
        .value_kind:     by_value
      - .address_space:  global
        .offset:         8
        .size:           8
        .value_kind:     global_buffer
      - .offset:         16
        .size:           8
        .value_kind:     by_value
      - .address_space:  global
        .offset:         24
        .size:           8
        .value_kind:     global_buffer
      - .offset:         32
        .size:           8
        .value_kind:     by_value
      - .offset:         40
        .size:           8
        .value_kind:     by_value
      - .offset:         48
        .size:           8
        .value_kind:     by_value
      - .address_space:  global
        .offset:         56
        .size:           8
        .value_kind:     global_buffer
      - .offset:         64
        .size:           8
        .value_kind:     by_value
      - .offset:         72
        .size:           8
        .value_kind:     by_value
      - .offset:         80
        .size:           8
        .value_kind:     by_value
      - .address_space:  global
        .offset:         88
        .size:           8
        .value_kind:     global_buffer
      - .offset:         96
        .size:           8
        .value_kind:     by_value
      - .address_space:  global
        .offset:         104
        .size:           8
        .value_kind:     global_buffer
      - .offset:         112
        .size:           4
        .value_kind:     by_value
      - .offset:         120
        .size:           4
        .value_kind:     hidden_block_count_x
      - .offset:         124
        .size:           4
        .value_kind:     hidden_block_count_y
      - .offset:         128
        .size:           4
        .value_kind:     hidden_block_count_z
      - .offset:         132
        .size:           2
        .value_kind:     hidden_group_size_x
      - .offset:         134
        .size:           2
        .value_kind:     hidden_group_size_y
      - .offset:         136
        .size:           2
        .value_kind:     hidden_group_size_z
      - .offset:         138
        .size:           2
        .value_kind:     hidden_remainder_x
      - .offset:         140
        .size:           2
        .value_kind:     hidden_remainder_y
      - .offset:         142
        .size:           2
        .value_kind:     hidden_remainder_z
      - .offset:         160
        .size:           8
        .value_kind:     hidden_global_offset_x
      - .offset:         168
        .size:           8
        .value_kind:     hidden_global_offset_y
      - .offset:         176
        .size:           8
        .value_kind:     hidden_global_offset_z
      - .offset:         184
        .size:           2
        .value_kind:     hidden_grid_dims
    .group_segment_fixed_size: 9600
    .kernarg_segment_align: 8
    .kernarg_segment_size: 376
    .language:       OpenCL C
    .language_version:
      - 2
      - 0
    .max_flat_workgroup_size: 256
    .name:           _ZL26rocblas_hemvn_kernel_upperILb1ELi64ELi4ELi33ELi32ELi16ElPK19rocblas_complex_numIfES3_PS1_EviT6_lT7_lT5_lS6_lS7_lS5_lT8_i
    .private_segment_fixed_size: 0
    .sgpr_count:     46
    .sgpr_spill_count: 0
    .symbol:         _ZL26rocblas_hemvn_kernel_upperILb1ELi64ELi4ELi33ELi32ELi16ElPK19rocblas_complex_numIfES3_PS1_EviT6_lT7_lT5_lS6_lS7_lS5_lT8_i.kd
    .uniform_work_group_size: 1
    .uses_dynamic_stack: false
    .vgpr_count:     152
    .vgpr_spill_count: 0
    .wavefront_size: 64
  - .agpr_count:     0
    .args:
      - .offset:         0
        .size:           4
        .value_kind:     by_value
      - .address_space:  global
        .offset:         8
        .size:           8
        .value_kind:     global_buffer
      - .offset:         16
        .size:           8
        .value_kind:     by_value
      - .address_space:  global
        .offset:         24
        .size:           8
        .value_kind:     global_buffer
      - .offset:         32
        .size:           8
        .value_kind:     by_value
      - .address_space:  global
        .offset:         40
        .size:           8
        .value_kind:     global_buffer
      - .offset:         48
        .size:           8
        .value_kind:     by_value
      - .offset:         56
        .size:           8
        .value_kind:     by_value
      - .offset:         64
        .size:           8
        .value_kind:     by_value
      - .address_space:  global
        .offset:         72
        .size:           8
        .value_kind:     global_buffer
      - .offset:         80
        .size:           4
        .value_kind:     by_value
      - .offset:         88
        .size:           4
        .value_kind:     hidden_block_count_x
      - .offset:         92
        .size:           4
        .value_kind:     hidden_block_count_y
      - .offset:         96
        .size:           4
        .value_kind:     hidden_block_count_z
      - .offset:         100
        .size:           2
        .value_kind:     hidden_group_size_x
      - .offset:         102
        .size:           2
        .value_kind:     hidden_group_size_y
      - .offset:         104
        .size:           2
        .value_kind:     hidden_group_size_z
      - .offset:         106
        .size:           2
        .value_kind:     hidden_remainder_x
      - .offset:         108
        .size:           2
        .value_kind:     hidden_remainder_y
      - .offset:         110
        .size:           2
        .value_kind:     hidden_remainder_z
      - .offset:         128
        .size:           8
        .value_kind:     hidden_global_offset_x
      - .offset:         136
        .size:           8
        .value_kind:     hidden_global_offset_y
      - .offset:         144
        .size:           8
        .value_kind:     hidden_global_offset_z
      - .offset:         152
        .size:           2
        .value_kind:     hidden_grid_dims
    .group_segment_fixed_size: 0
    .kernarg_segment_align: 8
    .kernarg_segment_size: 344
    .language:       OpenCL C
    .language_version:
      - 2
      - 0
    .max_flat_workgroup_size: 64
    .name:           _ZL36rocblas_hemvn_kernel_upper_block_sumILi64ElPK19rocblas_complex_numIfEPS1_S1_EviT1_lS5_lT2_lT0_lPT3_i
    .private_segment_fixed_size: 0
    .sgpr_count:     28
    .sgpr_spill_count: 0
    .symbol:         _ZL36rocblas_hemvn_kernel_upper_block_sumILi64ElPK19rocblas_complex_numIfEPS1_S1_EviT1_lS5_lT2_lT0_lPT3_i.kd
    .uniform_work_group_size: 1
    .uses_dynamic_stack: false
    .vgpr_count:     14
    .vgpr_spill_count: 0
    .wavefront_size: 64
  - .agpr_count:     0
    .args:
      - .offset:         0
        .size:           4
        .value_kind:     by_value
      - .address_space:  global
        .offset:         8
        .size:           8
        .value_kind:     global_buffer
      - .offset:         16
        .size:           8
        .value_kind:     by_value
      - .address_space:  global
        .offset:         24
        .size:           8
        .value_kind:     global_buffer
      - .offset:         32
        .size:           8
        .value_kind:     by_value
      - .offset:         40
        .size:           4
        .value_kind:     by_value
      - .offset:         48
        .size:           8
        .value_kind:     by_value
      - .address_space:  global
        .offset:         56
        .size:           8
        .value_kind:     global_buffer
      - .offset:         64
        .size:           8
        .value_kind:     by_value
      - .offset:         72
        .size:           4
        .value_kind:     by_value
      - .offset:         80
        .size:           8
        .value_kind:     by_value
      - .address_space:  global
        .offset:         88
        .size:           8
        .value_kind:     global_buffer
      - .offset:         96
        .size:           8
        .value_kind:     by_value
      - .address_space:  global
        .offset:         104
        .size:           8
        .value_kind:     global_buffer
      - .offset:         112
        .size:           4
        .value_kind:     by_value
      - .offset:         120
        .size:           4
        .value_kind:     hidden_block_count_x
      - .offset:         124
        .size:           4
        .value_kind:     hidden_block_count_y
      - .offset:         128
        .size:           4
        .value_kind:     hidden_block_count_z
      - .offset:         132
        .size:           2
        .value_kind:     hidden_group_size_x
      - .offset:         134
        .size:           2
        .value_kind:     hidden_group_size_y
      - .offset:         136
        .size:           2
        .value_kind:     hidden_group_size_z
      - .offset:         138
        .size:           2
        .value_kind:     hidden_remainder_x
      - .offset:         140
        .size:           2
        .value_kind:     hidden_remainder_y
      - .offset:         142
        .size:           2
        .value_kind:     hidden_remainder_z
      - .offset:         160
        .size:           8
        .value_kind:     hidden_global_offset_x
      - .offset:         168
        .size:           8
        .value_kind:     hidden_global_offset_y
      - .offset:         176
        .size:           8
        .value_kind:     hidden_global_offset_z
      - .offset:         184
        .size:           2
        .value_kind:     hidden_grid_dims
    .group_segment_fixed_size: 9600
    .kernarg_segment_align: 8
    .kernarg_segment_size: 376
    .language:       OpenCL C
    .language_version:
      - 2
      - 0
    .max_flat_workgroup_size: 256
    .name:           _ZL26rocblas_hemvn_kernel_upperILb1ELi64ELi4ELi33ELi32ELi16EiPK19rocblas_complex_numIfES3_PS1_EviT6_lT7_lT5_lS6_lS7_lS5_lT8_i
    .private_segment_fixed_size: 0
    .sgpr_count:     48
    .sgpr_spill_count: 0
    .symbol:         _ZL26rocblas_hemvn_kernel_upperILb1ELi64ELi4ELi33ELi32ELi16EiPK19rocblas_complex_numIfES3_PS1_EviT6_lT7_lT5_lS6_lS7_lS5_lT8_i.kd
    .uniform_work_group_size: 1
    .uses_dynamic_stack: false
    .vgpr_count:     162
    .vgpr_spill_count: 0
    .wavefront_size: 64
  - .agpr_count:     0
    .args:
      - .offset:         0
        .size:           4
        .value_kind:     by_value
      - .address_space:  global
        .offset:         8
        .size:           8
        .value_kind:     global_buffer
      - .offset:         16
        .size:           8
        .value_kind:     by_value
      - .address_space:  global
        .offset:         24
        .size:           8
        .value_kind:     global_buffer
      - .offset:         32
        .size:           8
        .value_kind:     by_value
      - .address_space:  global
        .offset:         40
        .size:           8
        .value_kind:     global_buffer
      - .offset:         48
        .size:           8
        .value_kind:     by_value
      - .offset:         56
        .size:           4
        .value_kind:     by_value
      - .offset:         64
        .size:           8
        .value_kind:     by_value
      - .address_space:  global
        .offset:         72
        .size:           8
        .value_kind:     global_buffer
      - .offset:         80
        .size:           4
        .value_kind:     by_value
      - .offset:         88
        .size:           4
        .value_kind:     hidden_block_count_x
      - .offset:         92
        .size:           4
        .value_kind:     hidden_block_count_y
      - .offset:         96
        .size:           4
        .value_kind:     hidden_block_count_z
      - .offset:         100
        .size:           2
        .value_kind:     hidden_group_size_x
      - .offset:         102
        .size:           2
        .value_kind:     hidden_group_size_y
      - .offset:         104
        .size:           2
        .value_kind:     hidden_group_size_z
      - .offset:         106
        .size:           2
        .value_kind:     hidden_remainder_x
      - .offset:         108
        .size:           2
        .value_kind:     hidden_remainder_y
      - .offset:         110
        .size:           2
        .value_kind:     hidden_remainder_z
      - .offset:         128
        .size:           8
        .value_kind:     hidden_global_offset_x
      - .offset:         136
        .size:           8
        .value_kind:     hidden_global_offset_y
      - .offset:         144
        .size:           8
        .value_kind:     hidden_global_offset_z
      - .offset:         152
        .size:           2
        .value_kind:     hidden_grid_dims
    .group_segment_fixed_size: 0
    .kernarg_segment_align: 8
    .kernarg_segment_size: 344
    .language:       OpenCL C
    .language_version:
      - 2
      - 0
    .max_flat_workgroup_size: 64
    .name:           _ZL36rocblas_hemvn_kernel_upper_block_sumILi64EiPK19rocblas_complex_numIfEPS1_S1_EviT1_lS5_lT2_lT0_lPT3_i
    .private_segment_fixed_size: 0
    .sgpr_count:     25
    .sgpr_spill_count: 0
    .symbol:         _ZL36rocblas_hemvn_kernel_upper_block_sumILi64EiPK19rocblas_complex_numIfEPS1_S1_EviT1_lS5_lT2_lT0_lPT3_i.kd
    .uniform_work_group_size: 1
    .uses_dynamic_stack: false
    .vgpr_count:     12
    .vgpr_spill_count: 0
    .wavefront_size: 64
  - .agpr_count:     0
    .args:
      - .offset:         0
        .size:           4
        .value_kind:     by_value
      - .offset:         4
        .size:           8
        .value_kind:     by_value
      - .offset:         16
        .size:           8
        .value_kind:     by_value
      - .address_space:  global
        .offset:         24
        .size:           8
        .value_kind:     global_buffer
      - .offset:         32
        .size:           8
        .value_kind:     by_value
      - .offset:         40
        .size:           8
        .value_kind:     by_value
      - .offset:         48
        .size:           8
        .value_kind:     by_value
      - .address_space:  global
        .offset:         56
        .size:           8
        .value_kind:     global_buffer
      - .offset:         64
        .size:           8
        .value_kind:     by_value
      - .offset:         72
        .size:           8
        .value_kind:     by_value
      - .offset:         80
        .size:           8
        .value_kind:     by_value
      - .offset:         88
        .size:           8
        .value_kind:     by_value
      - .offset:         96
        .size:           8
        .value_kind:     by_value
      - .address_space:  global
        .offset:         104
        .size:           8
        .value_kind:     global_buffer
      - .offset:         112
        .size:           4
        .value_kind:     by_value
      - .offset:         120
        .size:           4
        .value_kind:     hidden_block_count_x
      - .offset:         124
        .size:           4
        .value_kind:     hidden_block_count_y
      - .offset:         128
        .size:           4
        .value_kind:     hidden_block_count_z
      - .offset:         132
        .size:           2
        .value_kind:     hidden_group_size_x
      - .offset:         134
        .size:           2
        .value_kind:     hidden_group_size_y
      - .offset:         136
        .size:           2
        .value_kind:     hidden_group_size_z
      - .offset:         138
        .size:           2
        .value_kind:     hidden_remainder_x
      - .offset:         140
        .size:           2
        .value_kind:     hidden_remainder_y
      - .offset:         142
        .size:           2
        .value_kind:     hidden_remainder_z
      - .offset:         160
        .size:           8
        .value_kind:     hidden_global_offset_x
      - .offset:         168
        .size:           8
        .value_kind:     hidden_global_offset_y
      - .offset:         176
        .size:           8
        .value_kind:     hidden_global_offset_z
      - .offset:         184
        .size:           2
        .value_kind:     hidden_grid_dims
    .group_segment_fixed_size: 9600
    .kernarg_segment_align: 8
    .kernarg_segment_size: 376
    .language:       OpenCL C
    .language_version:
      - 2
      - 0
    .max_flat_workgroup_size: 256
    .name:           _ZL26rocblas_hemvn_kernel_upperILb1ELi64ELi4ELi33ELi32ELi16El19rocblas_complex_numIfEPKS1_PS1_EviT6_lT7_lT5_lS6_lS7_lS5_lT8_i
    .private_segment_fixed_size: 0
    .sgpr_count:     46
    .sgpr_spill_count: 0
    .symbol:         _ZL26rocblas_hemvn_kernel_upperILb1ELi64ELi4ELi33ELi32ELi16El19rocblas_complex_numIfEPKS1_PS1_EviT6_lT7_lT5_lS6_lS7_lS5_lT8_i.kd
    .uniform_work_group_size: 1
    .uses_dynamic_stack: false
    .vgpr_count:     152
    .vgpr_spill_count: 0
    .wavefront_size: 64
  - .agpr_count:     0
    .args:
      - .offset:         0
        .size:           4
        .value_kind:     by_value
      - .offset:         4
        .size:           8
        .value_kind:     by_value
      - .offset:         16
        .size:           8
        .value_kind:     by_value
      - .offset:         24
        .size:           8
        .value_kind:     by_value
      - .offset:         32
        .size:           8
        .value_kind:     by_value
      - .address_space:  global
        .offset:         40
        .size:           8
        .value_kind:     global_buffer
      - .offset:         48
        .size:           8
        .value_kind:     by_value
      - .offset:         56
        .size:           8
        .value_kind:     by_value
      - .offset:         64
        .size:           8
        .value_kind:     by_value
      - .address_space:  global
        .offset:         72
        .size:           8
        .value_kind:     global_buffer
      - .offset:         80
        .size:           4
        .value_kind:     by_value
      - .offset:         88
        .size:           4
        .value_kind:     hidden_block_count_x
      - .offset:         92
        .size:           4
        .value_kind:     hidden_block_count_y
      - .offset:         96
        .size:           4
        .value_kind:     hidden_block_count_z
      - .offset:         100
        .size:           2
        .value_kind:     hidden_group_size_x
      - .offset:         102
        .size:           2
        .value_kind:     hidden_group_size_y
      - .offset:         104
        .size:           2
        .value_kind:     hidden_group_size_z
      - .offset:         106
        .size:           2
        .value_kind:     hidden_remainder_x
      - .offset:         108
        .size:           2
        .value_kind:     hidden_remainder_y
      - .offset:         110
        .size:           2
        .value_kind:     hidden_remainder_z
      - .offset:         128
        .size:           8
        .value_kind:     hidden_global_offset_x
      - .offset:         136
        .size:           8
        .value_kind:     hidden_global_offset_y
      - .offset:         144
        .size:           8
        .value_kind:     hidden_global_offset_z
      - .offset:         152
        .size:           2
        .value_kind:     hidden_grid_dims
    .group_segment_fixed_size: 0
    .kernarg_segment_align: 8
    .kernarg_segment_size: 344
    .language:       OpenCL C
    .language_version:
      - 2
      - 0
    .max_flat_workgroup_size: 64
    .name:           _ZL36rocblas_hemvn_kernel_upper_block_sumILi64El19rocblas_complex_numIfEPS1_S1_EviT1_lS3_lT2_lT0_lPT3_i
    .private_segment_fixed_size: 0
    .sgpr_count:     28
    .sgpr_spill_count: 0
    .symbol:         _ZL36rocblas_hemvn_kernel_upper_block_sumILi64El19rocblas_complex_numIfEPS1_S1_EviT1_lS3_lT2_lT0_lPT3_i.kd
    .uniform_work_group_size: 1
    .uses_dynamic_stack: false
    .vgpr_count:     14
    .vgpr_spill_count: 0
    .wavefront_size: 64
  - .agpr_count:     0
    .args:
      - .offset:         0
        .size:           4
        .value_kind:     by_value
      - .offset:         4
        .size:           8
        .value_kind:     by_value
      - .offset:         16
        .size:           8
        .value_kind:     by_value
      - .address_space:  global
        .offset:         24
        .size:           8
        .value_kind:     global_buffer
      - .offset:         32
        .size:           8
        .value_kind:     by_value
      - .offset:         40
        .size:           4
        .value_kind:     by_value
      - .offset:         48
        .size:           8
        .value_kind:     by_value
      - .address_space:  global
        .offset:         56
        .size:           8
        .value_kind:     global_buffer
      - .offset:         64
        .size:           8
        .value_kind:     by_value
      - .offset:         72
        .size:           4
        .value_kind:     by_value
      - .offset:         80
        .size:           8
        .value_kind:     by_value
      - .offset:         88
        .size:           8
        .value_kind:     by_value
      - .offset:         96
        .size:           8
        .value_kind:     by_value
      - .address_space:  global
        .offset:         104
        .size:           8
        .value_kind:     global_buffer
      - .offset:         112
        .size:           4
        .value_kind:     by_value
      - .offset:         120
        .size:           4
        .value_kind:     hidden_block_count_x
      - .offset:         124
        .size:           4
        .value_kind:     hidden_block_count_y
      - .offset:         128
        .size:           4
        .value_kind:     hidden_block_count_z
      - .offset:         132
        .size:           2
        .value_kind:     hidden_group_size_x
      - .offset:         134
        .size:           2
        .value_kind:     hidden_group_size_y
      - .offset:         136
        .size:           2
        .value_kind:     hidden_group_size_z
      - .offset:         138
        .size:           2
        .value_kind:     hidden_remainder_x
      - .offset:         140
        .size:           2
        .value_kind:     hidden_remainder_y
      - .offset:         142
        .size:           2
        .value_kind:     hidden_remainder_z
      - .offset:         160
        .size:           8
        .value_kind:     hidden_global_offset_x
      - .offset:         168
        .size:           8
        .value_kind:     hidden_global_offset_y
      - .offset:         176
        .size:           8
        .value_kind:     hidden_global_offset_z
      - .offset:         184
        .size:           2
        .value_kind:     hidden_grid_dims
    .group_segment_fixed_size: 9600
    .kernarg_segment_align: 8
    .kernarg_segment_size: 376
    .language:       OpenCL C
    .language_version:
      - 2
      - 0
    .max_flat_workgroup_size: 256
    .name:           _ZL26rocblas_hemvn_kernel_upperILb1ELi64ELi4ELi33ELi32ELi16Ei19rocblas_complex_numIfEPKS1_PS1_EviT6_lT7_lT5_lS6_lS7_lS5_lT8_i
    .private_segment_fixed_size: 0
    .sgpr_count:     48
    .sgpr_spill_count: 0
    .symbol:         _ZL26rocblas_hemvn_kernel_upperILb1ELi64ELi4ELi33ELi32ELi16Ei19rocblas_complex_numIfEPKS1_PS1_EviT6_lT7_lT5_lS6_lS7_lS5_lT8_i.kd
    .uniform_work_group_size: 1
    .uses_dynamic_stack: false
    .vgpr_count:     162
    .vgpr_spill_count: 0
    .wavefront_size: 64
  - .agpr_count:     0
    .args:
      - .offset:         0
        .size:           4
        .value_kind:     by_value
      - .offset:         4
        .size:           8
        .value_kind:     by_value
      - .offset:         16
        .size:           8
        .value_kind:     by_value
      - .offset:         24
        .size:           8
        .value_kind:     by_value
      - .offset:         32
        .size:           8
        .value_kind:     by_value
      - .address_space:  global
        .offset:         40
        .size:           8
        .value_kind:     global_buffer
      - .offset:         48
        .size:           8
        .value_kind:     by_value
      - .offset:         56
        .size:           4
        .value_kind:     by_value
      - .offset:         64
        .size:           8
        .value_kind:     by_value
      - .address_space:  global
        .offset:         72
        .size:           8
        .value_kind:     global_buffer
      - .offset:         80
        .size:           4
        .value_kind:     by_value
      - .offset:         88
        .size:           4
        .value_kind:     hidden_block_count_x
      - .offset:         92
        .size:           4
        .value_kind:     hidden_block_count_y
      - .offset:         96
        .size:           4
        .value_kind:     hidden_block_count_z
      - .offset:         100
        .size:           2
        .value_kind:     hidden_group_size_x
      - .offset:         102
        .size:           2
        .value_kind:     hidden_group_size_y
      - .offset:         104
        .size:           2
        .value_kind:     hidden_group_size_z
      - .offset:         106
        .size:           2
        .value_kind:     hidden_remainder_x
      - .offset:         108
        .size:           2
        .value_kind:     hidden_remainder_y
      - .offset:         110
        .size:           2
        .value_kind:     hidden_remainder_z
      - .offset:         128
        .size:           8
        .value_kind:     hidden_global_offset_x
      - .offset:         136
        .size:           8
        .value_kind:     hidden_global_offset_y
      - .offset:         144
        .size:           8
        .value_kind:     hidden_global_offset_z
      - .offset:         152
        .size:           2
        .value_kind:     hidden_grid_dims
    .group_segment_fixed_size: 0
    .kernarg_segment_align: 8
    .kernarg_segment_size: 344
    .language:       OpenCL C
    .language_version:
      - 2
      - 0
    .max_flat_workgroup_size: 64
    .name:           _ZL36rocblas_hemvn_kernel_upper_block_sumILi64Ei19rocblas_complex_numIfEPS1_S1_EviT1_lS3_lT2_lT0_lPT3_i
    .private_segment_fixed_size: 0
    .sgpr_count:     25
    .sgpr_spill_count: 0
    .symbol:         _ZL36rocblas_hemvn_kernel_upper_block_sumILi64Ei19rocblas_complex_numIfEPS1_S1_EviT1_lS3_lT2_lT0_lPT3_i.kd
    .uniform_work_group_size: 1
    .uses_dynamic_stack: false
    .vgpr_count:     12
    .vgpr_spill_count: 0
    .wavefront_size: 64
  - .agpr_count:     0
    .args:
      - .offset:         0
        .size:           4
        .value_kind:     by_value
      - .address_space:  global
        .offset:         8
        .size:           8
        .value_kind:     global_buffer
      - .offset:         16
        .size:           8
        .value_kind:     by_value
      - .address_space:  global
        .offset:         24
        .size:           8
        .value_kind:     global_buffer
      - .offset:         32
        .size:           8
        .value_kind:     by_value
      - .offset:         40
        .size:           8
        .value_kind:     by_value
      - .offset:         48
        .size:           8
        .value_kind:     by_value
      - .address_space:  global
        .offset:         56
        .size:           8
        .value_kind:     global_buffer
      - .offset:         64
        .size:           8
        .value_kind:     by_value
      - .offset:         72
        .size:           8
        .value_kind:     by_value
      - .offset:         80
        .size:           8
        .value_kind:     by_value
      - .address_space:  global
        .offset:         88
        .size:           8
        .value_kind:     global_buffer
      - .offset:         96
        .size:           8
        .value_kind:     by_value
      - .address_space:  global
        .offset:         104
        .size:           8
        .value_kind:     global_buffer
      - .offset:         112
        .size:           4
        .value_kind:     by_value
      - .offset:         120
        .size:           4
        .value_kind:     hidden_block_count_x
      - .offset:         124
        .size:           4
        .value_kind:     hidden_block_count_y
      - .offset:         128
        .size:           4
        .value_kind:     hidden_block_count_z
      - .offset:         132
        .size:           2
        .value_kind:     hidden_group_size_x
      - .offset:         134
        .size:           2
        .value_kind:     hidden_group_size_y
      - .offset:         136
        .size:           2
        .value_kind:     hidden_group_size_z
      - .offset:         138
        .size:           2
        .value_kind:     hidden_remainder_x
      - .offset:         140
        .size:           2
        .value_kind:     hidden_remainder_y
      - .offset:         142
        .size:           2
        .value_kind:     hidden_remainder_z
      - .offset:         160
        .size:           8
        .value_kind:     hidden_global_offset_x
      - .offset:         168
        .size:           8
        .value_kind:     hidden_global_offset_y
      - .offset:         176
        .size:           8
        .value_kind:     hidden_global_offset_z
      - .offset:         184
        .size:           2
        .value_kind:     hidden_grid_dims
    .group_segment_fixed_size: 9600
    .kernarg_segment_align: 8
    .kernarg_segment_size: 376
    .language:       OpenCL C
    .language_version:
      - 2
      - 0
    .max_flat_workgroup_size: 256
    .name:           _ZL26rocblas_hemvn_kernel_lowerILb1ELi64ELi4ELi33ELi32ELi16ElPK19rocblas_complex_numIfES3_PS1_EviT6_lT7_lT5_lS6_lS7_lS5_lT8_i
    .private_segment_fixed_size: 0
    .sgpr_count:     50
    .sgpr_spill_count: 0
    .symbol:         _ZL26rocblas_hemvn_kernel_lowerILb1ELi64ELi4ELi33ELi32ELi16ElPK19rocblas_complex_numIfES3_PS1_EviT6_lT7_lT5_lS6_lS7_lS5_lT8_i.kd
    .uniform_work_group_size: 1
    .uses_dynamic_stack: false
    .vgpr_count:     120
    .vgpr_spill_count: 0
    .wavefront_size: 64
  - .agpr_count:     0
    .args:
      - .offset:         0
        .size:           4
        .value_kind:     by_value
      - .address_space:  global
        .offset:         8
        .size:           8
        .value_kind:     global_buffer
      - .offset:         16
        .size:           8
        .value_kind:     by_value
      - .address_space:  global
        .offset:         24
        .size:           8
        .value_kind:     global_buffer
      - .offset:         32
        .size:           8
        .value_kind:     by_value
      - .address_space:  global
        .offset:         40
        .size:           8
        .value_kind:     global_buffer
      - .offset:         48
        .size:           8
        .value_kind:     by_value
      - .offset:         56
        .size:           8
        .value_kind:     by_value
      - .offset:         64
        .size:           8
        .value_kind:     by_value
      - .actual_access:  read_only
        .address_space:  global
        .offset:         72
        .size:           8
        .value_kind:     global_buffer
      - .offset:         80
        .size:           4
        .value_kind:     by_value
      - .offset:         88
        .size:           4
        .value_kind:     hidden_block_count_x
      - .offset:         92
        .size:           4
        .value_kind:     hidden_block_count_y
      - .offset:         96
        .size:           4
        .value_kind:     hidden_block_count_z
      - .offset:         100
        .size:           2
        .value_kind:     hidden_group_size_x
      - .offset:         102
        .size:           2
        .value_kind:     hidden_group_size_y
      - .offset:         104
        .size:           2
        .value_kind:     hidden_group_size_z
      - .offset:         106
        .size:           2
        .value_kind:     hidden_remainder_x
      - .offset:         108
        .size:           2
        .value_kind:     hidden_remainder_y
      - .offset:         110
        .size:           2
        .value_kind:     hidden_remainder_z
      - .offset:         128
        .size:           8
        .value_kind:     hidden_global_offset_x
      - .offset:         136
        .size:           8
        .value_kind:     hidden_global_offset_y
      - .offset:         144
        .size:           8
        .value_kind:     hidden_global_offset_z
      - .offset:         152
        .size:           2
        .value_kind:     hidden_grid_dims
    .group_segment_fixed_size: 0
    .kernarg_segment_align: 8
    .kernarg_segment_size: 344
    .language:       OpenCL C
    .language_version:
      - 2
      - 0
    .max_flat_workgroup_size: 64
    .name:           _ZL36rocblas_hemvn_kernel_lower_block_sumILi64ElPK19rocblas_complex_numIfEPS1_S1_EviT1_lS5_lT2_lT0_lPT3_i
    .private_segment_fixed_size: 0
    .sgpr_count:     26
    .sgpr_spill_count: 0
    .symbol:         _ZL36rocblas_hemvn_kernel_lower_block_sumILi64ElPK19rocblas_complex_numIfEPS1_S1_EviT1_lS5_lT2_lT0_lPT3_i.kd
    .uniform_work_group_size: 1
    .uses_dynamic_stack: false
    .vgpr_count:     14
    .vgpr_spill_count: 0
    .wavefront_size: 64
  - .agpr_count:     0
    .args:
      - .offset:         0
        .size:           4
        .value_kind:     by_value
      - .address_space:  global
        .offset:         8
        .size:           8
        .value_kind:     global_buffer
      - .offset:         16
        .size:           8
        .value_kind:     by_value
      - .address_space:  global
        .offset:         24
        .size:           8
        .value_kind:     global_buffer
      - .offset:         32
        .size:           8
        .value_kind:     by_value
      - .offset:         40
        .size:           4
        .value_kind:     by_value
      - .offset:         48
        .size:           8
        .value_kind:     by_value
      - .address_space:  global
        .offset:         56
        .size:           8
        .value_kind:     global_buffer
      - .offset:         64
        .size:           8
        .value_kind:     by_value
      - .offset:         72
        .size:           4
        .value_kind:     by_value
      - .offset:         80
        .size:           8
        .value_kind:     by_value
      - .address_space:  global
        .offset:         88
        .size:           8
        .value_kind:     global_buffer
      - .offset:         96
        .size:           8
        .value_kind:     by_value
      - .address_space:  global
        .offset:         104
        .size:           8
        .value_kind:     global_buffer
      - .offset:         112
        .size:           4
        .value_kind:     by_value
      - .offset:         120
        .size:           4
        .value_kind:     hidden_block_count_x
      - .offset:         124
        .size:           4
        .value_kind:     hidden_block_count_y
      - .offset:         128
        .size:           4
        .value_kind:     hidden_block_count_z
      - .offset:         132
        .size:           2
        .value_kind:     hidden_group_size_x
      - .offset:         134
        .size:           2
        .value_kind:     hidden_group_size_y
      - .offset:         136
        .size:           2
        .value_kind:     hidden_group_size_z
      - .offset:         138
        .size:           2
        .value_kind:     hidden_remainder_x
      - .offset:         140
        .size:           2
        .value_kind:     hidden_remainder_y
      - .offset:         142
        .size:           2
        .value_kind:     hidden_remainder_z
      - .offset:         160
        .size:           8
        .value_kind:     hidden_global_offset_x
      - .offset:         168
        .size:           8
        .value_kind:     hidden_global_offset_y
      - .offset:         176
        .size:           8
        .value_kind:     hidden_global_offset_z
      - .offset:         184
        .size:           2
        .value_kind:     hidden_grid_dims
    .group_segment_fixed_size: 9600
    .kernarg_segment_align: 8
    .kernarg_segment_size: 376
    .language:       OpenCL C
    .language_version:
      - 2
      - 0
    .max_flat_workgroup_size: 256
    .name:           _ZL26rocblas_hemvn_kernel_lowerILb1ELi64ELi4ELi33ELi32ELi16EiPK19rocblas_complex_numIfES3_PS1_EviT6_lT7_lT5_lS6_lS7_lS5_lT8_i
    .private_segment_fixed_size: 0
    .sgpr_count:     50
    .sgpr_spill_count: 0
    .symbol:         _ZL26rocblas_hemvn_kernel_lowerILb1ELi64ELi4ELi33ELi32ELi16EiPK19rocblas_complex_numIfES3_PS1_EviT6_lT7_lT5_lS6_lS7_lS5_lT8_i.kd
    .uniform_work_group_size: 1
    .uses_dynamic_stack: false
    .vgpr_count:     118
    .vgpr_spill_count: 0
    .wavefront_size: 64
  - .agpr_count:     0
    .args:
      - .offset:         0
        .size:           4
        .value_kind:     by_value
      - .address_space:  global
        .offset:         8
        .size:           8
        .value_kind:     global_buffer
      - .offset:         16
        .size:           8
        .value_kind:     by_value
      - .address_space:  global
        .offset:         24
        .size:           8
        .value_kind:     global_buffer
      - .offset:         32
        .size:           8
        .value_kind:     by_value
      - .address_space:  global
        .offset:         40
        .size:           8
        .value_kind:     global_buffer
      - .offset:         48
        .size:           8
        .value_kind:     by_value
      - .offset:         56
        .size:           4
        .value_kind:     by_value
      - .offset:         64
        .size:           8
        .value_kind:     by_value
      - .actual_access:  read_only
        .address_space:  global
        .offset:         72
        .size:           8
        .value_kind:     global_buffer
      - .offset:         80
        .size:           4
        .value_kind:     by_value
      - .offset:         88
        .size:           4
        .value_kind:     hidden_block_count_x
      - .offset:         92
        .size:           4
        .value_kind:     hidden_block_count_y
      - .offset:         96
        .size:           4
        .value_kind:     hidden_block_count_z
      - .offset:         100
        .size:           2
        .value_kind:     hidden_group_size_x
      - .offset:         102
        .size:           2
        .value_kind:     hidden_group_size_y
      - .offset:         104
        .size:           2
        .value_kind:     hidden_group_size_z
      - .offset:         106
        .size:           2
        .value_kind:     hidden_remainder_x
      - .offset:         108
        .size:           2
        .value_kind:     hidden_remainder_y
      - .offset:         110
        .size:           2
        .value_kind:     hidden_remainder_z
      - .offset:         128
        .size:           8
        .value_kind:     hidden_global_offset_x
      - .offset:         136
        .size:           8
        .value_kind:     hidden_global_offset_y
      - .offset:         144
        .size:           8
        .value_kind:     hidden_global_offset_z
      - .offset:         152
        .size:           2
        .value_kind:     hidden_grid_dims
    .group_segment_fixed_size: 0
    .kernarg_segment_align: 8
    .kernarg_segment_size: 344
    .language:       OpenCL C
    .language_version:
      - 2
      - 0
    .max_flat_workgroup_size: 64
    .name:           _ZL36rocblas_hemvn_kernel_lower_block_sumILi64EiPK19rocblas_complex_numIfEPS1_S1_EviT1_lS5_lT2_lT0_lPT3_i
    .private_segment_fixed_size: 0
    .sgpr_count:     24
    .sgpr_spill_count: 0
    .symbol:         _ZL36rocblas_hemvn_kernel_lower_block_sumILi64EiPK19rocblas_complex_numIfEPS1_S1_EviT1_lS5_lT2_lT0_lPT3_i.kd
    .uniform_work_group_size: 1
    .uses_dynamic_stack: false
    .vgpr_count:     12
    .vgpr_spill_count: 0
    .wavefront_size: 64
  - .agpr_count:     0
    .args:
      - .offset:         0
        .size:           4
        .value_kind:     by_value
      - .offset:         4
        .size:           8
        .value_kind:     by_value
      - .offset:         16
        .size:           8
        .value_kind:     by_value
      - .address_space:  global
        .offset:         24
        .size:           8
        .value_kind:     global_buffer
      - .offset:         32
        .size:           8
        .value_kind:     by_value
      - .offset:         40
        .size:           8
        .value_kind:     by_value
      - .offset:         48
        .size:           8
        .value_kind:     by_value
      - .address_space:  global
        .offset:         56
        .size:           8
        .value_kind:     global_buffer
      - .offset:         64
        .size:           8
        .value_kind:     by_value
      - .offset:         72
        .size:           8
        .value_kind:     by_value
      - .offset:         80
        .size:           8
        .value_kind:     by_value
      - .offset:         88
        .size:           8
        .value_kind:     by_value
      - .offset:         96
        .size:           8
        .value_kind:     by_value
      - .address_space:  global
        .offset:         104
        .size:           8
        .value_kind:     global_buffer
      - .offset:         112
        .size:           4
        .value_kind:     by_value
      - .offset:         120
        .size:           4
        .value_kind:     hidden_block_count_x
      - .offset:         124
        .size:           4
        .value_kind:     hidden_block_count_y
      - .offset:         128
        .size:           4
        .value_kind:     hidden_block_count_z
      - .offset:         132
        .size:           2
        .value_kind:     hidden_group_size_x
      - .offset:         134
        .size:           2
        .value_kind:     hidden_group_size_y
      - .offset:         136
        .size:           2
        .value_kind:     hidden_group_size_z
      - .offset:         138
        .size:           2
        .value_kind:     hidden_remainder_x
      - .offset:         140
        .size:           2
        .value_kind:     hidden_remainder_y
      - .offset:         142
        .size:           2
        .value_kind:     hidden_remainder_z
      - .offset:         160
        .size:           8
        .value_kind:     hidden_global_offset_x
      - .offset:         168
        .size:           8
        .value_kind:     hidden_global_offset_y
      - .offset:         176
        .size:           8
        .value_kind:     hidden_global_offset_z
      - .offset:         184
        .size:           2
        .value_kind:     hidden_grid_dims
    .group_segment_fixed_size: 9600
    .kernarg_segment_align: 8
    .kernarg_segment_size: 376
    .language:       OpenCL C
    .language_version:
      - 2
      - 0
    .max_flat_workgroup_size: 256
    .name:           _ZL26rocblas_hemvn_kernel_lowerILb1ELi64ELi4ELi33ELi32ELi16El19rocblas_complex_numIfEPKS1_PS1_EviT6_lT7_lT5_lS6_lS7_lS5_lT8_i
    .private_segment_fixed_size: 0
    .sgpr_count:     57
    .sgpr_spill_count: 0
    .symbol:         _ZL26rocblas_hemvn_kernel_lowerILb1ELi64ELi4ELi33ELi32ELi16El19rocblas_complex_numIfEPKS1_PS1_EviT6_lT7_lT5_lS6_lS7_lS5_lT8_i.kd
    .uniform_work_group_size: 1
    .uses_dynamic_stack: false
    .vgpr_count:     120
    .vgpr_spill_count: 0
    .wavefront_size: 64
  - .agpr_count:     0
    .args:
      - .offset:         0
        .size:           4
        .value_kind:     by_value
      - .offset:         4
        .size:           8
        .value_kind:     by_value
      - .offset:         16
        .size:           8
        .value_kind:     by_value
      - .offset:         24
        .size:           8
        .value_kind:     by_value
      - .offset:         32
        .size:           8
        .value_kind:     by_value
      - .address_space:  global
        .offset:         40
        .size:           8
        .value_kind:     global_buffer
      - .offset:         48
        .size:           8
        .value_kind:     by_value
      - .offset:         56
        .size:           8
        .value_kind:     by_value
      - .offset:         64
        .size:           8
        .value_kind:     by_value
      - .actual_access:  read_only
        .address_space:  global
        .offset:         72
        .size:           8
        .value_kind:     global_buffer
      - .offset:         80
        .size:           4
        .value_kind:     by_value
      - .offset:         88
        .size:           4
        .value_kind:     hidden_block_count_x
      - .offset:         92
        .size:           4
        .value_kind:     hidden_block_count_y
      - .offset:         96
        .size:           4
        .value_kind:     hidden_block_count_z
      - .offset:         100
        .size:           2
        .value_kind:     hidden_group_size_x
      - .offset:         102
        .size:           2
        .value_kind:     hidden_group_size_y
      - .offset:         104
        .size:           2
        .value_kind:     hidden_group_size_z
      - .offset:         106
        .size:           2
        .value_kind:     hidden_remainder_x
      - .offset:         108
        .size:           2
        .value_kind:     hidden_remainder_y
      - .offset:         110
        .size:           2
        .value_kind:     hidden_remainder_z
      - .offset:         128
        .size:           8
        .value_kind:     hidden_global_offset_x
      - .offset:         136
        .size:           8
        .value_kind:     hidden_global_offset_y
      - .offset:         144
        .size:           8
        .value_kind:     hidden_global_offset_z
      - .offset:         152
        .size:           2
        .value_kind:     hidden_grid_dims
    .group_segment_fixed_size: 0
    .kernarg_segment_align: 8
    .kernarg_segment_size: 344
    .language:       OpenCL C
    .language_version:
      - 2
      - 0
    .max_flat_workgroup_size: 64
    .name:           _ZL36rocblas_hemvn_kernel_lower_block_sumILi64El19rocblas_complex_numIfEPS1_S1_EviT1_lS3_lT2_lT0_lPT3_i
    .private_segment_fixed_size: 0
    .sgpr_count:     26
    .sgpr_spill_count: 0
    .symbol:         _ZL36rocblas_hemvn_kernel_lower_block_sumILi64El19rocblas_complex_numIfEPS1_S1_EviT1_lS3_lT2_lT0_lPT3_i.kd
    .uniform_work_group_size: 1
    .uses_dynamic_stack: false
    .vgpr_count:     14
    .vgpr_spill_count: 0
    .wavefront_size: 64
  - .agpr_count:     0
    .args:
      - .offset:         0
        .size:           4
        .value_kind:     by_value
      - .offset:         4
        .size:           8
        .value_kind:     by_value
      - .offset:         16
        .size:           8
        .value_kind:     by_value
      - .address_space:  global
        .offset:         24
        .size:           8
        .value_kind:     global_buffer
      - .offset:         32
        .size:           8
        .value_kind:     by_value
      - .offset:         40
        .size:           4
        .value_kind:     by_value
      - .offset:         48
        .size:           8
        .value_kind:     by_value
      - .address_space:  global
        .offset:         56
        .size:           8
        .value_kind:     global_buffer
      - .offset:         64
        .size:           8
        .value_kind:     by_value
      - .offset:         72
        .size:           4
        .value_kind:     by_value
      - .offset:         80
        .size:           8
        .value_kind:     by_value
      - .offset:         88
        .size:           8
        .value_kind:     by_value
      - .offset:         96
        .size:           8
        .value_kind:     by_value
      - .address_space:  global
        .offset:         104
        .size:           8
        .value_kind:     global_buffer
      - .offset:         112
        .size:           4
        .value_kind:     by_value
      - .offset:         120
        .size:           4
        .value_kind:     hidden_block_count_x
      - .offset:         124
        .size:           4
        .value_kind:     hidden_block_count_y
      - .offset:         128
        .size:           4
        .value_kind:     hidden_block_count_z
      - .offset:         132
        .size:           2
        .value_kind:     hidden_group_size_x
      - .offset:         134
        .size:           2
        .value_kind:     hidden_group_size_y
      - .offset:         136
        .size:           2
        .value_kind:     hidden_group_size_z
      - .offset:         138
        .size:           2
        .value_kind:     hidden_remainder_x
      - .offset:         140
        .size:           2
        .value_kind:     hidden_remainder_y
      - .offset:         142
        .size:           2
        .value_kind:     hidden_remainder_z
      - .offset:         160
        .size:           8
        .value_kind:     hidden_global_offset_x
      - .offset:         168
        .size:           8
        .value_kind:     hidden_global_offset_y
      - .offset:         176
        .size:           8
        .value_kind:     hidden_global_offset_z
      - .offset:         184
        .size:           2
        .value_kind:     hidden_grid_dims
    .group_segment_fixed_size: 9600
    .kernarg_segment_align: 8
    .kernarg_segment_size: 376
    .language:       OpenCL C
    .language_version:
      - 2
      - 0
    .max_flat_workgroup_size: 256
    .name:           _ZL26rocblas_hemvn_kernel_lowerILb1ELi64ELi4ELi33ELi32ELi16Ei19rocblas_complex_numIfEPKS1_PS1_EviT6_lT7_lT5_lS6_lS7_lS5_lT8_i
    .private_segment_fixed_size: 0
    .sgpr_count:     50
    .sgpr_spill_count: 0
    .symbol:         _ZL26rocblas_hemvn_kernel_lowerILb1ELi64ELi4ELi33ELi32ELi16Ei19rocblas_complex_numIfEPKS1_PS1_EviT6_lT7_lT5_lS6_lS7_lS5_lT8_i.kd
    .uniform_work_group_size: 1
    .uses_dynamic_stack: false
    .vgpr_count:     118
    .vgpr_spill_count: 0
    .wavefront_size: 64
  - .agpr_count:     0
    .args:
      - .offset:         0
        .size:           4
        .value_kind:     by_value
      - .offset:         4
        .size:           8
        .value_kind:     by_value
      - .offset:         16
        .size:           8
        .value_kind:     by_value
      - .offset:         24
        .size:           8
        .value_kind:     by_value
      - .offset:         32
        .size:           8
        .value_kind:     by_value
      - .address_space:  global
        .offset:         40
        .size:           8
        .value_kind:     global_buffer
      - .offset:         48
        .size:           8
        .value_kind:     by_value
      - .offset:         56
        .size:           4
        .value_kind:     by_value
      - .offset:         64
        .size:           8
        .value_kind:     by_value
      - .actual_access:  read_only
        .address_space:  global
        .offset:         72
        .size:           8
        .value_kind:     global_buffer
      - .offset:         80
        .size:           4
        .value_kind:     by_value
      - .offset:         88
        .size:           4
        .value_kind:     hidden_block_count_x
      - .offset:         92
        .size:           4
        .value_kind:     hidden_block_count_y
      - .offset:         96
        .size:           4
        .value_kind:     hidden_block_count_z
      - .offset:         100
        .size:           2
        .value_kind:     hidden_group_size_x
      - .offset:         102
        .size:           2
        .value_kind:     hidden_group_size_y
      - .offset:         104
        .size:           2
        .value_kind:     hidden_group_size_z
      - .offset:         106
        .size:           2
        .value_kind:     hidden_remainder_x
      - .offset:         108
        .size:           2
        .value_kind:     hidden_remainder_y
      - .offset:         110
        .size:           2
        .value_kind:     hidden_remainder_z
      - .offset:         128
        .size:           8
        .value_kind:     hidden_global_offset_x
      - .offset:         136
        .size:           8
        .value_kind:     hidden_global_offset_y
      - .offset:         144
        .size:           8
        .value_kind:     hidden_global_offset_z
      - .offset:         152
        .size:           2
        .value_kind:     hidden_grid_dims
    .group_segment_fixed_size: 0
    .kernarg_segment_align: 8
    .kernarg_segment_size: 344
    .language:       OpenCL C
    .language_version:
      - 2
      - 0
    .max_flat_workgroup_size: 64
    .name:           _ZL36rocblas_hemvn_kernel_lower_block_sumILi64Ei19rocblas_complex_numIfEPS1_S1_EviT1_lS3_lT2_lT0_lPT3_i
    .private_segment_fixed_size: 0
    .sgpr_count:     28
    .sgpr_spill_count: 0
    .symbol:         _ZL36rocblas_hemvn_kernel_lower_block_sumILi64Ei19rocblas_complex_numIfEPS1_S1_EviT1_lS3_lT2_lT0_lPT3_i.kd
    .uniform_work_group_size: 1
    .uses_dynamic_stack: false
    .vgpr_count:     12
    .vgpr_spill_count: 0
    .wavefront_size: 64
  - .agpr_count:     0
    .args:
      - .offset:         0
        .size:           4
        .value_kind:     by_value
      - .address_space:  global
        .offset:         8
        .size:           8
        .value_kind:     global_buffer
      - .offset:         16
        .size:           8
        .value_kind:     by_value
      - .address_space:  global
        .offset:         24
        .size:           8
        .value_kind:     global_buffer
      - .offset:         32
        .size:           8
        .value_kind:     by_value
      - .offset:         40
        .size:           8
        .value_kind:     by_value
      - .offset:         48
        .size:           8
        .value_kind:     by_value
      - .address_space:  global
        .offset:         56
        .size:           8
        .value_kind:     global_buffer
      - .offset:         64
        .size:           8
        .value_kind:     by_value
      - .offset:         72
        .size:           8
        .value_kind:     by_value
      - .offset:         80
        .size:           8
        .value_kind:     by_value
      - .address_space:  global
        .offset:         88
        .size:           8
        .value_kind:     global_buffer
      - .offset:         96
        .size:           8
        .value_kind:     by_value
      - .address_space:  global
        .offset:         104
        .size:           8
        .value_kind:     global_buffer
      - .offset:         112
        .size:           4
        .value_kind:     by_value
      - .offset:         120
        .size:           4
        .value_kind:     hidden_block_count_x
      - .offset:         124
        .size:           4
        .value_kind:     hidden_block_count_y
      - .offset:         128
        .size:           4
        .value_kind:     hidden_block_count_z
      - .offset:         132
        .size:           2
        .value_kind:     hidden_group_size_x
      - .offset:         134
        .size:           2
        .value_kind:     hidden_group_size_y
      - .offset:         136
        .size:           2
        .value_kind:     hidden_group_size_z
      - .offset:         138
        .size:           2
        .value_kind:     hidden_remainder_x
      - .offset:         140
        .size:           2
        .value_kind:     hidden_remainder_y
      - .offset:         142
        .size:           2
        .value_kind:     hidden_remainder_z
      - .offset:         160
        .size:           8
        .value_kind:     hidden_global_offset_x
      - .offset:         168
        .size:           8
        .value_kind:     hidden_global_offset_y
      - .offset:         176
        .size:           8
        .value_kind:     hidden_global_offset_z
      - .offset:         184
        .size:           2
        .value_kind:     hidden_grid_dims
    .group_segment_fixed_size: 19200
    .kernarg_segment_align: 8
    .kernarg_segment_size: 376
    .language:       OpenCL C
    .language_version:
      - 2
      - 0
    .max_flat_workgroup_size: 256
    .name:           _ZL26rocblas_hemvn_kernel_upperILb1ELi64ELi4ELi33ELi32ELi16ElPK19rocblas_complex_numIdES3_PS1_EviT6_lT7_lT5_lS6_lS7_lS5_lT8_i
    .private_segment_fixed_size: 0
    .sgpr_count:     46
    .sgpr_spill_count: 0
    .symbol:         _ZL26rocblas_hemvn_kernel_upperILb1ELi64ELi4ELi33ELi32ELi16ElPK19rocblas_complex_numIdES3_PS1_EviT6_lT7_lT5_lS6_lS7_lS5_lT8_i.kd
    .uniform_work_group_size: 1
    .uses_dynamic_stack: false
    .vgpr_count:     230
    .vgpr_spill_count: 0
    .wavefront_size: 64
  - .agpr_count:     0
    .args:
      - .offset:         0
        .size:           4
        .value_kind:     by_value
      - .address_space:  global
        .offset:         8
        .size:           8
        .value_kind:     global_buffer
      - .offset:         16
        .size:           8
        .value_kind:     by_value
      - .address_space:  global
        .offset:         24
        .size:           8
        .value_kind:     global_buffer
      - .offset:         32
        .size:           8
        .value_kind:     by_value
      - .address_space:  global
        .offset:         40
        .size:           8
        .value_kind:     global_buffer
      - .offset:         48
        .size:           8
        .value_kind:     by_value
      - .offset:         56
        .size:           8
        .value_kind:     by_value
      - .offset:         64
        .size:           8
        .value_kind:     by_value
      - .address_space:  global
        .offset:         72
        .size:           8
        .value_kind:     global_buffer
      - .offset:         80
        .size:           4
        .value_kind:     by_value
      - .offset:         88
        .size:           4
        .value_kind:     hidden_block_count_x
      - .offset:         92
        .size:           4
        .value_kind:     hidden_block_count_y
      - .offset:         96
        .size:           4
        .value_kind:     hidden_block_count_z
      - .offset:         100
        .size:           2
        .value_kind:     hidden_group_size_x
      - .offset:         102
        .size:           2
        .value_kind:     hidden_group_size_y
      - .offset:         104
        .size:           2
        .value_kind:     hidden_group_size_z
      - .offset:         106
        .size:           2
        .value_kind:     hidden_remainder_x
      - .offset:         108
        .size:           2
        .value_kind:     hidden_remainder_y
      - .offset:         110
        .size:           2
        .value_kind:     hidden_remainder_z
      - .offset:         128
        .size:           8
        .value_kind:     hidden_global_offset_x
      - .offset:         136
        .size:           8
        .value_kind:     hidden_global_offset_y
      - .offset:         144
        .size:           8
        .value_kind:     hidden_global_offset_z
      - .offset:         152
        .size:           2
        .value_kind:     hidden_grid_dims
    .group_segment_fixed_size: 0
    .kernarg_segment_align: 8
    .kernarg_segment_size: 344
    .language:       OpenCL C
    .language_version:
      - 2
      - 0
    .max_flat_workgroup_size: 64
    .name:           _ZL36rocblas_hemvn_kernel_upper_block_sumILi64ElPK19rocblas_complex_numIdEPS1_S1_EviT1_lS5_lT2_lT0_lPT3_i
    .private_segment_fixed_size: 0
    .sgpr_count:     34
    .sgpr_spill_count: 0
    .symbol:         _ZL36rocblas_hemvn_kernel_upper_block_sumILi64ElPK19rocblas_complex_numIdEPS1_S1_EviT1_lS5_lT2_lT0_lPT3_i.kd
    .uniform_work_group_size: 1
    .uses_dynamic_stack: false
    .vgpr_count:     14
    .vgpr_spill_count: 0
    .wavefront_size: 64
  - .agpr_count:     0
    .args:
      - .offset:         0
        .size:           4
        .value_kind:     by_value
      - .address_space:  global
        .offset:         8
        .size:           8
        .value_kind:     global_buffer
      - .offset:         16
        .size:           8
        .value_kind:     by_value
      - .address_space:  global
        .offset:         24
        .size:           8
        .value_kind:     global_buffer
      - .offset:         32
        .size:           8
        .value_kind:     by_value
      - .offset:         40
        .size:           4
        .value_kind:     by_value
      - .offset:         48
        .size:           8
        .value_kind:     by_value
      - .address_space:  global
        .offset:         56
        .size:           8
        .value_kind:     global_buffer
      - .offset:         64
        .size:           8
        .value_kind:     by_value
      - .offset:         72
        .size:           4
        .value_kind:     by_value
      - .offset:         80
        .size:           8
        .value_kind:     by_value
      - .address_space:  global
        .offset:         88
        .size:           8
        .value_kind:     global_buffer
      - .offset:         96
        .size:           8
        .value_kind:     by_value
      - .address_space:  global
        .offset:         104
        .size:           8
        .value_kind:     global_buffer
      - .offset:         112
        .size:           4
        .value_kind:     by_value
      - .offset:         120
        .size:           4
        .value_kind:     hidden_block_count_x
      - .offset:         124
        .size:           4
        .value_kind:     hidden_block_count_y
      - .offset:         128
        .size:           4
        .value_kind:     hidden_block_count_z
      - .offset:         132
        .size:           2
        .value_kind:     hidden_group_size_x
      - .offset:         134
        .size:           2
        .value_kind:     hidden_group_size_y
      - .offset:         136
        .size:           2
        .value_kind:     hidden_group_size_z
      - .offset:         138
        .size:           2
        .value_kind:     hidden_remainder_x
      - .offset:         140
        .size:           2
        .value_kind:     hidden_remainder_y
      - .offset:         142
        .size:           2
        .value_kind:     hidden_remainder_z
      - .offset:         160
        .size:           8
        .value_kind:     hidden_global_offset_x
      - .offset:         168
        .size:           8
        .value_kind:     hidden_global_offset_y
      - .offset:         176
        .size:           8
        .value_kind:     hidden_global_offset_z
      - .offset:         184
        .size:           2
        .value_kind:     hidden_grid_dims
    .group_segment_fixed_size: 19200
    .kernarg_segment_align: 8
    .kernarg_segment_size: 376
    .language:       OpenCL C
    .language_version:
      - 2
      - 0
    .max_flat_workgroup_size: 256
    .name:           _ZL26rocblas_hemvn_kernel_upperILb1ELi64ELi4ELi33ELi32ELi16EiPK19rocblas_complex_numIdES3_PS1_EviT6_lT7_lT5_lS6_lS7_lS5_lT8_i
    .private_segment_fixed_size: 0
    .sgpr_count:     48
    .sgpr_spill_count: 0
    .symbol:         _ZL26rocblas_hemvn_kernel_upperILb1ELi64ELi4ELi33ELi32ELi16EiPK19rocblas_complex_numIdES3_PS1_EviT6_lT7_lT5_lS6_lS7_lS5_lT8_i.kd
    .uniform_work_group_size: 1
    .uses_dynamic_stack: false
    .vgpr_count:     240
    .vgpr_spill_count: 0
    .wavefront_size: 64
  - .agpr_count:     0
    .args:
      - .offset:         0
        .size:           4
        .value_kind:     by_value
      - .address_space:  global
        .offset:         8
        .size:           8
        .value_kind:     global_buffer
      - .offset:         16
        .size:           8
        .value_kind:     by_value
      - .address_space:  global
        .offset:         24
        .size:           8
        .value_kind:     global_buffer
      - .offset:         32
        .size:           8
        .value_kind:     by_value
      - .address_space:  global
        .offset:         40
        .size:           8
        .value_kind:     global_buffer
      - .offset:         48
        .size:           8
        .value_kind:     by_value
      - .offset:         56
        .size:           4
        .value_kind:     by_value
      - .offset:         64
        .size:           8
        .value_kind:     by_value
      - .address_space:  global
        .offset:         72
        .size:           8
        .value_kind:     global_buffer
      - .offset:         80
        .size:           4
        .value_kind:     by_value
      - .offset:         88
        .size:           4
        .value_kind:     hidden_block_count_x
      - .offset:         92
        .size:           4
        .value_kind:     hidden_block_count_y
      - .offset:         96
        .size:           4
        .value_kind:     hidden_block_count_z
      - .offset:         100
        .size:           2
        .value_kind:     hidden_group_size_x
      - .offset:         102
        .size:           2
        .value_kind:     hidden_group_size_y
      - .offset:         104
        .size:           2
        .value_kind:     hidden_group_size_z
      - .offset:         106
        .size:           2
        .value_kind:     hidden_remainder_x
      - .offset:         108
        .size:           2
        .value_kind:     hidden_remainder_y
      - .offset:         110
        .size:           2
        .value_kind:     hidden_remainder_z
      - .offset:         128
        .size:           8
        .value_kind:     hidden_global_offset_x
      - .offset:         136
        .size:           8
        .value_kind:     hidden_global_offset_y
      - .offset:         144
        .size:           8
        .value_kind:     hidden_global_offset_z
      - .offset:         152
        .size:           2
        .value_kind:     hidden_grid_dims
    .group_segment_fixed_size: 0
    .kernarg_segment_align: 8
    .kernarg_segment_size: 344
    .language:       OpenCL C
    .language_version:
      - 2
      - 0
    .max_flat_workgroup_size: 64
    .name:           _ZL36rocblas_hemvn_kernel_upper_block_sumILi64EiPK19rocblas_complex_numIdEPS1_S1_EviT1_lS5_lT2_lT0_lPT3_i
    .private_segment_fixed_size: 0
    .sgpr_count:     31
    .sgpr_spill_count: 0
    .symbol:         _ZL36rocblas_hemvn_kernel_upper_block_sumILi64EiPK19rocblas_complex_numIdEPS1_S1_EviT1_lS5_lT2_lT0_lPT3_i.kd
    .uniform_work_group_size: 1
    .uses_dynamic_stack: false
    .vgpr_count:     14
    .vgpr_spill_count: 0
    .wavefront_size: 64
  - .agpr_count:     0
    .args:
      - .offset:         0
        .size:           4
        .value_kind:     by_value
      - .offset:         8
        .size:           16
        .value_kind:     by_value
      - .offset:         24
        .size:           8
        .value_kind:     by_value
      - .address_space:  global
        .offset:         32
        .size:           8
        .value_kind:     global_buffer
      - .offset:         40
        .size:           8
        .value_kind:     by_value
      - .offset:         48
        .size:           8
        .value_kind:     by_value
      - .offset:         56
        .size:           8
        .value_kind:     by_value
      - .address_space:  global
        .offset:         64
        .size:           8
        .value_kind:     global_buffer
      - .offset:         72
        .size:           8
        .value_kind:     by_value
      - .offset:         80
        .size:           8
        .value_kind:     by_value
      - .offset:         88
        .size:           8
        .value_kind:     by_value
      - .offset:         96
        .size:           16
        .value_kind:     by_value
      - .offset:         112
        .size:           8
        .value_kind:     by_value
      - .address_space:  global
        .offset:         120
        .size:           8
        .value_kind:     global_buffer
      - .offset:         128
        .size:           4
        .value_kind:     by_value
      - .offset:         136
        .size:           4
        .value_kind:     hidden_block_count_x
      - .offset:         140
        .size:           4
        .value_kind:     hidden_block_count_y
      - .offset:         144
        .size:           4
        .value_kind:     hidden_block_count_z
      - .offset:         148
        .size:           2
        .value_kind:     hidden_group_size_x
      - .offset:         150
        .size:           2
        .value_kind:     hidden_group_size_y
      - .offset:         152
        .size:           2
        .value_kind:     hidden_group_size_z
      - .offset:         154
        .size:           2
        .value_kind:     hidden_remainder_x
      - .offset:         156
        .size:           2
        .value_kind:     hidden_remainder_y
      - .offset:         158
        .size:           2
        .value_kind:     hidden_remainder_z
      - .offset:         176
        .size:           8
        .value_kind:     hidden_global_offset_x
      - .offset:         184
        .size:           8
        .value_kind:     hidden_global_offset_y
      - .offset:         192
        .size:           8
        .value_kind:     hidden_global_offset_z
      - .offset:         200
        .size:           2
        .value_kind:     hidden_grid_dims
    .group_segment_fixed_size: 19200
    .kernarg_segment_align: 8
    .kernarg_segment_size: 392
    .language:       OpenCL C
    .language_version:
      - 2
      - 0
    .max_flat_workgroup_size: 256
    .name:           _ZL26rocblas_hemvn_kernel_upperILb1ELi64ELi4ELi33ELi32ELi16El19rocblas_complex_numIdEPKS1_PS1_EviT6_lT7_lT5_lS6_lS7_lS5_lT8_i
    .private_segment_fixed_size: 0
    .sgpr_count:     46
    .sgpr_spill_count: 0
    .symbol:         _ZL26rocblas_hemvn_kernel_upperILb1ELi64ELi4ELi33ELi32ELi16El19rocblas_complex_numIdEPKS1_PS1_EviT6_lT7_lT5_lS6_lS7_lS5_lT8_i.kd
    .uniform_work_group_size: 1
    .uses_dynamic_stack: false
    .vgpr_count:     230
    .vgpr_spill_count: 0
    .wavefront_size: 64
  - .agpr_count:     0
    .args:
      - .offset:         0
        .size:           4
        .value_kind:     by_value
      - .offset:         8
        .size:           16
        .value_kind:     by_value
      - .offset:         24
        .size:           8
        .value_kind:     by_value
      - .offset:         32
        .size:           16
        .value_kind:     by_value
      - .offset:         48
        .size:           8
        .value_kind:     by_value
      - .address_space:  global
        .offset:         56
        .size:           8
        .value_kind:     global_buffer
      - .offset:         64
        .size:           8
        .value_kind:     by_value
      - .offset:         72
        .size:           8
        .value_kind:     by_value
      - .offset:         80
        .size:           8
        .value_kind:     by_value
      - .address_space:  global
        .offset:         88
        .size:           8
        .value_kind:     global_buffer
      - .offset:         96
        .size:           4
        .value_kind:     by_value
      - .offset:         104
        .size:           4
        .value_kind:     hidden_block_count_x
      - .offset:         108
        .size:           4
        .value_kind:     hidden_block_count_y
      - .offset:         112
        .size:           4
        .value_kind:     hidden_block_count_z
      - .offset:         116
        .size:           2
        .value_kind:     hidden_group_size_x
      - .offset:         118
        .size:           2
        .value_kind:     hidden_group_size_y
      - .offset:         120
        .size:           2
        .value_kind:     hidden_group_size_z
      - .offset:         122
        .size:           2
        .value_kind:     hidden_remainder_x
      - .offset:         124
        .size:           2
        .value_kind:     hidden_remainder_y
      - .offset:         126
        .size:           2
        .value_kind:     hidden_remainder_z
      - .offset:         144
        .size:           8
        .value_kind:     hidden_global_offset_x
      - .offset:         152
        .size:           8
        .value_kind:     hidden_global_offset_y
      - .offset:         160
        .size:           8
        .value_kind:     hidden_global_offset_z
      - .offset:         168
        .size:           2
        .value_kind:     hidden_grid_dims
    .group_segment_fixed_size: 0
    .kernarg_segment_align: 8
    .kernarg_segment_size: 360
    .language:       OpenCL C
    .language_version:
      - 2
      - 0
    .max_flat_workgroup_size: 64
    .name:           _ZL36rocblas_hemvn_kernel_upper_block_sumILi64El19rocblas_complex_numIdEPS1_S1_EviT1_lS3_lT2_lT0_lPT3_i
    .private_segment_fixed_size: 0
    .sgpr_count:     34
    .sgpr_spill_count: 0
    .symbol:         _ZL36rocblas_hemvn_kernel_upper_block_sumILi64El19rocblas_complex_numIdEPS1_S1_EviT1_lS3_lT2_lT0_lPT3_i.kd
    .uniform_work_group_size: 1
    .uses_dynamic_stack: false
    .vgpr_count:     14
    .vgpr_spill_count: 0
    .wavefront_size: 64
  - .agpr_count:     0
    .args:
      - .offset:         0
        .size:           4
        .value_kind:     by_value
      - .offset:         8
        .size:           16
        .value_kind:     by_value
      - .offset:         24
        .size:           8
        .value_kind:     by_value
      - .address_space:  global
        .offset:         32
        .size:           8
        .value_kind:     global_buffer
      - .offset:         40
        .size:           8
        .value_kind:     by_value
      - .offset:         48
        .size:           4
        .value_kind:     by_value
      - .offset:         56
        .size:           8
        .value_kind:     by_value
      - .address_space:  global
        .offset:         64
        .size:           8
        .value_kind:     global_buffer
      - .offset:         72
        .size:           8
        .value_kind:     by_value
      - .offset:         80
        .size:           4
        .value_kind:     by_value
      - .offset:         88
        .size:           8
        .value_kind:     by_value
      - .offset:         96
        .size:           16
        .value_kind:     by_value
      - .offset:         112
        .size:           8
        .value_kind:     by_value
      - .address_space:  global
        .offset:         120
        .size:           8
        .value_kind:     global_buffer
      - .offset:         128
        .size:           4
        .value_kind:     by_value
      - .offset:         136
        .size:           4
        .value_kind:     hidden_block_count_x
      - .offset:         140
        .size:           4
        .value_kind:     hidden_block_count_y
      - .offset:         144
        .size:           4
        .value_kind:     hidden_block_count_z
      - .offset:         148
        .size:           2
        .value_kind:     hidden_group_size_x
      - .offset:         150
        .size:           2
        .value_kind:     hidden_group_size_y
      - .offset:         152
        .size:           2
        .value_kind:     hidden_group_size_z
      - .offset:         154
        .size:           2
        .value_kind:     hidden_remainder_x
      - .offset:         156
        .size:           2
        .value_kind:     hidden_remainder_y
      - .offset:         158
        .size:           2
        .value_kind:     hidden_remainder_z
      - .offset:         176
        .size:           8
        .value_kind:     hidden_global_offset_x
      - .offset:         184
        .size:           8
        .value_kind:     hidden_global_offset_y
      - .offset:         192
        .size:           8
        .value_kind:     hidden_global_offset_z
      - .offset:         200
        .size:           2
        .value_kind:     hidden_grid_dims
    .group_segment_fixed_size: 19200
    .kernarg_segment_align: 8
    .kernarg_segment_size: 392
    .language:       OpenCL C
    .language_version:
      - 2
      - 0
    .max_flat_workgroup_size: 256
    .name:           _ZL26rocblas_hemvn_kernel_upperILb1ELi64ELi4ELi33ELi32ELi16Ei19rocblas_complex_numIdEPKS1_PS1_EviT6_lT7_lT5_lS6_lS7_lS5_lT8_i
    .private_segment_fixed_size: 0
    .sgpr_count:     48
    .sgpr_spill_count: 0
    .symbol:         _ZL26rocblas_hemvn_kernel_upperILb1ELi64ELi4ELi33ELi32ELi16Ei19rocblas_complex_numIdEPKS1_PS1_EviT6_lT7_lT5_lS6_lS7_lS5_lT8_i.kd
    .uniform_work_group_size: 1
    .uses_dynamic_stack: false
    .vgpr_count:     240
    .vgpr_spill_count: 0
    .wavefront_size: 64
  - .agpr_count:     0
    .args:
      - .offset:         0
        .size:           4
        .value_kind:     by_value
      - .offset:         8
        .size:           16
        .value_kind:     by_value
      - .offset:         24
        .size:           8
        .value_kind:     by_value
      - .offset:         32
        .size:           16
        .value_kind:     by_value
      - .offset:         48
        .size:           8
        .value_kind:     by_value
      - .address_space:  global
        .offset:         56
        .size:           8
        .value_kind:     global_buffer
      - .offset:         64
        .size:           8
        .value_kind:     by_value
      - .offset:         72
        .size:           4
        .value_kind:     by_value
      - .offset:         80
        .size:           8
        .value_kind:     by_value
      - .address_space:  global
        .offset:         88
        .size:           8
        .value_kind:     global_buffer
      - .offset:         96
        .size:           4
        .value_kind:     by_value
      - .offset:         104
        .size:           4
        .value_kind:     hidden_block_count_x
      - .offset:         108
        .size:           4
        .value_kind:     hidden_block_count_y
      - .offset:         112
        .size:           4
        .value_kind:     hidden_block_count_z
      - .offset:         116
        .size:           2
        .value_kind:     hidden_group_size_x
      - .offset:         118
        .size:           2
        .value_kind:     hidden_group_size_y
      - .offset:         120
        .size:           2
        .value_kind:     hidden_group_size_z
      - .offset:         122
        .size:           2
        .value_kind:     hidden_remainder_x
      - .offset:         124
        .size:           2
        .value_kind:     hidden_remainder_y
      - .offset:         126
        .size:           2
        .value_kind:     hidden_remainder_z
      - .offset:         144
        .size:           8
        .value_kind:     hidden_global_offset_x
      - .offset:         152
        .size:           8
        .value_kind:     hidden_global_offset_y
      - .offset:         160
        .size:           8
        .value_kind:     hidden_global_offset_z
      - .offset:         168
        .size:           2
        .value_kind:     hidden_grid_dims
    .group_segment_fixed_size: 0
    .kernarg_segment_align: 8
    .kernarg_segment_size: 360
    .language:       OpenCL C
    .language_version:
      - 2
      - 0
    .max_flat_workgroup_size: 64
    .name:           _ZL36rocblas_hemvn_kernel_upper_block_sumILi64Ei19rocblas_complex_numIdEPS1_S1_EviT1_lS3_lT2_lT0_lPT3_i
    .private_segment_fixed_size: 0
    .sgpr_count:     31
    .sgpr_spill_count: 0
    .symbol:         _ZL36rocblas_hemvn_kernel_upper_block_sumILi64Ei19rocblas_complex_numIdEPS1_S1_EviT1_lS3_lT2_lT0_lPT3_i.kd
    .uniform_work_group_size: 1
    .uses_dynamic_stack: false
    .vgpr_count:     14
    .vgpr_spill_count: 0
    .wavefront_size: 64
  - .agpr_count:     0
    .args:
      - .offset:         0
        .size:           4
        .value_kind:     by_value
      - .address_space:  global
        .offset:         8
        .size:           8
        .value_kind:     global_buffer
      - .offset:         16
        .size:           8
        .value_kind:     by_value
      - .address_space:  global
        .offset:         24
        .size:           8
        .value_kind:     global_buffer
      - .offset:         32
        .size:           8
        .value_kind:     by_value
      - .offset:         40
        .size:           8
        .value_kind:     by_value
      - .offset:         48
        .size:           8
        .value_kind:     by_value
      - .address_space:  global
        .offset:         56
        .size:           8
        .value_kind:     global_buffer
      - .offset:         64
        .size:           8
        .value_kind:     by_value
      - .offset:         72
        .size:           8
        .value_kind:     by_value
      - .offset:         80
        .size:           8
        .value_kind:     by_value
      - .address_space:  global
        .offset:         88
        .size:           8
        .value_kind:     global_buffer
      - .offset:         96
        .size:           8
        .value_kind:     by_value
      - .address_space:  global
        .offset:         104
        .size:           8
        .value_kind:     global_buffer
      - .offset:         112
        .size:           4
        .value_kind:     by_value
      - .offset:         120
        .size:           4
        .value_kind:     hidden_block_count_x
      - .offset:         124
        .size:           4
        .value_kind:     hidden_block_count_y
      - .offset:         128
        .size:           4
        .value_kind:     hidden_block_count_z
      - .offset:         132
        .size:           2
        .value_kind:     hidden_group_size_x
      - .offset:         134
        .size:           2
        .value_kind:     hidden_group_size_y
      - .offset:         136
        .size:           2
        .value_kind:     hidden_group_size_z
      - .offset:         138
        .size:           2
        .value_kind:     hidden_remainder_x
      - .offset:         140
        .size:           2
        .value_kind:     hidden_remainder_y
      - .offset:         142
        .size:           2
        .value_kind:     hidden_remainder_z
      - .offset:         160
        .size:           8
        .value_kind:     hidden_global_offset_x
      - .offset:         168
        .size:           8
        .value_kind:     hidden_global_offset_y
      - .offset:         176
        .size:           8
        .value_kind:     hidden_global_offset_z
      - .offset:         184
        .size:           2
        .value_kind:     hidden_grid_dims
    .group_segment_fixed_size: 19200
    .kernarg_segment_align: 8
    .kernarg_segment_size: 376
    .language:       OpenCL C
    .language_version:
      - 2
      - 0
    .max_flat_workgroup_size: 256
    .name:           _ZL26rocblas_hemvn_kernel_lowerILb1ELi64ELi4ELi33ELi32ELi16ElPK19rocblas_complex_numIdES3_PS1_EviT6_lT7_lT5_lS6_lS7_lS5_lT8_i
    .private_segment_fixed_size: 0
    .sgpr_count:     48
    .sgpr_spill_count: 0
    .symbol:         _ZL26rocblas_hemvn_kernel_lowerILb1ELi64ELi4ELi33ELi32ELi16ElPK19rocblas_complex_numIdES3_PS1_EviT6_lT7_lT5_lS6_lS7_lS5_lT8_i.kd
    .uniform_work_group_size: 1
    .uses_dynamic_stack: false
    .vgpr_count:     190
    .vgpr_spill_count: 0
    .wavefront_size: 64
  - .agpr_count:     0
    .args:
      - .offset:         0
        .size:           4
        .value_kind:     by_value
      - .address_space:  global
        .offset:         8
        .size:           8
        .value_kind:     global_buffer
      - .offset:         16
        .size:           8
        .value_kind:     by_value
      - .address_space:  global
        .offset:         24
        .size:           8
        .value_kind:     global_buffer
      - .offset:         32
        .size:           8
        .value_kind:     by_value
      - .address_space:  global
        .offset:         40
        .size:           8
        .value_kind:     global_buffer
      - .offset:         48
        .size:           8
        .value_kind:     by_value
      - .offset:         56
        .size:           8
        .value_kind:     by_value
      - .offset:         64
        .size:           8
        .value_kind:     by_value
      - .actual_access:  read_only
        .address_space:  global
        .offset:         72
        .size:           8
        .value_kind:     global_buffer
      - .offset:         80
        .size:           4
        .value_kind:     by_value
      - .offset:         88
        .size:           4
        .value_kind:     hidden_block_count_x
      - .offset:         92
        .size:           4
        .value_kind:     hidden_block_count_y
      - .offset:         96
        .size:           4
        .value_kind:     hidden_block_count_z
      - .offset:         100
        .size:           2
        .value_kind:     hidden_group_size_x
      - .offset:         102
        .size:           2
        .value_kind:     hidden_group_size_y
      - .offset:         104
        .size:           2
        .value_kind:     hidden_group_size_z
      - .offset:         106
        .size:           2
        .value_kind:     hidden_remainder_x
      - .offset:         108
        .size:           2
        .value_kind:     hidden_remainder_y
      - .offset:         110
        .size:           2
        .value_kind:     hidden_remainder_z
      - .offset:         128
        .size:           8
        .value_kind:     hidden_global_offset_x
      - .offset:         136
        .size:           8
        .value_kind:     hidden_global_offset_y
      - .offset:         144
        .size:           8
        .value_kind:     hidden_global_offset_z
      - .offset:         152
        .size:           2
        .value_kind:     hidden_grid_dims
    .group_segment_fixed_size: 0
    .kernarg_segment_align: 8
    .kernarg_segment_size: 344
    .language:       OpenCL C
    .language_version:
      - 2
      - 0
    .max_flat_workgroup_size: 64
    .name:           _ZL36rocblas_hemvn_kernel_lower_block_sumILi64ElPK19rocblas_complex_numIdEPS1_S1_EviT1_lS5_lT2_lT0_lPT3_i
    .private_segment_fixed_size: 0
    .sgpr_count:     32
    .sgpr_spill_count: 0
    .symbol:         _ZL36rocblas_hemvn_kernel_lower_block_sumILi64ElPK19rocblas_complex_numIdEPS1_S1_EviT1_lS5_lT2_lT0_lPT3_i.kd
    .uniform_work_group_size: 1
    .uses_dynamic_stack: false
    .vgpr_count:     12
    .vgpr_spill_count: 0
    .wavefront_size: 64
  - .agpr_count:     0
    .args:
      - .offset:         0
        .size:           4
        .value_kind:     by_value
      - .address_space:  global
        .offset:         8
        .size:           8
        .value_kind:     global_buffer
      - .offset:         16
        .size:           8
        .value_kind:     by_value
      - .address_space:  global
        .offset:         24
        .size:           8
        .value_kind:     global_buffer
      - .offset:         32
        .size:           8
        .value_kind:     by_value
      - .offset:         40
        .size:           4
        .value_kind:     by_value
      - .offset:         48
        .size:           8
        .value_kind:     by_value
      - .address_space:  global
        .offset:         56
        .size:           8
        .value_kind:     global_buffer
      - .offset:         64
        .size:           8
        .value_kind:     by_value
      - .offset:         72
        .size:           4
        .value_kind:     by_value
      - .offset:         80
        .size:           8
        .value_kind:     by_value
      - .address_space:  global
        .offset:         88
        .size:           8
        .value_kind:     global_buffer
      - .offset:         96
        .size:           8
        .value_kind:     by_value
      - .address_space:  global
        .offset:         104
        .size:           8
        .value_kind:     global_buffer
      - .offset:         112
        .size:           4
        .value_kind:     by_value
      - .offset:         120
        .size:           4
        .value_kind:     hidden_block_count_x
      - .offset:         124
        .size:           4
        .value_kind:     hidden_block_count_y
      - .offset:         128
        .size:           4
        .value_kind:     hidden_block_count_z
      - .offset:         132
        .size:           2
        .value_kind:     hidden_group_size_x
      - .offset:         134
        .size:           2
        .value_kind:     hidden_group_size_y
      - .offset:         136
        .size:           2
        .value_kind:     hidden_group_size_z
      - .offset:         138
        .size:           2
        .value_kind:     hidden_remainder_x
      - .offset:         140
        .size:           2
        .value_kind:     hidden_remainder_y
      - .offset:         142
        .size:           2
        .value_kind:     hidden_remainder_z
      - .offset:         160
        .size:           8
        .value_kind:     hidden_global_offset_x
      - .offset:         168
        .size:           8
        .value_kind:     hidden_global_offset_y
      - .offset:         176
        .size:           8
        .value_kind:     hidden_global_offset_z
      - .offset:         184
        .size:           2
        .value_kind:     hidden_grid_dims
    .group_segment_fixed_size: 19200
    .kernarg_segment_align: 8
    .kernarg_segment_size: 376
    .language:       OpenCL C
    .language_version:
      - 2
      - 0
    .max_flat_workgroup_size: 256
    .name:           _ZL26rocblas_hemvn_kernel_lowerILb1ELi64ELi4ELi33ELi32ELi16EiPK19rocblas_complex_numIdES3_PS1_EviT6_lT7_lT5_lS6_lS7_lS5_lT8_i
    .private_segment_fixed_size: 0
    .sgpr_count:     50
    .sgpr_spill_count: 0
    .symbol:         _ZL26rocblas_hemvn_kernel_lowerILb1ELi64ELi4ELi33ELi32ELi16EiPK19rocblas_complex_numIdES3_PS1_EviT6_lT7_lT5_lS6_lS7_lS5_lT8_i.kd
    .uniform_work_group_size: 1
    .uses_dynamic_stack: false
    .vgpr_count:     188
    .vgpr_spill_count: 0
    .wavefront_size: 64
  - .agpr_count:     0
    .args:
      - .offset:         0
        .size:           4
        .value_kind:     by_value
      - .address_space:  global
        .offset:         8
        .size:           8
        .value_kind:     global_buffer
      - .offset:         16
        .size:           8
        .value_kind:     by_value
      - .address_space:  global
        .offset:         24
        .size:           8
        .value_kind:     global_buffer
      - .offset:         32
        .size:           8
        .value_kind:     by_value
      - .address_space:  global
        .offset:         40
        .size:           8
        .value_kind:     global_buffer
      - .offset:         48
        .size:           8
        .value_kind:     by_value
      - .offset:         56
        .size:           4
        .value_kind:     by_value
      - .offset:         64
        .size:           8
        .value_kind:     by_value
      - .actual_access:  read_only
        .address_space:  global
        .offset:         72
        .size:           8
        .value_kind:     global_buffer
      - .offset:         80
        .size:           4
        .value_kind:     by_value
      - .offset:         88
        .size:           4
        .value_kind:     hidden_block_count_x
      - .offset:         92
        .size:           4
        .value_kind:     hidden_block_count_y
      - .offset:         96
        .size:           4
        .value_kind:     hidden_block_count_z
      - .offset:         100
        .size:           2
        .value_kind:     hidden_group_size_x
      - .offset:         102
        .size:           2
        .value_kind:     hidden_group_size_y
      - .offset:         104
        .size:           2
        .value_kind:     hidden_group_size_z
      - .offset:         106
        .size:           2
        .value_kind:     hidden_remainder_x
      - .offset:         108
        .size:           2
        .value_kind:     hidden_remainder_y
      - .offset:         110
        .size:           2
        .value_kind:     hidden_remainder_z
      - .offset:         128
        .size:           8
        .value_kind:     hidden_global_offset_x
      - .offset:         136
        .size:           8
        .value_kind:     hidden_global_offset_y
      - .offset:         144
        .size:           8
        .value_kind:     hidden_global_offset_z
      - .offset:         152
        .size:           2
        .value_kind:     hidden_grid_dims
    .group_segment_fixed_size: 0
    .kernarg_segment_align: 8
    .kernarg_segment_size: 344
    .language:       OpenCL C
    .language_version:
      - 2
      - 0
    .max_flat_workgroup_size: 64
    .name:           _ZL36rocblas_hemvn_kernel_lower_block_sumILi64EiPK19rocblas_complex_numIdEPS1_S1_EviT1_lS5_lT2_lT0_lPT3_i
    .private_segment_fixed_size: 0
    .sgpr_count:     29
    .sgpr_spill_count: 0
    .symbol:         _ZL36rocblas_hemvn_kernel_lower_block_sumILi64EiPK19rocblas_complex_numIdEPS1_S1_EviT1_lS5_lT2_lT0_lPT3_i.kd
    .uniform_work_group_size: 1
    .uses_dynamic_stack: false
    .vgpr_count:     14
    .vgpr_spill_count: 0
    .wavefront_size: 64
  - .agpr_count:     0
    .args:
      - .offset:         0
        .size:           4
        .value_kind:     by_value
      - .offset:         8
        .size:           16
        .value_kind:     by_value
      - .offset:         24
        .size:           8
        .value_kind:     by_value
      - .address_space:  global
        .offset:         32
        .size:           8
        .value_kind:     global_buffer
      - .offset:         40
        .size:           8
        .value_kind:     by_value
      - .offset:         48
        .size:           8
        .value_kind:     by_value
      - .offset:         56
        .size:           8
        .value_kind:     by_value
      - .address_space:  global
        .offset:         64
        .size:           8
        .value_kind:     global_buffer
      - .offset:         72
        .size:           8
        .value_kind:     by_value
      - .offset:         80
        .size:           8
        .value_kind:     by_value
      - .offset:         88
        .size:           8
        .value_kind:     by_value
      - .offset:         96
        .size:           16
        .value_kind:     by_value
      - .offset:         112
        .size:           8
        .value_kind:     by_value
      - .address_space:  global
        .offset:         120
        .size:           8
        .value_kind:     global_buffer
      - .offset:         128
        .size:           4
        .value_kind:     by_value
      - .offset:         136
        .size:           4
        .value_kind:     hidden_block_count_x
      - .offset:         140
        .size:           4
        .value_kind:     hidden_block_count_y
      - .offset:         144
        .size:           4
        .value_kind:     hidden_block_count_z
      - .offset:         148
        .size:           2
        .value_kind:     hidden_group_size_x
      - .offset:         150
        .size:           2
        .value_kind:     hidden_group_size_y
      - .offset:         152
        .size:           2
        .value_kind:     hidden_group_size_z
      - .offset:         154
        .size:           2
        .value_kind:     hidden_remainder_x
      - .offset:         156
        .size:           2
        .value_kind:     hidden_remainder_y
      - .offset:         158
        .size:           2
        .value_kind:     hidden_remainder_z
      - .offset:         176
        .size:           8
        .value_kind:     hidden_global_offset_x
      - .offset:         184
        .size:           8
        .value_kind:     hidden_global_offset_y
      - .offset:         192
        .size:           8
        .value_kind:     hidden_global_offset_z
      - .offset:         200
        .size:           2
        .value_kind:     hidden_grid_dims
    .group_segment_fixed_size: 19200
    .kernarg_segment_align: 8
    .kernarg_segment_size: 392
    .language:       OpenCL C
    .language_version:
      - 2
      - 0
    .max_flat_workgroup_size: 256
    .name:           _ZL26rocblas_hemvn_kernel_lowerILb1ELi64ELi4ELi33ELi32ELi16El19rocblas_complex_numIdEPKS1_PS1_EviT6_lT7_lT5_lS6_lS7_lS5_lT8_i
    .private_segment_fixed_size: 0
    .sgpr_count:     57
    .sgpr_spill_count: 0
    .symbol:         _ZL26rocblas_hemvn_kernel_lowerILb1ELi64ELi4ELi33ELi32ELi16El19rocblas_complex_numIdEPKS1_PS1_EviT6_lT7_lT5_lS6_lS7_lS5_lT8_i.kd
    .uniform_work_group_size: 1
    .uses_dynamic_stack: false
    .vgpr_count:     190
    .vgpr_spill_count: 0
    .wavefront_size: 64
  - .agpr_count:     0
    .args:
      - .offset:         0
        .size:           4
        .value_kind:     by_value
      - .offset:         8
        .size:           16
        .value_kind:     by_value
      - .offset:         24
        .size:           8
        .value_kind:     by_value
      - .offset:         32
        .size:           16
        .value_kind:     by_value
      - .offset:         48
        .size:           8
        .value_kind:     by_value
      - .address_space:  global
        .offset:         56
        .size:           8
        .value_kind:     global_buffer
      - .offset:         64
        .size:           8
        .value_kind:     by_value
      - .offset:         72
        .size:           8
        .value_kind:     by_value
      - .offset:         80
        .size:           8
        .value_kind:     by_value
      - .actual_access:  read_only
        .address_space:  global
        .offset:         88
        .size:           8
        .value_kind:     global_buffer
      - .offset:         96
        .size:           4
        .value_kind:     by_value
      - .offset:         104
        .size:           4
        .value_kind:     hidden_block_count_x
      - .offset:         108
        .size:           4
        .value_kind:     hidden_block_count_y
      - .offset:         112
        .size:           4
        .value_kind:     hidden_block_count_z
      - .offset:         116
        .size:           2
        .value_kind:     hidden_group_size_x
      - .offset:         118
        .size:           2
        .value_kind:     hidden_group_size_y
      - .offset:         120
        .size:           2
        .value_kind:     hidden_group_size_z
      - .offset:         122
        .size:           2
        .value_kind:     hidden_remainder_x
      - .offset:         124
        .size:           2
        .value_kind:     hidden_remainder_y
      - .offset:         126
        .size:           2
        .value_kind:     hidden_remainder_z
      - .offset:         144
        .size:           8
        .value_kind:     hidden_global_offset_x
      - .offset:         152
        .size:           8
        .value_kind:     hidden_global_offset_y
      - .offset:         160
        .size:           8
        .value_kind:     hidden_global_offset_z
      - .offset:         168
        .size:           2
        .value_kind:     hidden_grid_dims
    .group_segment_fixed_size: 0
    .kernarg_segment_align: 8
    .kernarg_segment_size: 360
    .language:       OpenCL C
    .language_version:
      - 2
      - 0
    .max_flat_workgroup_size: 64
    .name:           _ZL36rocblas_hemvn_kernel_lower_block_sumILi64El19rocblas_complex_numIdEPS1_S1_EviT1_lS3_lT2_lT0_lPT3_i
    .private_segment_fixed_size: 0
    .sgpr_count:     32
    .sgpr_spill_count: 0
    .symbol:         _ZL36rocblas_hemvn_kernel_lower_block_sumILi64El19rocblas_complex_numIdEPS1_S1_EviT1_lS3_lT2_lT0_lPT3_i.kd
    .uniform_work_group_size: 1
    .uses_dynamic_stack: false
    .vgpr_count:     12
    .vgpr_spill_count: 0
    .wavefront_size: 64
  - .agpr_count:     0
    .args:
      - .offset:         0
        .size:           4
        .value_kind:     by_value
      - .offset:         8
        .size:           16
        .value_kind:     by_value
      - .offset:         24
        .size:           8
        .value_kind:     by_value
      - .address_space:  global
        .offset:         32
        .size:           8
        .value_kind:     global_buffer
      - .offset:         40
        .size:           8
        .value_kind:     by_value
      - .offset:         48
        .size:           4
        .value_kind:     by_value
      - .offset:         56
        .size:           8
        .value_kind:     by_value
      - .address_space:  global
        .offset:         64
        .size:           8
        .value_kind:     global_buffer
      - .offset:         72
        .size:           8
        .value_kind:     by_value
      - .offset:         80
        .size:           4
        .value_kind:     by_value
      - .offset:         88
        .size:           8
        .value_kind:     by_value
      - .offset:         96
        .size:           16
        .value_kind:     by_value
      - .offset:         112
        .size:           8
        .value_kind:     by_value
      - .address_space:  global
        .offset:         120
        .size:           8
        .value_kind:     global_buffer
      - .offset:         128
        .size:           4
        .value_kind:     by_value
      - .offset:         136
        .size:           4
        .value_kind:     hidden_block_count_x
      - .offset:         140
        .size:           4
        .value_kind:     hidden_block_count_y
      - .offset:         144
        .size:           4
        .value_kind:     hidden_block_count_z
      - .offset:         148
        .size:           2
        .value_kind:     hidden_group_size_x
      - .offset:         150
        .size:           2
        .value_kind:     hidden_group_size_y
      - .offset:         152
        .size:           2
        .value_kind:     hidden_group_size_z
      - .offset:         154
        .size:           2
        .value_kind:     hidden_remainder_x
      - .offset:         156
        .size:           2
        .value_kind:     hidden_remainder_y
      - .offset:         158
        .size:           2
        .value_kind:     hidden_remainder_z
      - .offset:         176
        .size:           8
        .value_kind:     hidden_global_offset_x
      - .offset:         184
        .size:           8
        .value_kind:     hidden_global_offset_y
      - .offset:         192
        .size:           8
        .value_kind:     hidden_global_offset_z
      - .offset:         200
        .size:           2
        .value_kind:     hidden_grid_dims
    .group_segment_fixed_size: 19200
    .kernarg_segment_align: 8
    .kernarg_segment_size: 392
    .language:       OpenCL C
    .language_version:
      - 2
      - 0
    .max_flat_workgroup_size: 256
    .name:           _ZL26rocblas_hemvn_kernel_lowerILb1ELi64ELi4ELi33ELi32ELi16Ei19rocblas_complex_numIdEPKS1_PS1_EviT6_lT7_lT5_lS6_lS7_lS5_lT8_i
    .private_segment_fixed_size: 0
    .sgpr_count:     50
    .sgpr_spill_count: 0
    .symbol:         _ZL26rocblas_hemvn_kernel_lowerILb1ELi64ELi4ELi33ELi32ELi16Ei19rocblas_complex_numIdEPKS1_PS1_EviT6_lT7_lT5_lS6_lS7_lS5_lT8_i.kd
    .uniform_work_group_size: 1
    .uses_dynamic_stack: false
    .vgpr_count:     188
    .vgpr_spill_count: 0
    .wavefront_size: 64
  - .agpr_count:     0
    .args:
      - .offset:         0
        .size:           4
        .value_kind:     by_value
      - .offset:         8
        .size:           16
        .value_kind:     by_value
      - .offset:         24
        .size:           8
        .value_kind:     by_value
      - .offset:         32
        .size:           16
        .value_kind:     by_value
      - .offset:         48
        .size:           8
        .value_kind:     by_value
      - .address_space:  global
        .offset:         56
        .size:           8
        .value_kind:     global_buffer
      - .offset:         64
        .size:           8
        .value_kind:     by_value
      - .offset:         72
        .size:           4
        .value_kind:     by_value
      - .offset:         80
        .size:           8
        .value_kind:     by_value
      - .actual_access:  read_only
        .address_space:  global
        .offset:         88
        .size:           8
        .value_kind:     global_buffer
      - .offset:         96
        .size:           4
        .value_kind:     by_value
      - .offset:         104
        .size:           4
        .value_kind:     hidden_block_count_x
      - .offset:         108
        .size:           4
        .value_kind:     hidden_block_count_y
      - .offset:         112
        .size:           4
        .value_kind:     hidden_block_count_z
      - .offset:         116
        .size:           2
        .value_kind:     hidden_group_size_x
      - .offset:         118
        .size:           2
        .value_kind:     hidden_group_size_y
      - .offset:         120
        .size:           2
        .value_kind:     hidden_group_size_z
      - .offset:         122
        .size:           2
        .value_kind:     hidden_remainder_x
      - .offset:         124
        .size:           2
        .value_kind:     hidden_remainder_y
      - .offset:         126
        .size:           2
        .value_kind:     hidden_remainder_z
      - .offset:         144
        .size:           8
        .value_kind:     hidden_global_offset_x
      - .offset:         152
        .size:           8
        .value_kind:     hidden_global_offset_y
      - .offset:         160
        .size:           8
        .value_kind:     hidden_global_offset_z
      - .offset:         168
        .size:           2
        .value_kind:     hidden_grid_dims
    .group_segment_fixed_size: 0
    .kernarg_segment_align: 8
    .kernarg_segment_size: 360
    .language:       OpenCL C
    .language_version:
      - 2
      - 0
    .max_flat_workgroup_size: 64
    .name:           _ZL36rocblas_hemvn_kernel_lower_block_sumILi64Ei19rocblas_complex_numIdEPS1_S1_EviT1_lS3_lT2_lT0_lPT3_i
    .private_segment_fixed_size: 0
    .sgpr_count:     29
    .sgpr_spill_count: 0
    .symbol:         _ZL36rocblas_hemvn_kernel_lower_block_sumILi64Ei19rocblas_complex_numIdEPS1_S1_EviT1_lS3_lT2_lT0_lPT3_i.kd
    .uniform_work_group_size: 1
    .uses_dynamic_stack: false
    .vgpr_count:     14
    .vgpr_spill_count: 0
    .wavefront_size: 64
  - .agpr_count:     0
    .args:
      - .offset:         0
        .size:           4
        .value_kind:     by_value
      - .address_space:  global
        .offset:         8
        .size:           8
        .value_kind:     global_buffer
      - .offset:         16
        .size:           8
        .value_kind:     by_value
      - .address_space:  global
        .offset:         24
        .size:           8
        .value_kind:     global_buffer
      - .offset:         32
        .size:           8
        .value_kind:     by_value
      - .offset:         40
        .size:           8
        .value_kind:     by_value
      - .offset:         48
        .size:           8
        .value_kind:     by_value
      - .address_space:  global
        .offset:         56
        .size:           8
        .value_kind:     global_buffer
      - .offset:         64
        .size:           8
        .value_kind:     by_value
      - .offset:         72
        .size:           8
        .value_kind:     by_value
      - .offset:         80
        .size:           8
        .value_kind:     by_value
      - .address_space:  global
        .offset:         88
        .size:           8
        .value_kind:     global_buffer
      - .offset:         96
        .size:           8
        .value_kind:     by_value
      - .address_space:  global
        .offset:         104
        .size:           8
        .value_kind:     global_buffer
      - .offset:         112
        .size:           4
        .value_kind:     by_value
      - .offset:         120
        .size:           4
        .value_kind:     hidden_block_count_x
      - .offset:         124
        .size:           4
        .value_kind:     hidden_block_count_y
      - .offset:         128
        .size:           4
        .value_kind:     hidden_block_count_z
      - .offset:         132
        .size:           2
        .value_kind:     hidden_group_size_x
      - .offset:         134
        .size:           2
        .value_kind:     hidden_group_size_y
      - .offset:         136
        .size:           2
        .value_kind:     hidden_group_size_z
      - .offset:         138
        .size:           2
        .value_kind:     hidden_remainder_x
      - .offset:         140
        .size:           2
        .value_kind:     hidden_remainder_y
      - .offset:         142
        .size:           2
        .value_kind:     hidden_remainder_z
      - .offset:         160
        .size:           8
        .value_kind:     hidden_global_offset_x
      - .offset:         168
        .size:           8
        .value_kind:     hidden_global_offset_y
      - .offset:         176
        .size:           8
        .value_kind:     hidden_global_offset_z
      - .offset:         184
        .size:           2
        .value_kind:     hidden_grid_dims
    .group_segment_fixed_size: 9600
    .kernarg_segment_align: 8
    .kernarg_segment_size: 376
    .language:       OpenCL C
    .language_version:
      - 2
      - 0
    .max_flat_workgroup_size: 256
    .name:           _ZL26rocblas_hemvn_kernel_upperILb1ELi64ELi4ELi33ELi32ELi16ElPK19rocblas_complex_numIfEPKS3_PS1_EviT6_lT7_lT5_lS8_lS9_lS7_lT8_i
    .private_segment_fixed_size: 0
    .sgpr_count:     46
    .sgpr_spill_count: 0
    .symbol:         _ZL26rocblas_hemvn_kernel_upperILb1ELi64ELi4ELi33ELi32ELi16ElPK19rocblas_complex_numIfEPKS3_PS1_EviT6_lT7_lT5_lS8_lS9_lS7_lT8_i.kd
    .uniform_work_group_size: 1
    .uses_dynamic_stack: false
    .vgpr_count:     152
    .vgpr_spill_count: 0
    .wavefront_size: 64
  - .agpr_count:     0
    .args:
      - .offset:         0
        .size:           4
        .value_kind:     by_value
      - .address_space:  global
        .offset:         8
        .size:           8
        .value_kind:     global_buffer
      - .offset:         16
        .size:           8
        .value_kind:     by_value
      - .address_space:  global
        .offset:         24
        .size:           8
        .value_kind:     global_buffer
      - .offset:         32
        .size:           8
        .value_kind:     by_value
      - .actual_access:  read_only
        .address_space:  global
        .offset:         40
        .size:           8
        .value_kind:     global_buffer
      - .offset:         48
        .size:           8
        .value_kind:     by_value
      - .offset:         56
        .size:           8
        .value_kind:     by_value
      - .offset:         64
        .size:           8
        .value_kind:     by_value
      - .address_space:  global
        .offset:         72
        .size:           8
        .value_kind:     global_buffer
      - .offset:         80
        .size:           4
        .value_kind:     by_value
      - .offset:         88
        .size:           4
        .value_kind:     hidden_block_count_x
      - .offset:         92
        .size:           4
        .value_kind:     hidden_block_count_y
      - .offset:         96
        .size:           4
        .value_kind:     hidden_block_count_z
      - .offset:         100
        .size:           2
        .value_kind:     hidden_group_size_x
      - .offset:         102
        .size:           2
        .value_kind:     hidden_group_size_y
      - .offset:         104
        .size:           2
        .value_kind:     hidden_group_size_z
      - .offset:         106
        .size:           2
        .value_kind:     hidden_remainder_x
      - .offset:         108
        .size:           2
        .value_kind:     hidden_remainder_y
      - .offset:         110
        .size:           2
        .value_kind:     hidden_remainder_z
      - .offset:         128
        .size:           8
        .value_kind:     hidden_global_offset_x
      - .offset:         136
        .size:           8
        .value_kind:     hidden_global_offset_y
      - .offset:         144
        .size:           8
        .value_kind:     hidden_global_offset_z
      - .offset:         152
        .size:           2
        .value_kind:     hidden_grid_dims
    .group_segment_fixed_size: 0
    .kernarg_segment_align: 8
    .kernarg_segment_size: 344
    .language:       OpenCL C
    .language_version:
      - 2
      - 0
    .max_flat_workgroup_size: 64
    .name:           _ZL36rocblas_hemvn_kernel_upper_block_sumILi64ElPK19rocblas_complex_numIfEPKPS1_S1_EviT1_lS7_lT2_lT0_lPT3_i
    .private_segment_fixed_size: 0
    .sgpr_count:     28
    .sgpr_spill_count: 0
    .symbol:         _ZL36rocblas_hemvn_kernel_upper_block_sumILi64ElPK19rocblas_complex_numIfEPKPS1_S1_EviT1_lS7_lT2_lT0_lPT3_i.kd
    .uniform_work_group_size: 1
    .uses_dynamic_stack: false
    .vgpr_count:     14
    .vgpr_spill_count: 0
    .wavefront_size: 64
  - .agpr_count:     0
    .args:
      - .offset:         0
        .size:           4
        .value_kind:     by_value
      - .address_space:  global
        .offset:         8
        .size:           8
        .value_kind:     global_buffer
      - .offset:         16
        .size:           8
        .value_kind:     by_value
      - .address_space:  global
        .offset:         24
        .size:           8
        .value_kind:     global_buffer
      - .offset:         32
        .size:           8
        .value_kind:     by_value
      - .offset:         40
        .size:           4
        .value_kind:     by_value
      - .offset:         48
        .size:           8
        .value_kind:     by_value
      - .address_space:  global
        .offset:         56
        .size:           8
        .value_kind:     global_buffer
      - .offset:         64
        .size:           8
        .value_kind:     by_value
      - .offset:         72
        .size:           4
        .value_kind:     by_value
      - .offset:         80
        .size:           8
        .value_kind:     by_value
      - .address_space:  global
        .offset:         88
        .size:           8
        .value_kind:     global_buffer
      - .offset:         96
        .size:           8
        .value_kind:     by_value
      - .address_space:  global
        .offset:         104
        .size:           8
        .value_kind:     global_buffer
      - .offset:         112
        .size:           4
        .value_kind:     by_value
      - .offset:         120
        .size:           4
        .value_kind:     hidden_block_count_x
      - .offset:         124
        .size:           4
        .value_kind:     hidden_block_count_y
      - .offset:         128
        .size:           4
        .value_kind:     hidden_block_count_z
      - .offset:         132
        .size:           2
        .value_kind:     hidden_group_size_x
      - .offset:         134
        .size:           2
        .value_kind:     hidden_group_size_y
      - .offset:         136
        .size:           2
        .value_kind:     hidden_group_size_z
      - .offset:         138
        .size:           2
        .value_kind:     hidden_remainder_x
      - .offset:         140
        .size:           2
        .value_kind:     hidden_remainder_y
      - .offset:         142
        .size:           2
        .value_kind:     hidden_remainder_z
      - .offset:         160
        .size:           8
        .value_kind:     hidden_global_offset_x
      - .offset:         168
        .size:           8
        .value_kind:     hidden_global_offset_y
      - .offset:         176
        .size:           8
        .value_kind:     hidden_global_offset_z
      - .offset:         184
        .size:           2
        .value_kind:     hidden_grid_dims
    .group_segment_fixed_size: 9600
    .kernarg_segment_align: 8
    .kernarg_segment_size: 376
    .language:       OpenCL C
    .language_version:
      - 2
      - 0
    .max_flat_workgroup_size: 256
    .name:           _ZL26rocblas_hemvn_kernel_upperILb1ELi64ELi4ELi33ELi32ELi16EiPK19rocblas_complex_numIfEPKS3_PS1_EviT6_lT7_lT5_lS8_lS9_lS7_lT8_i
    .private_segment_fixed_size: 0
    .sgpr_count:     48
    .sgpr_spill_count: 0
    .symbol:         _ZL26rocblas_hemvn_kernel_upperILb1ELi64ELi4ELi33ELi32ELi16EiPK19rocblas_complex_numIfEPKS3_PS1_EviT6_lT7_lT5_lS8_lS9_lS7_lT8_i.kd
    .uniform_work_group_size: 1
    .uses_dynamic_stack: false
    .vgpr_count:     162
    .vgpr_spill_count: 0
    .wavefront_size: 64
  - .agpr_count:     0
    .args:
      - .offset:         0
        .size:           4
        .value_kind:     by_value
      - .address_space:  global
        .offset:         8
        .size:           8
        .value_kind:     global_buffer
      - .offset:         16
        .size:           8
        .value_kind:     by_value
      - .address_space:  global
        .offset:         24
        .size:           8
        .value_kind:     global_buffer
      - .offset:         32
        .size:           8
        .value_kind:     by_value
      - .actual_access:  read_only
        .address_space:  global
        .offset:         40
        .size:           8
        .value_kind:     global_buffer
      - .offset:         48
        .size:           8
        .value_kind:     by_value
      - .offset:         56
        .size:           4
        .value_kind:     by_value
      - .offset:         64
        .size:           8
        .value_kind:     by_value
      - .address_space:  global
        .offset:         72
        .size:           8
        .value_kind:     global_buffer
      - .offset:         80
        .size:           4
        .value_kind:     by_value
      - .offset:         88
        .size:           4
        .value_kind:     hidden_block_count_x
      - .offset:         92
        .size:           4
        .value_kind:     hidden_block_count_y
      - .offset:         96
        .size:           4
        .value_kind:     hidden_block_count_z
      - .offset:         100
        .size:           2
        .value_kind:     hidden_group_size_x
      - .offset:         102
        .size:           2
        .value_kind:     hidden_group_size_y
      - .offset:         104
        .size:           2
        .value_kind:     hidden_group_size_z
      - .offset:         106
        .size:           2
        .value_kind:     hidden_remainder_x
      - .offset:         108
        .size:           2
        .value_kind:     hidden_remainder_y
      - .offset:         110
        .size:           2
        .value_kind:     hidden_remainder_z
      - .offset:         128
        .size:           8
        .value_kind:     hidden_global_offset_x
      - .offset:         136
        .size:           8
        .value_kind:     hidden_global_offset_y
      - .offset:         144
        .size:           8
        .value_kind:     hidden_global_offset_z
      - .offset:         152
        .size:           2
        .value_kind:     hidden_grid_dims
    .group_segment_fixed_size: 0
    .kernarg_segment_align: 8
    .kernarg_segment_size: 344
    .language:       OpenCL C
    .language_version:
      - 2
      - 0
    .max_flat_workgroup_size: 64
    .name:           _ZL36rocblas_hemvn_kernel_upper_block_sumILi64EiPK19rocblas_complex_numIfEPKPS1_S1_EviT1_lS7_lT2_lT0_lPT3_i
    .private_segment_fixed_size: 0
    .sgpr_count:     28
    .sgpr_spill_count: 0
    .symbol:         _ZL36rocblas_hemvn_kernel_upper_block_sumILi64EiPK19rocblas_complex_numIfEPKPS1_S1_EviT1_lS7_lT2_lT0_lPT3_i.kd
    .uniform_work_group_size: 1
    .uses_dynamic_stack: false
    .vgpr_count:     12
    .vgpr_spill_count: 0
    .wavefront_size: 64
  - .agpr_count:     0
    .args:
      - .offset:         0
        .size:           4
        .value_kind:     by_value
      - .offset:         4
        .size:           8
        .value_kind:     by_value
      - .offset:         16
        .size:           8
        .value_kind:     by_value
      - .address_space:  global
        .offset:         24
        .size:           8
        .value_kind:     global_buffer
      - .offset:         32
        .size:           8
        .value_kind:     by_value
      - .offset:         40
        .size:           8
        .value_kind:     by_value
      - .offset:         48
        .size:           8
        .value_kind:     by_value
      - .address_space:  global
        .offset:         56
        .size:           8
        .value_kind:     global_buffer
      - .offset:         64
        .size:           8
        .value_kind:     by_value
      - .offset:         72
        .size:           8
        .value_kind:     by_value
      - .offset:         80
        .size:           8
        .value_kind:     by_value
      - .offset:         88
        .size:           8
        .value_kind:     by_value
      - .offset:         96
        .size:           8
        .value_kind:     by_value
      - .address_space:  global
        .offset:         104
        .size:           8
        .value_kind:     global_buffer
      - .offset:         112
        .size:           4
        .value_kind:     by_value
      - .offset:         120
        .size:           4
        .value_kind:     hidden_block_count_x
      - .offset:         124
        .size:           4
        .value_kind:     hidden_block_count_y
      - .offset:         128
        .size:           4
        .value_kind:     hidden_block_count_z
      - .offset:         132
        .size:           2
        .value_kind:     hidden_group_size_x
      - .offset:         134
        .size:           2
        .value_kind:     hidden_group_size_y
      - .offset:         136
        .size:           2
        .value_kind:     hidden_group_size_z
      - .offset:         138
        .size:           2
        .value_kind:     hidden_remainder_x
      - .offset:         140
        .size:           2
        .value_kind:     hidden_remainder_y
      - .offset:         142
        .size:           2
        .value_kind:     hidden_remainder_z
      - .offset:         160
        .size:           8
        .value_kind:     hidden_global_offset_x
      - .offset:         168
        .size:           8
        .value_kind:     hidden_global_offset_y
      - .offset:         176
        .size:           8
        .value_kind:     hidden_global_offset_z
      - .offset:         184
        .size:           2
        .value_kind:     hidden_grid_dims
    .group_segment_fixed_size: 9600
    .kernarg_segment_align: 8
    .kernarg_segment_size: 376
    .language:       OpenCL C
    .language_version:
      - 2
      - 0
    .max_flat_workgroup_size: 256
    .name:           _ZL26rocblas_hemvn_kernel_upperILb1ELi64ELi4ELi33ELi32ELi16El19rocblas_complex_numIfEPKPKS1_PS1_EviT6_lT7_lT5_lS8_lS9_lS7_lT8_i
    .private_segment_fixed_size: 0
    .sgpr_count:     46
    .sgpr_spill_count: 0
    .symbol:         _ZL26rocblas_hemvn_kernel_upperILb1ELi64ELi4ELi33ELi32ELi16El19rocblas_complex_numIfEPKPKS1_PS1_EviT6_lT7_lT5_lS8_lS9_lS7_lT8_i.kd
    .uniform_work_group_size: 1
    .uses_dynamic_stack: false
    .vgpr_count:     152
    .vgpr_spill_count: 0
    .wavefront_size: 64
  - .agpr_count:     0
    .args:
      - .offset:         0
        .size:           4
        .value_kind:     by_value
      - .offset:         4
        .size:           8
        .value_kind:     by_value
      - .offset:         16
        .size:           8
        .value_kind:     by_value
      - .offset:         24
        .size:           8
        .value_kind:     by_value
      - .offset:         32
        .size:           8
        .value_kind:     by_value
      - .actual_access:  read_only
        .address_space:  global
        .offset:         40
        .size:           8
        .value_kind:     global_buffer
      - .offset:         48
        .size:           8
        .value_kind:     by_value
      - .offset:         56
        .size:           8
        .value_kind:     by_value
      - .offset:         64
        .size:           8
        .value_kind:     by_value
      - .address_space:  global
        .offset:         72
        .size:           8
        .value_kind:     global_buffer
      - .offset:         80
        .size:           4
        .value_kind:     by_value
      - .offset:         88
        .size:           4
        .value_kind:     hidden_block_count_x
      - .offset:         92
        .size:           4
        .value_kind:     hidden_block_count_y
      - .offset:         96
        .size:           4
        .value_kind:     hidden_block_count_z
      - .offset:         100
        .size:           2
        .value_kind:     hidden_group_size_x
      - .offset:         102
        .size:           2
        .value_kind:     hidden_group_size_y
      - .offset:         104
        .size:           2
        .value_kind:     hidden_group_size_z
      - .offset:         106
        .size:           2
        .value_kind:     hidden_remainder_x
      - .offset:         108
        .size:           2
        .value_kind:     hidden_remainder_y
      - .offset:         110
        .size:           2
        .value_kind:     hidden_remainder_z
      - .offset:         128
        .size:           8
        .value_kind:     hidden_global_offset_x
      - .offset:         136
        .size:           8
        .value_kind:     hidden_global_offset_y
      - .offset:         144
        .size:           8
        .value_kind:     hidden_global_offset_z
      - .offset:         152
        .size:           2
        .value_kind:     hidden_grid_dims
    .group_segment_fixed_size: 0
    .kernarg_segment_align: 8
    .kernarg_segment_size: 344
    .language:       OpenCL C
    .language_version:
      - 2
      - 0
    .max_flat_workgroup_size: 64
    .name:           _ZL36rocblas_hemvn_kernel_upper_block_sumILi64El19rocblas_complex_numIfEPKPS1_S1_EviT1_lS5_lT2_lT0_lPT3_i
    .private_segment_fixed_size: 0
    .sgpr_count:     26
    .sgpr_spill_count: 0
    .symbol:         _ZL36rocblas_hemvn_kernel_upper_block_sumILi64El19rocblas_complex_numIfEPKPS1_S1_EviT1_lS5_lT2_lT0_lPT3_i.kd
    .uniform_work_group_size: 1
    .uses_dynamic_stack: false
    .vgpr_count:     14
    .vgpr_spill_count: 0
    .wavefront_size: 64
  - .agpr_count:     0
    .args:
      - .offset:         0
        .size:           4
        .value_kind:     by_value
      - .offset:         4
        .size:           8
        .value_kind:     by_value
      - .offset:         16
        .size:           8
        .value_kind:     by_value
      - .address_space:  global
        .offset:         24
        .size:           8
        .value_kind:     global_buffer
      - .offset:         32
        .size:           8
        .value_kind:     by_value
      - .offset:         40
        .size:           4
        .value_kind:     by_value
      - .offset:         48
        .size:           8
        .value_kind:     by_value
      - .address_space:  global
        .offset:         56
        .size:           8
        .value_kind:     global_buffer
      - .offset:         64
        .size:           8
        .value_kind:     by_value
      - .offset:         72
        .size:           4
        .value_kind:     by_value
      - .offset:         80
        .size:           8
        .value_kind:     by_value
      - .offset:         88
        .size:           8
        .value_kind:     by_value
      - .offset:         96
        .size:           8
        .value_kind:     by_value
      - .address_space:  global
        .offset:         104
        .size:           8
        .value_kind:     global_buffer
      - .offset:         112
        .size:           4
        .value_kind:     by_value
      - .offset:         120
        .size:           4
        .value_kind:     hidden_block_count_x
      - .offset:         124
        .size:           4
        .value_kind:     hidden_block_count_y
      - .offset:         128
        .size:           4
        .value_kind:     hidden_block_count_z
      - .offset:         132
        .size:           2
        .value_kind:     hidden_group_size_x
      - .offset:         134
        .size:           2
        .value_kind:     hidden_group_size_y
      - .offset:         136
        .size:           2
        .value_kind:     hidden_group_size_z
      - .offset:         138
        .size:           2
        .value_kind:     hidden_remainder_x
      - .offset:         140
        .size:           2
        .value_kind:     hidden_remainder_y
      - .offset:         142
        .size:           2
        .value_kind:     hidden_remainder_z
      - .offset:         160
        .size:           8
        .value_kind:     hidden_global_offset_x
      - .offset:         168
        .size:           8
        .value_kind:     hidden_global_offset_y
      - .offset:         176
        .size:           8
        .value_kind:     hidden_global_offset_z
      - .offset:         184
        .size:           2
        .value_kind:     hidden_grid_dims
    .group_segment_fixed_size: 9600
    .kernarg_segment_align: 8
    .kernarg_segment_size: 376
    .language:       OpenCL C
    .language_version:
      - 2
      - 0
    .max_flat_workgroup_size: 256
    .name:           _ZL26rocblas_hemvn_kernel_upperILb1ELi64ELi4ELi33ELi32ELi16Ei19rocblas_complex_numIfEPKPKS1_PS1_EviT6_lT7_lT5_lS8_lS9_lS7_lT8_i
    .private_segment_fixed_size: 0
    .sgpr_count:     48
    .sgpr_spill_count: 0
    .symbol:         _ZL26rocblas_hemvn_kernel_upperILb1ELi64ELi4ELi33ELi32ELi16Ei19rocblas_complex_numIfEPKPKS1_PS1_EviT6_lT7_lT5_lS8_lS9_lS7_lT8_i.kd
    .uniform_work_group_size: 1
    .uses_dynamic_stack: false
    .vgpr_count:     162
    .vgpr_spill_count: 0
    .wavefront_size: 64
  - .agpr_count:     0
    .args:
      - .offset:         0
        .size:           4
        .value_kind:     by_value
      - .offset:         4
        .size:           8
        .value_kind:     by_value
      - .offset:         16
        .size:           8
        .value_kind:     by_value
      - .offset:         24
        .size:           8
        .value_kind:     by_value
      - .offset:         32
        .size:           8
        .value_kind:     by_value
      - .actual_access:  read_only
        .address_space:  global
        .offset:         40
        .size:           8
        .value_kind:     global_buffer
      - .offset:         48
        .size:           8
        .value_kind:     by_value
      - .offset:         56
        .size:           4
        .value_kind:     by_value
      - .offset:         64
        .size:           8
        .value_kind:     by_value
      - .address_space:  global
        .offset:         72
        .size:           8
        .value_kind:     global_buffer
      - .offset:         80
        .size:           4
        .value_kind:     by_value
      - .offset:         88
        .size:           4
        .value_kind:     hidden_block_count_x
      - .offset:         92
        .size:           4
        .value_kind:     hidden_block_count_y
      - .offset:         96
        .size:           4
        .value_kind:     hidden_block_count_z
      - .offset:         100
        .size:           2
        .value_kind:     hidden_group_size_x
      - .offset:         102
        .size:           2
        .value_kind:     hidden_group_size_y
      - .offset:         104
        .size:           2
        .value_kind:     hidden_group_size_z
      - .offset:         106
        .size:           2
        .value_kind:     hidden_remainder_x
      - .offset:         108
        .size:           2
        .value_kind:     hidden_remainder_y
      - .offset:         110
        .size:           2
        .value_kind:     hidden_remainder_z
      - .offset:         128
        .size:           8
        .value_kind:     hidden_global_offset_x
      - .offset:         136
        .size:           8
        .value_kind:     hidden_global_offset_y
      - .offset:         144
        .size:           8
        .value_kind:     hidden_global_offset_z
      - .offset:         152
        .size:           2
        .value_kind:     hidden_grid_dims
    .group_segment_fixed_size: 0
    .kernarg_segment_align: 8
    .kernarg_segment_size: 344
    .language:       OpenCL C
    .language_version:
      - 2
      - 0
    .max_flat_workgroup_size: 64
    .name:           _ZL36rocblas_hemvn_kernel_upper_block_sumILi64Ei19rocblas_complex_numIfEPKPS1_S1_EviT1_lS5_lT2_lT0_lPT3_i
    .private_segment_fixed_size: 0
    .sgpr_count:     28
    .sgpr_spill_count: 0
    .symbol:         _ZL36rocblas_hemvn_kernel_upper_block_sumILi64Ei19rocblas_complex_numIfEPKPS1_S1_EviT1_lS5_lT2_lT0_lPT3_i.kd
    .uniform_work_group_size: 1
    .uses_dynamic_stack: false
    .vgpr_count:     12
    .vgpr_spill_count: 0
    .wavefront_size: 64
  - .agpr_count:     0
    .args:
      - .offset:         0
        .size:           4
        .value_kind:     by_value
      - .address_space:  global
        .offset:         8
        .size:           8
        .value_kind:     global_buffer
      - .offset:         16
        .size:           8
        .value_kind:     by_value
      - .address_space:  global
        .offset:         24
        .size:           8
        .value_kind:     global_buffer
      - .offset:         32
        .size:           8
        .value_kind:     by_value
      - .offset:         40
        .size:           8
        .value_kind:     by_value
      - .offset:         48
        .size:           8
        .value_kind:     by_value
      - .address_space:  global
        .offset:         56
        .size:           8
        .value_kind:     global_buffer
      - .offset:         64
        .size:           8
        .value_kind:     by_value
      - .offset:         72
        .size:           8
        .value_kind:     by_value
      - .offset:         80
        .size:           8
        .value_kind:     by_value
      - .address_space:  global
        .offset:         88
        .size:           8
        .value_kind:     global_buffer
      - .offset:         96
        .size:           8
        .value_kind:     by_value
      - .address_space:  global
        .offset:         104
        .size:           8
        .value_kind:     global_buffer
      - .offset:         112
        .size:           4
        .value_kind:     by_value
      - .offset:         120
        .size:           4
        .value_kind:     hidden_block_count_x
      - .offset:         124
        .size:           4
        .value_kind:     hidden_block_count_y
      - .offset:         128
        .size:           4
        .value_kind:     hidden_block_count_z
      - .offset:         132
        .size:           2
        .value_kind:     hidden_group_size_x
      - .offset:         134
        .size:           2
        .value_kind:     hidden_group_size_y
      - .offset:         136
        .size:           2
        .value_kind:     hidden_group_size_z
      - .offset:         138
        .size:           2
        .value_kind:     hidden_remainder_x
      - .offset:         140
        .size:           2
        .value_kind:     hidden_remainder_y
      - .offset:         142
        .size:           2
        .value_kind:     hidden_remainder_z
      - .offset:         160
        .size:           8
        .value_kind:     hidden_global_offset_x
      - .offset:         168
        .size:           8
        .value_kind:     hidden_global_offset_y
      - .offset:         176
        .size:           8
        .value_kind:     hidden_global_offset_z
      - .offset:         184
        .size:           2
        .value_kind:     hidden_grid_dims
    .group_segment_fixed_size: 9600
    .kernarg_segment_align: 8
    .kernarg_segment_size: 376
    .language:       OpenCL C
    .language_version:
      - 2
      - 0
    .max_flat_workgroup_size: 256
    .name:           _ZL26rocblas_hemvn_kernel_lowerILb1ELi64ELi4ELi33ELi32ELi16ElPK19rocblas_complex_numIfEPKS3_PS1_EviT6_lT7_lT5_lS8_lS9_lS7_lT8_i
    .private_segment_fixed_size: 0
    .sgpr_count:     50
    .sgpr_spill_count: 0
    .symbol:         _ZL26rocblas_hemvn_kernel_lowerILb1ELi64ELi4ELi33ELi32ELi16ElPK19rocblas_complex_numIfEPKS3_PS1_EviT6_lT7_lT5_lS8_lS9_lS7_lT8_i.kd
    .uniform_work_group_size: 1
    .uses_dynamic_stack: false
    .vgpr_count:     120
    .vgpr_spill_count: 0
    .wavefront_size: 64
  - .agpr_count:     0
    .args:
      - .offset:         0
        .size:           4
        .value_kind:     by_value
      - .address_space:  global
        .offset:         8
        .size:           8
        .value_kind:     global_buffer
      - .offset:         16
        .size:           8
        .value_kind:     by_value
      - .address_space:  global
        .offset:         24
        .size:           8
        .value_kind:     global_buffer
      - .offset:         32
        .size:           8
        .value_kind:     by_value
      - .actual_access:  read_only
        .address_space:  global
        .offset:         40
        .size:           8
        .value_kind:     global_buffer
      - .offset:         48
        .size:           8
        .value_kind:     by_value
      - .offset:         56
        .size:           8
        .value_kind:     by_value
      - .offset:         64
        .size:           8
        .value_kind:     by_value
      - .actual_access:  read_only
        .address_space:  global
        .offset:         72
        .size:           8
        .value_kind:     global_buffer
      - .offset:         80
        .size:           4
        .value_kind:     by_value
      - .offset:         88
        .size:           4
        .value_kind:     hidden_block_count_x
      - .offset:         92
        .size:           4
        .value_kind:     hidden_block_count_y
      - .offset:         96
        .size:           4
        .value_kind:     hidden_block_count_z
      - .offset:         100
        .size:           2
        .value_kind:     hidden_group_size_x
      - .offset:         102
        .size:           2
        .value_kind:     hidden_group_size_y
      - .offset:         104
        .size:           2
        .value_kind:     hidden_group_size_z
      - .offset:         106
        .size:           2
        .value_kind:     hidden_remainder_x
      - .offset:         108
        .size:           2
        .value_kind:     hidden_remainder_y
      - .offset:         110
        .size:           2
        .value_kind:     hidden_remainder_z
      - .offset:         128
        .size:           8
        .value_kind:     hidden_global_offset_x
      - .offset:         136
        .size:           8
        .value_kind:     hidden_global_offset_y
      - .offset:         144
        .size:           8
        .value_kind:     hidden_global_offset_z
      - .offset:         152
        .size:           2
        .value_kind:     hidden_grid_dims
    .group_segment_fixed_size: 0
    .kernarg_segment_align: 8
    .kernarg_segment_size: 344
    .language:       OpenCL C
    .language_version:
      - 2
      - 0
    .max_flat_workgroup_size: 64
    .name:           _ZL36rocblas_hemvn_kernel_lower_block_sumILi64ElPK19rocblas_complex_numIfEPKPS1_S1_EviT1_lS7_lT2_lT0_lPT3_i
    .private_segment_fixed_size: 0
    .sgpr_count:     28
    .sgpr_spill_count: 0
    .symbol:         _ZL36rocblas_hemvn_kernel_lower_block_sumILi64ElPK19rocblas_complex_numIfEPKPS1_S1_EviT1_lS7_lT2_lT0_lPT3_i.kd
    .uniform_work_group_size: 1
    .uses_dynamic_stack: false
    .vgpr_count:     14
    .vgpr_spill_count: 0
    .wavefront_size: 64
  - .agpr_count:     0
    .args:
      - .offset:         0
        .size:           4
        .value_kind:     by_value
      - .address_space:  global
        .offset:         8
        .size:           8
        .value_kind:     global_buffer
      - .offset:         16
        .size:           8
        .value_kind:     by_value
      - .address_space:  global
        .offset:         24
        .size:           8
        .value_kind:     global_buffer
      - .offset:         32
        .size:           8
        .value_kind:     by_value
      - .offset:         40
        .size:           4
        .value_kind:     by_value
      - .offset:         48
        .size:           8
        .value_kind:     by_value
      - .address_space:  global
        .offset:         56
        .size:           8
        .value_kind:     global_buffer
      - .offset:         64
        .size:           8
        .value_kind:     by_value
      - .offset:         72
        .size:           4
        .value_kind:     by_value
      - .offset:         80
        .size:           8
        .value_kind:     by_value
      - .address_space:  global
        .offset:         88
        .size:           8
        .value_kind:     global_buffer
      - .offset:         96
        .size:           8
        .value_kind:     by_value
      - .address_space:  global
        .offset:         104
        .size:           8
        .value_kind:     global_buffer
      - .offset:         112
        .size:           4
        .value_kind:     by_value
      - .offset:         120
        .size:           4
        .value_kind:     hidden_block_count_x
      - .offset:         124
        .size:           4
        .value_kind:     hidden_block_count_y
      - .offset:         128
        .size:           4
        .value_kind:     hidden_block_count_z
      - .offset:         132
        .size:           2
        .value_kind:     hidden_group_size_x
      - .offset:         134
        .size:           2
        .value_kind:     hidden_group_size_y
      - .offset:         136
        .size:           2
        .value_kind:     hidden_group_size_z
      - .offset:         138
        .size:           2
        .value_kind:     hidden_remainder_x
      - .offset:         140
        .size:           2
        .value_kind:     hidden_remainder_y
      - .offset:         142
        .size:           2
        .value_kind:     hidden_remainder_z
      - .offset:         160
        .size:           8
        .value_kind:     hidden_global_offset_x
      - .offset:         168
        .size:           8
        .value_kind:     hidden_global_offset_y
      - .offset:         176
        .size:           8
        .value_kind:     hidden_global_offset_z
      - .offset:         184
        .size:           2
        .value_kind:     hidden_grid_dims
    .group_segment_fixed_size: 9600
    .kernarg_segment_align: 8
    .kernarg_segment_size: 376
    .language:       OpenCL C
    .language_version:
      - 2
      - 0
    .max_flat_workgroup_size: 256
    .name:           _ZL26rocblas_hemvn_kernel_lowerILb1ELi64ELi4ELi33ELi32ELi16EiPK19rocblas_complex_numIfEPKS3_PS1_EviT6_lT7_lT5_lS8_lS9_lS7_lT8_i
    .private_segment_fixed_size: 0
    .sgpr_count:     50
    .sgpr_spill_count: 0
    .symbol:         _ZL26rocblas_hemvn_kernel_lowerILb1ELi64ELi4ELi33ELi32ELi16EiPK19rocblas_complex_numIfEPKS3_PS1_EviT6_lT7_lT5_lS8_lS9_lS7_lT8_i.kd
    .uniform_work_group_size: 1
    .uses_dynamic_stack: false
    .vgpr_count:     118
    .vgpr_spill_count: 0
    .wavefront_size: 64
  - .agpr_count:     0
    .args:
      - .offset:         0
        .size:           4
        .value_kind:     by_value
      - .address_space:  global
        .offset:         8
        .size:           8
        .value_kind:     global_buffer
      - .offset:         16
        .size:           8
        .value_kind:     by_value
      - .address_space:  global
        .offset:         24
        .size:           8
        .value_kind:     global_buffer
      - .offset:         32
        .size:           8
        .value_kind:     by_value
      - .actual_access:  read_only
        .address_space:  global
        .offset:         40
        .size:           8
        .value_kind:     global_buffer
      - .offset:         48
        .size:           8
        .value_kind:     by_value
      - .offset:         56
        .size:           4
        .value_kind:     by_value
      - .offset:         64
        .size:           8
        .value_kind:     by_value
      - .actual_access:  read_only
        .address_space:  global
        .offset:         72
        .size:           8
        .value_kind:     global_buffer
      - .offset:         80
        .size:           4
        .value_kind:     by_value
      - .offset:         88
        .size:           4
        .value_kind:     hidden_block_count_x
      - .offset:         92
        .size:           4
        .value_kind:     hidden_block_count_y
      - .offset:         96
        .size:           4
        .value_kind:     hidden_block_count_z
      - .offset:         100
        .size:           2
        .value_kind:     hidden_group_size_x
      - .offset:         102
        .size:           2
        .value_kind:     hidden_group_size_y
      - .offset:         104
        .size:           2
        .value_kind:     hidden_group_size_z
      - .offset:         106
        .size:           2
        .value_kind:     hidden_remainder_x
      - .offset:         108
        .size:           2
        .value_kind:     hidden_remainder_y
      - .offset:         110
        .size:           2
        .value_kind:     hidden_remainder_z
      - .offset:         128
        .size:           8
        .value_kind:     hidden_global_offset_x
      - .offset:         136
        .size:           8
        .value_kind:     hidden_global_offset_y
      - .offset:         144
        .size:           8
        .value_kind:     hidden_global_offset_z
      - .offset:         152
        .size:           2
        .value_kind:     hidden_grid_dims
    .group_segment_fixed_size: 0
    .kernarg_segment_align: 8
    .kernarg_segment_size: 344
    .language:       OpenCL C
    .language_version:
      - 2
      - 0
    .max_flat_workgroup_size: 64
    .name:           _ZL36rocblas_hemvn_kernel_lower_block_sumILi64EiPK19rocblas_complex_numIfEPKPS1_S1_EviT1_lS7_lT2_lT0_lPT3_i
    .private_segment_fixed_size: 0
    .sgpr_count:     28
    .sgpr_spill_count: 0
    .symbol:         _ZL36rocblas_hemvn_kernel_lower_block_sumILi64EiPK19rocblas_complex_numIfEPKPS1_S1_EviT1_lS7_lT2_lT0_lPT3_i.kd
    .uniform_work_group_size: 1
    .uses_dynamic_stack: false
    .vgpr_count:     12
    .vgpr_spill_count: 0
    .wavefront_size: 64
  - .agpr_count:     0
    .args:
      - .offset:         0
        .size:           4
        .value_kind:     by_value
      - .offset:         4
        .size:           8
        .value_kind:     by_value
      - .offset:         16
        .size:           8
        .value_kind:     by_value
      - .address_space:  global
        .offset:         24
        .size:           8
        .value_kind:     global_buffer
      - .offset:         32
        .size:           8
        .value_kind:     by_value
      - .offset:         40
        .size:           8
        .value_kind:     by_value
      - .offset:         48
        .size:           8
        .value_kind:     by_value
      - .address_space:  global
        .offset:         56
        .size:           8
        .value_kind:     global_buffer
      - .offset:         64
        .size:           8
        .value_kind:     by_value
      - .offset:         72
        .size:           8
        .value_kind:     by_value
      - .offset:         80
        .size:           8
        .value_kind:     by_value
      - .offset:         88
        .size:           8
        .value_kind:     by_value
      - .offset:         96
        .size:           8
        .value_kind:     by_value
      - .address_space:  global
        .offset:         104
        .size:           8
        .value_kind:     global_buffer
      - .offset:         112
        .size:           4
        .value_kind:     by_value
      - .offset:         120
        .size:           4
        .value_kind:     hidden_block_count_x
      - .offset:         124
        .size:           4
        .value_kind:     hidden_block_count_y
      - .offset:         128
        .size:           4
        .value_kind:     hidden_block_count_z
      - .offset:         132
        .size:           2
        .value_kind:     hidden_group_size_x
      - .offset:         134
        .size:           2
        .value_kind:     hidden_group_size_y
      - .offset:         136
        .size:           2
        .value_kind:     hidden_group_size_z
      - .offset:         138
        .size:           2
        .value_kind:     hidden_remainder_x
      - .offset:         140
        .size:           2
        .value_kind:     hidden_remainder_y
      - .offset:         142
        .size:           2
        .value_kind:     hidden_remainder_z
      - .offset:         160
        .size:           8
        .value_kind:     hidden_global_offset_x
      - .offset:         168
        .size:           8
        .value_kind:     hidden_global_offset_y
      - .offset:         176
        .size:           8
        .value_kind:     hidden_global_offset_z
      - .offset:         184
        .size:           2
        .value_kind:     hidden_grid_dims
    .group_segment_fixed_size: 9600
    .kernarg_segment_align: 8
    .kernarg_segment_size: 376
    .language:       OpenCL C
    .language_version:
      - 2
      - 0
    .max_flat_workgroup_size: 256
    .name:           _ZL26rocblas_hemvn_kernel_lowerILb1ELi64ELi4ELi33ELi32ELi16El19rocblas_complex_numIfEPKPKS1_PS1_EviT6_lT7_lT5_lS8_lS9_lS7_lT8_i
    .private_segment_fixed_size: 0
    .sgpr_count:     50
    .sgpr_spill_count: 0
    .symbol:         _ZL26rocblas_hemvn_kernel_lowerILb1ELi64ELi4ELi33ELi32ELi16El19rocblas_complex_numIfEPKPKS1_PS1_EviT6_lT7_lT5_lS8_lS9_lS7_lT8_i.kd
    .uniform_work_group_size: 1
    .uses_dynamic_stack: false
    .vgpr_count:     120
    .vgpr_spill_count: 0
    .wavefront_size: 64
  - .agpr_count:     0
    .args:
      - .offset:         0
        .size:           4
        .value_kind:     by_value
      - .offset:         4
        .size:           8
        .value_kind:     by_value
      - .offset:         16
        .size:           8
        .value_kind:     by_value
      - .offset:         24
        .size:           8
        .value_kind:     by_value
      - .offset:         32
        .size:           8
        .value_kind:     by_value
      - .actual_access:  read_only
        .address_space:  global
        .offset:         40
        .size:           8
        .value_kind:     global_buffer
      - .offset:         48
        .size:           8
        .value_kind:     by_value
      - .offset:         56
        .size:           8
        .value_kind:     by_value
      - .offset:         64
        .size:           8
        .value_kind:     by_value
      - .actual_access:  read_only
        .address_space:  global
        .offset:         72
        .size:           8
        .value_kind:     global_buffer
      - .offset:         80
        .size:           4
        .value_kind:     by_value
      - .offset:         88
        .size:           4
        .value_kind:     hidden_block_count_x
      - .offset:         92
        .size:           4
        .value_kind:     hidden_block_count_y
      - .offset:         96
        .size:           4
        .value_kind:     hidden_block_count_z
      - .offset:         100
        .size:           2
        .value_kind:     hidden_group_size_x
      - .offset:         102
        .size:           2
        .value_kind:     hidden_group_size_y
      - .offset:         104
        .size:           2
        .value_kind:     hidden_group_size_z
      - .offset:         106
        .size:           2
        .value_kind:     hidden_remainder_x
      - .offset:         108
        .size:           2
        .value_kind:     hidden_remainder_y
      - .offset:         110
        .size:           2
        .value_kind:     hidden_remainder_z
      - .offset:         128
        .size:           8
        .value_kind:     hidden_global_offset_x
      - .offset:         136
        .size:           8
        .value_kind:     hidden_global_offset_y
      - .offset:         144
        .size:           8
        .value_kind:     hidden_global_offset_z
      - .offset:         152
        .size:           2
        .value_kind:     hidden_grid_dims
    .group_segment_fixed_size: 0
    .kernarg_segment_align: 8
    .kernarg_segment_size: 344
    .language:       OpenCL C
    .language_version:
      - 2
      - 0
    .max_flat_workgroup_size: 64
    .name:           _ZL36rocblas_hemvn_kernel_lower_block_sumILi64El19rocblas_complex_numIfEPKPS1_S1_EviT1_lS5_lT2_lT0_lPT3_i
    .private_segment_fixed_size: 0
    .sgpr_count:     26
    .sgpr_spill_count: 0
    .symbol:         _ZL36rocblas_hemvn_kernel_lower_block_sumILi64El19rocblas_complex_numIfEPKPS1_S1_EviT1_lS5_lT2_lT0_lPT3_i.kd
    .uniform_work_group_size: 1
    .uses_dynamic_stack: false
    .vgpr_count:     14
    .vgpr_spill_count: 0
    .wavefront_size: 64
  - .agpr_count:     0
    .args:
      - .offset:         0
        .size:           4
        .value_kind:     by_value
      - .offset:         4
        .size:           8
        .value_kind:     by_value
      - .offset:         16
        .size:           8
        .value_kind:     by_value
      - .address_space:  global
        .offset:         24
        .size:           8
        .value_kind:     global_buffer
      - .offset:         32
        .size:           8
        .value_kind:     by_value
      - .offset:         40
        .size:           4
        .value_kind:     by_value
      - .offset:         48
        .size:           8
        .value_kind:     by_value
      - .address_space:  global
        .offset:         56
        .size:           8
        .value_kind:     global_buffer
      - .offset:         64
        .size:           8
        .value_kind:     by_value
      - .offset:         72
        .size:           4
        .value_kind:     by_value
      - .offset:         80
        .size:           8
        .value_kind:     by_value
      - .offset:         88
        .size:           8
        .value_kind:     by_value
      - .offset:         96
        .size:           8
        .value_kind:     by_value
      - .address_space:  global
        .offset:         104
        .size:           8
        .value_kind:     global_buffer
      - .offset:         112
        .size:           4
        .value_kind:     by_value
      - .offset:         120
        .size:           4
        .value_kind:     hidden_block_count_x
      - .offset:         124
        .size:           4
        .value_kind:     hidden_block_count_y
      - .offset:         128
        .size:           4
        .value_kind:     hidden_block_count_z
      - .offset:         132
        .size:           2
        .value_kind:     hidden_group_size_x
      - .offset:         134
        .size:           2
        .value_kind:     hidden_group_size_y
      - .offset:         136
        .size:           2
        .value_kind:     hidden_group_size_z
      - .offset:         138
        .size:           2
        .value_kind:     hidden_remainder_x
      - .offset:         140
        .size:           2
        .value_kind:     hidden_remainder_y
      - .offset:         142
        .size:           2
        .value_kind:     hidden_remainder_z
      - .offset:         160
        .size:           8
        .value_kind:     hidden_global_offset_x
      - .offset:         168
        .size:           8
        .value_kind:     hidden_global_offset_y
      - .offset:         176
        .size:           8
        .value_kind:     hidden_global_offset_z
      - .offset:         184
        .size:           2
        .value_kind:     hidden_grid_dims
    .group_segment_fixed_size: 9600
    .kernarg_segment_align: 8
    .kernarg_segment_size: 376
    .language:       OpenCL C
    .language_version:
      - 2
      - 0
    .max_flat_workgroup_size: 256
    .name:           _ZL26rocblas_hemvn_kernel_lowerILb1ELi64ELi4ELi33ELi32ELi16Ei19rocblas_complex_numIfEPKPKS1_PS1_EviT6_lT7_lT5_lS8_lS9_lS7_lT8_i
    .private_segment_fixed_size: 0
    .sgpr_count:     50
    .sgpr_spill_count: 0
    .symbol:         _ZL26rocblas_hemvn_kernel_lowerILb1ELi64ELi4ELi33ELi32ELi16Ei19rocblas_complex_numIfEPKPKS1_PS1_EviT6_lT7_lT5_lS8_lS9_lS7_lT8_i.kd
    .uniform_work_group_size: 1
    .uses_dynamic_stack: false
    .vgpr_count:     118
    .vgpr_spill_count: 0
    .wavefront_size: 64
  - .agpr_count:     0
    .args:
      - .offset:         0
        .size:           4
        .value_kind:     by_value
      - .offset:         4
        .size:           8
        .value_kind:     by_value
      - .offset:         16
        .size:           8
        .value_kind:     by_value
      - .offset:         24
        .size:           8
        .value_kind:     by_value
      - .offset:         32
        .size:           8
        .value_kind:     by_value
      - .actual_access:  read_only
        .address_space:  global
        .offset:         40
        .size:           8
        .value_kind:     global_buffer
      - .offset:         48
        .size:           8
        .value_kind:     by_value
      - .offset:         56
        .size:           4
        .value_kind:     by_value
      - .offset:         64
        .size:           8
        .value_kind:     by_value
      - .actual_access:  read_only
        .address_space:  global
        .offset:         72
        .size:           8
        .value_kind:     global_buffer
      - .offset:         80
        .size:           4
        .value_kind:     by_value
      - .offset:         88
        .size:           4
        .value_kind:     hidden_block_count_x
      - .offset:         92
        .size:           4
        .value_kind:     hidden_block_count_y
      - .offset:         96
        .size:           4
        .value_kind:     hidden_block_count_z
      - .offset:         100
        .size:           2
        .value_kind:     hidden_group_size_x
      - .offset:         102
        .size:           2
        .value_kind:     hidden_group_size_y
      - .offset:         104
        .size:           2
        .value_kind:     hidden_group_size_z
      - .offset:         106
        .size:           2
        .value_kind:     hidden_remainder_x
      - .offset:         108
        .size:           2
        .value_kind:     hidden_remainder_y
      - .offset:         110
        .size:           2
        .value_kind:     hidden_remainder_z
      - .offset:         128
        .size:           8
        .value_kind:     hidden_global_offset_x
      - .offset:         136
        .size:           8
        .value_kind:     hidden_global_offset_y
      - .offset:         144
        .size:           8
        .value_kind:     hidden_global_offset_z
      - .offset:         152
        .size:           2
        .value_kind:     hidden_grid_dims
    .group_segment_fixed_size: 0
    .kernarg_segment_align: 8
    .kernarg_segment_size: 344
    .language:       OpenCL C
    .language_version:
      - 2
      - 0
    .max_flat_workgroup_size: 64
    .name:           _ZL36rocblas_hemvn_kernel_lower_block_sumILi64Ei19rocblas_complex_numIfEPKPS1_S1_EviT1_lS5_lT2_lT0_lPT3_i
    .private_segment_fixed_size: 0
    .sgpr_count:     28
    .sgpr_spill_count: 0
    .symbol:         _ZL36rocblas_hemvn_kernel_lower_block_sumILi64Ei19rocblas_complex_numIfEPKPS1_S1_EviT1_lS5_lT2_lT0_lPT3_i.kd
    .uniform_work_group_size: 1
    .uses_dynamic_stack: false
    .vgpr_count:     12
    .vgpr_spill_count: 0
    .wavefront_size: 64
  - .agpr_count:     0
    .args:
      - .offset:         0
        .size:           4
        .value_kind:     by_value
      - .address_space:  global
        .offset:         8
        .size:           8
        .value_kind:     global_buffer
      - .offset:         16
        .size:           8
        .value_kind:     by_value
      - .address_space:  global
        .offset:         24
        .size:           8
        .value_kind:     global_buffer
      - .offset:         32
        .size:           8
        .value_kind:     by_value
      - .offset:         40
        .size:           8
        .value_kind:     by_value
      - .offset:         48
        .size:           8
        .value_kind:     by_value
      - .address_space:  global
        .offset:         56
        .size:           8
        .value_kind:     global_buffer
      - .offset:         64
        .size:           8
        .value_kind:     by_value
      - .offset:         72
        .size:           8
        .value_kind:     by_value
      - .offset:         80
        .size:           8
        .value_kind:     by_value
      - .address_space:  global
        .offset:         88
        .size:           8
        .value_kind:     global_buffer
      - .offset:         96
        .size:           8
        .value_kind:     by_value
      - .address_space:  global
        .offset:         104
        .size:           8
        .value_kind:     global_buffer
      - .offset:         112
        .size:           4
        .value_kind:     by_value
      - .offset:         120
        .size:           4
        .value_kind:     hidden_block_count_x
      - .offset:         124
        .size:           4
        .value_kind:     hidden_block_count_y
      - .offset:         128
        .size:           4
        .value_kind:     hidden_block_count_z
      - .offset:         132
        .size:           2
        .value_kind:     hidden_group_size_x
      - .offset:         134
        .size:           2
        .value_kind:     hidden_group_size_y
      - .offset:         136
        .size:           2
        .value_kind:     hidden_group_size_z
      - .offset:         138
        .size:           2
        .value_kind:     hidden_remainder_x
      - .offset:         140
        .size:           2
        .value_kind:     hidden_remainder_y
      - .offset:         142
        .size:           2
        .value_kind:     hidden_remainder_z
      - .offset:         160
        .size:           8
        .value_kind:     hidden_global_offset_x
      - .offset:         168
        .size:           8
        .value_kind:     hidden_global_offset_y
      - .offset:         176
        .size:           8
        .value_kind:     hidden_global_offset_z
      - .offset:         184
        .size:           2
        .value_kind:     hidden_grid_dims
    .group_segment_fixed_size: 19200
    .kernarg_segment_align: 8
    .kernarg_segment_size: 376
    .language:       OpenCL C
    .language_version:
      - 2
      - 0
    .max_flat_workgroup_size: 256
    .name:           _ZL26rocblas_hemvn_kernel_upperILb1ELi64ELi4ELi33ELi32ELi16ElPK19rocblas_complex_numIdEPKS3_PS1_EviT6_lT7_lT5_lS8_lS9_lS7_lT8_i
    .private_segment_fixed_size: 0
    .sgpr_count:     46
    .sgpr_spill_count: 0
    .symbol:         _ZL26rocblas_hemvn_kernel_upperILb1ELi64ELi4ELi33ELi32ELi16ElPK19rocblas_complex_numIdEPKS3_PS1_EviT6_lT7_lT5_lS8_lS9_lS7_lT8_i.kd
    .uniform_work_group_size: 1
    .uses_dynamic_stack: false
    .vgpr_count:     230
    .vgpr_spill_count: 0
    .wavefront_size: 64
  - .agpr_count:     0
    .args:
      - .offset:         0
        .size:           4
        .value_kind:     by_value
      - .address_space:  global
        .offset:         8
        .size:           8
        .value_kind:     global_buffer
      - .offset:         16
        .size:           8
        .value_kind:     by_value
      - .address_space:  global
        .offset:         24
        .size:           8
        .value_kind:     global_buffer
      - .offset:         32
        .size:           8
        .value_kind:     by_value
      - .actual_access:  read_only
        .address_space:  global
        .offset:         40
        .size:           8
        .value_kind:     global_buffer
      - .offset:         48
        .size:           8
        .value_kind:     by_value
      - .offset:         56
        .size:           8
        .value_kind:     by_value
      - .offset:         64
        .size:           8
        .value_kind:     by_value
      - .address_space:  global
        .offset:         72
        .size:           8
        .value_kind:     global_buffer
      - .offset:         80
        .size:           4
        .value_kind:     by_value
      - .offset:         88
        .size:           4
        .value_kind:     hidden_block_count_x
      - .offset:         92
        .size:           4
        .value_kind:     hidden_block_count_y
      - .offset:         96
        .size:           4
        .value_kind:     hidden_block_count_z
      - .offset:         100
        .size:           2
        .value_kind:     hidden_group_size_x
      - .offset:         102
        .size:           2
        .value_kind:     hidden_group_size_y
      - .offset:         104
        .size:           2
        .value_kind:     hidden_group_size_z
      - .offset:         106
        .size:           2
        .value_kind:     hidden_remainder_x
      - .offset:         108
        .size:           2
        .value_kind:     hidden_remainder_y
      - .offset:         110
        .size:           2
        .value_kind:     hidden_remainder_z
      - .offset:         128
        .size:           8
        .value_kind:     hidden_global_offset_x
      - .offset:         136
        .size:           8
        .value_kind:     hidden_global_offset_y
      - .offset:         144
        .size:           8
        .value_kind:     hidden_global_offset_z
      - .offset:         152
        .size:           2
        .value_kind:     hidden_grid_dims
    .group_segment_fixed_size: 0
    .kernarg_segment_align: 8
    .kernarg_segment_size: 344
    .language:       OpenCL C
    .language_version:
      - 2
      - 0
    .max_flat_workgroup_size: 64
    .name:           _ZL36rocblas_hemvn_kernel_upper_block_sumILi64ElPK19rocblas_complex_numIdEPKPS1_S1_EviT1_lS7_lT2_lT0_lPT3_i
    .private_segment_fixed_size: 0
    .sgpr_count:     32
    .sgpr_spill_count: 0
    .symbol:         _ZL36rocblas_hemvn_kernel_upper_block_sumILi64ElPK19rocblas_complex_numIdEPKPS1_S1_EviT1_lS7_lT2_lT0_lPT3_i.kd
    .uniform_work_group_size: 1
    .uses_dynamic_stack: false
    .vgpr_count:     14
    .vgpr_spill_count: 0
    .wavefront_size: 64
  - .agpr_count:     0
    .args:
      - .offset:         0
        .size:           4
        .value_kind:     by_value
      - .address_space:  global
        .offset:         8
        .size:           8
        .value_kind:     global_buffer
      - .offset:         16
        .size:           8
        .value_kind:     by_value
      - .address_space:  global
        .offset:         24
        .size:           8
        .value_kind:     global_buffer
      - .offset:         32
        .size:           8
        .value_kind:     by_value
      - .offset:         40
        .size:           4
        .value_kind:     by_value
      - .offset:         48
        .size:           8
        .value_kind:     by_value
      - .address_space:  global
        .offset:         56
        .size:           8
        .value_kind:     global_buffer
      - .offset:         64
        .size:           8
        .value_kind:     by_value
      - .offset:         72
        .size:           4
        .value_kind:     by_value
      - .offset:         80
        .size:           8
        .value_kind:     by_value
      - .address_space:  global
        .offset:         88
        .size:           8
        .value_kind:     global_buffer
      - .offset:         96
        .size:           8
        .value_kind:     by_value
      - .address_space:  global
        .offset:         104
        .size:           8
        .value_kind:     global_buffer
      - .offset:         112
        .size:           4
        .value_kind:     by_value
      - .offset:         120
        .size:           4
        .value_kind:     hidden_block_count_x
      - .offset:         124
        .size:           4
        .value_kind:     hidden_block_count_y
      - .offset:         128
        .size:           4
        .value_kind:     hidden_block_count_z
      - .offset:         132
        .size:           2
        .value_kind:     hidden_group_size_x
      - .offset:         134
        .size:           2
        .value_kind:     hidden_group_size_y
      - .offset:         136
        .size:           2
        .value_kind:     hidden_group_size_z
      - .offset:         138
        .size:           2
        .value_kind:     hidden_remainder_x
      - .offset:         140
        .size:           2
        .value_kind:     hidden_remainder_y
      - .offset:         142
        .size:           2
        .value_kind:     hidden_remainder_z
      - .offset:         160
        .size:           8
        .value_kind:     hidden_global_offset_x
      - .offset:         168
        .size:           8
        .value_kind:     hidden_global_offset_y
      - .offset:         176
        .size:           8
        .value_kind:     hidden_global_offset_z
      - .offset:         184
        .size:           2
        .value_kind:     hidden_grid_dims
    .group_segment_fixed_size: 19200
    .kernarg_segment_align: 8
    .kernarg_segment_size: 376
    .language:       OpenCL C
    .language_version:
      - 2
      - 0
    .max_flat_workgroup_size: 256
    .name:           _ZL26rocblas_hemvn_kernel_upperILb1ELi64ELi4ELi33ELi32ELi16EiPK19rocblas_complex_numIdEPKS3_PS1_EviT6_lT7_lT5_lS8_lS9_lS7_lT8_i
    .private_segment_fixed_size: 0
    .sgpr_count:     48
    .sgpr_spill_count: 0
    .symbol:         _ZL26rocblas_hemvn_kernel_upperILb1ELi64ELi4ELi33ELi32ELi16EiPK19rocblas_complex_numIdEPKS3_PS1_EviT6_lT7_lT5_lS8_lS9_lS7_lT8_i.kd
    .uniform_work_group_size: 1
    .uses_dynamic_stack: false
    .vgpr_count:     240
    .vgpr_spill_count: 0
    .wavefront_size: 64
  - .agpr_count:     0
    .args:
      - .offset:         0
        .size:           4
        .value_kind:     by_value
      - .address_space:  global
        .offset:         8
        .size:           8
        .value_kind:     global_buffer
      - .offset:         16
        .size:           8
        .value_kind:     by_value
      - .address_space:  global
        .offset:         24
        .size:           8
        .value_kind:     global_buffer
      - .offset:         32
        .size:           8
        .value_kind:     by_value
      - .actual_access:  read_only
        .address_space:  global
        .offset:         40
        .size:           8
        .value_kind:     global_buffer
      - .offset:         48
        .size:           8
        .value_kind:     by_value
      - .offset:         56
        .size:           4
        .value_kind:     by_value
      - .offset:         64
        .size:           8
        .value_kind:     by_value
      - .address_space:  global
        .offset:         72
        .size:           8
        .value_kind:     global_buffer
      - .offset:         80
        .size:           4
        .value_kind:     by_value
      - .offset:         88
        .size:           4
        .value_kind:     hidden_block_count_x
      - .offset:         92
        .size:           4
        .value_kind:     hidden_block_count_y
      - .offset:         96
        .size:           4
        .value_kind:     hidden_block_count_z
      - .offset:         100
        .size:           2
        .value_kind:     hidden_group_size_x
      - .offset:         102
        .size:           2
        .value_kind:     hidden_group_size_y
      - .offset:         104
        .size:           2
        .value_kind:     hidden_group_size_z
      - .offset:         106
        .size:           2
        .value_kind:     hidden_remainder_x
      - .offset:         108
        .size:           2
        .value_kind:     hidden_remainder_y
      - .offset:         110
        .size:           2
        .value_kind:     hidden_remainder_z
      - .offset:         128
        .size:           8
        .value_kind:     hidden_global_offset_x
      - .offset:         136
        .size:           8
        .value_kind:     hidden_global_offset_y
      - .offset:         144
        .size:           8
        .value_kind:     hidden_global_offset_z
      - .offset:         152
        .size:           2
        .value_kind:     hidden_grid_dims
    .group_segment_fixed_size: 0
    .kernarg_segment_align: 8
    .kernarg_segment_size: 344
    .language:       OpenCL C
    .language_version:
      - 2
      - 0
    .max_flat_workgroup_size: 64
    .name:           _ZL36rocblas_hemvn_kernel_upper_block_sumILi64EiPK19rocblas_complex_numIdEPKPS1_S1_EviT1_lS7_lT2_lT0_lPT3_i
    .private_segment_fixed_size: 0
    .sgpr_count:     32
    .sgpr_spill_count: 0
    .symbol:         _ZL36rocblas_hemvn_kernel_upper_block_sumILi64EiPK19rocblas_complex_numIdEPKPS1_S1_EviT1_lS7_lT2_lT0_lPT3_i.kd
    .uniform_work_group_size: 1
    .uses_dynamic_stack: false
    .vgpr_count:     14
    .vgpr_spill_count: 0
    .wavefront_size: 64
  - .agpr_count:     0
    .args:
      - .offset:         0
        .size:           4
        .value_kind:     by_value
      - .offset:         8
        .size:           16
        .value_kind:     by_value
      - .offset:         24
        .size:           8
        .value_kind:     by_value
      - .address_space:  global
        .offset:         32
        .size:           8
        .value_kind:     global_buffer
      - .offset:         40
        .size:           8
        .value_kind:     by_value
      - .offset:         48
        .size:           8
        .value_kind:     by_value
      - .offset:         56
        .size:           8
        .value_kind:     by_value
      - .address_space:  global
        .offset:         64
        .size:           8
        .value_kind:     global_buffer
      - .offset:         72
        .size:           8
        .value_kind:     by_value
      - .offset:         80
        .size:           8
        .value_kind:     by_value
      - .offset:         88
        .size:           8
        .value_kind:     by_value
      - .offset:         96
        .size:           16
        .value_kind:     by_value
      - .offset:         112
        .size:           8
        .value_kind:     by_value
      - .address_space:  global
        .offset:         120
        .size:           8
        .value_kind:     global_buffer
      - .offset:         128
        .size:           4
        .value_kind:     by_value
      - .offset:         136
        .size:           4
        .value_kind:     hidden_block_count_x
      - .offset:         140
        .size:           4
        .value_kind:     hidden_block_count_y
      - .offset:         144
        .size:           4
        .value_kind:     hidden_block_count_z
      - .offset:         148
        .size:           2
        .value_kind:     hidden_group_size_x
      - .offset:         150
        .size:           2
        .value_kind:     hidden_group_size_y
      - .offset:         152
        .size:           2
        .value_kind:     hidden_group_size_z
      - .offset:         154
        .size:           2
        .value_kind:     hidden_remainder_x
      - .offset:         156
        .size:           2
        .value_kind:     hidden_remainder_y
      - .offset:         158
        .size:           2
        .value_kind:     hidden_remainder_z
      - .offset:         176
        .size:           8
        .value_kind:     hidden_global_offset_x
      - .offset:         184
        .size:           8
        .value_kind:     hidden_global_offset_y
      - .offset:         192
        .size:           8
        .value_kind:     hidden_global_offset_z
      - .offset:         200
        .size:           2
        .value_kind:     hidden_grid_dims
    .group_segment_fixed_size: 19200
    .kernarg_segment_align: 8
    .kernarg_segment_size: 392
    .language:       OpenCL C
    .language_version:
      - 2
      - 0
    .max_flat_workgroup_size: 256
    .name:           _ZL26rocblas_hemvn_kernel_upperILb1ELi64ELi4ELi33ELi32ELi16El19rocblas_complex_numIdEPKPKS1_PS1_EviT6_lT7_lT5_lS8_lS9_lS7_lT8_i
    .private_segment_fixed_size: 0
    .sgpr_count:     46
    .sgpr_spill_count: 0
    .symbol:         _ZL26rocblas_hemvn_kernel_upperILb1ELi64ELi4ELi33ELi32ELi16El19rocblas_complex_numIdEPKPKS1_PS1_EviT6_lT7_lT5_lS8_lS9_lS7_lT8_i.kd
    .uniform_work_group_size: 1
    .uses_dynamic_stack: false
    .vgpr_count:     230
    .vgpr_spill_count: 0
    .wavefront_size: 64
  - .agpr_count:     0
    .args:
      - .offset:         0
        .size:           4
        .value_kind:     by_value
      - .offset:         8
        .size:           16
        .value_kind:     by_value
      - .offset:         24
        .size:           8
        .value_kind:     by_value
      - .offset:         32
        .size:           16
        .value_kind:     by_value
      - .offset:         48
        .size:           8
        .value_kind:     by_value
      - .actual_access:  read_only
        .address_space:  global
        .offset:         56
        .size:           8
        .value_kind:     global_buffer
      - .offset:         64
        .size:           8
        .value_kind:     by_value
      - .offset:         72
        .size:           8
        .value_kind:     by_value
      - .offset:         80
        .size:           8
        .value_kind:     by_value
      - .address_space:  global
        .offset:         88
        .size:           8
        .value_kind:     global_buffer
      - .offset:         96
        .size:           4
        .value_kind:     by_value
      - .offset:         104
        .size:           4
        .value_kind:     hidden_block_count_x
      - .offset:         108
        .size:           4
        .value_kind:     hidden_block_count_y
      - .offset:         112
        .size:           4
        .value_kind:     hidden_block_count_z
      - .offset:         116
        .size:           2
        .value_kind:     hidden_group_size_x
      - .offset:         118
        .size:           2
        .value_kind:     hidden_group_size_y
      - .offset:         120
        .size:           2
        .value_kind:     hidden_group_size_z
      - .offset:         122
        .size:           2
        .value_kind:     hidden_remainder_x
      - .offset:         124
        .size:           2
        .value_kind:     hidden_remainder_y
      - .offset:         126
        .size:           2
        .value_kind:     hidden_remainder_z
      - .offset:         144
        .size:           8
        .value_kind:     hidden_global_offset_x
      - .offset:         152
        .size:           8
        .value_kind:     hidden_global_offset_y
      - .offset:         160
        .size:           8
        .value_kind:     hidden_global_offset_z
      - .offset:         168
        .size:           2
        .value_kind:     hidden_grid_dims
    .group_segment_fixed_size: 0
    .kernarg_segment_align: 8
    .kernarg_segment_size: 360
    .language:       OpenCL C
    .language_version:
      - 2
      - 0
    .max_flat_workgroup_size: 64
    .name:           _ZL36rocblas_hemvn_kernel_upper_block_sumILi64El19rocblas_complex_numIdEPKPS1_S1_EviT1_lS5_lT2_lT0_lPT3_i
    .private_segment_fixed_size: 0
    .sgpr_count:     32
    .sgpr_spill_count: 0
    .symbol:         _ZL36rocblas_hemvn_kernel_upper_block_sumILi64El19rocblas_complex_numIdEPKPS1_S1_EviT1_lS5_lT2_lT0_lPT3_i.kd
    .uniform_work_group_size: 1
    .uses_dynamic_stack: false
    .vgpr_count:     14
    .vgpr_spill_count: 0
    .wavefront_size: 64
  - .agpr_count:     0
    .args:
      - .offset:         0
        .size:           4
        .value_kind:     by_value
      - .offset:         8
        .size:           16
        .value_kind:     by_value
      - .offset:         24
        .size:           8
        .value_kind:     by_value
      - .address_space:  global
        .offset:         32
        .size:           8
        .value_kind:     global_buffer
      - .offset:         40
        .size:           8
        .value_kind:     by_value
      - .offset:         48
        .size:           4
        .value_kind:     by_value
      - .offset:         56
        .size:           8
        .value_kind:     by_value
      - .address_space:  global
        .offset:         64
        .size:           8
        .value_kind:     global_buffer
      - .offset:         72
        .size:           8
        .value_kind:     by_value
      - .offset:         80
        .size:           4
        .value_kind:     by_value
      - .offset:         88
        .size:           8
        .value_kind:     by_value
      - .offset:         96
        .size:           16
        .value_kind:     by_value
      - .offset:         112
        .size:           8
        .value_kind:     by_value
      - .address_space:  global
        .offset:         120
        .size:           8
        .value_kind:     global_buffer
      - .offset:         128
        .size:           4
        .value_kind:     by_value
      - .offset:         136
        .size:           4
        .value_kind:     hidden_block_count_x
      - .offset:         140
        .size:           4
        .value_kind:     hidden_block_count_y
      - .offset:         144
        .size:           4
        .value_kind:     hidden_block_count_z
      - .offset:         148
        .size:           2
        .value_kind:     hidden_group_size_x
      - .offset:         150
        .size:           2
        .value_kind:     hidden_group_size_y
      - .offset:         152
        .size:           2
        .value_kind:     hidden_group_size_z
      - .offset:         154
        .size:           2
        .value_kind:     hidden_remainder_x
      - .offset:         156
        .size:           2
        .value_kind:     hidden_remainder_y
      - .offset:         158
        .size:           2
        .value_kind:     hidden_remainder_z
      - .offset:         176
        .size:           8
        .value_kind:     hidden_global_offset_x
      - .offset:         184
        .size:           8
        .value_kind:     hidden_global_offset_y
      - .offset:         192
        .size:           8
        .value_kind:     hidden_global_offset_z
      - .offset:         200
        .size:           2
        .value_kind:     hidden_grid_dims
    .group_segment_fixed_size: 19200
    .kernarg_segment_align: 8
    .kernarg_segment_size: 392
    .language:       OpenCL C
    .language_version:
      - 2
      - 0
    .max_flat_workgroup_size: 256
    .name:           _ZL26rocblas_hemvn_kernel_upperILb1ELi64ELi4ELi33ELi32ELi16Ei19rocblas_complex_numIdEPKPKS1_PS1_EviT6_lT7_lT5_lS8_lS9_lS7_lT8_i
    .private_segment_fixed_size: 0
    .sgpr_count:     48
    .sgpr_spill_count: 0
    .symbol:         _ZL26rocblas_hemvn_kernel_upperILb1ELi64ELi4ELi33ELi32ELi16Ei19rocblas_complex_numIdEPKPKS1_PS1_EviT6_lT7_lT5_lS8_lS9_lS7_lT8_i.kd
    .uniform_work_group_size: 1
    .uses_dynamic_stack: false
    .vgpr_count:     240
    .vgpr_spill_count: 0
    .wavefront_size: 64
  - .agpr_count:     0
    .args:
      - .offset:         0
        .size:           4
        .value_kind:     by_value
      - .offset:         8
        .size:           16
        .value_kind:     by_value
      - .offset:         24
        .size:           8
        .value_kind:     by_value
      - .offset:         32
        .size:           16
        .value_kind:     by_value
      - .offset:         48
        .size:           8
        .value_kind:     by_value
      - .actual_access:  read_only
        .address_space:  global
        .offset:         56
        .size:           8
        .value_kind:     global_buffer
      - .offset:         64
        .size:           8
        .value_kind:     by_value
      - .offset:         72
        .size:           4
        .value_kind:     by_value
      - .offset:         80
        .size:           8
        .value_kind:     by_value
      - .address_space:  global
        .offset:         88
        .size:           8
        .value_kind:     global_buffer
      - .offset:         96
        .size:           4
        .value_kind:     by_value
      - .offset:         104
        .size:           4
        .value_kind:     hidden_block_count_x
      - .offset:         108
        .size:           4
        .value_kind:     hidden_block_count_y
      - .offset:         112
        .size:           4
        .value_kind:     hidden_block_count_z
      - .offset:         116
        .size:           2
        .value_kind:     hidden_group_size_x
      - .offset:         118
        .size:           2
        .value_kind:     hidden_group_size_y
      - .offset:         120
        .size:           2
        .value_kind:     hidden_group_size_z
      - .offset:         122
        .size:           2
        .value_kind:     hidden_remainder_x
      - .offset:         124
        .size:           2
        .value_kind:     hidden_remainder_y
      - .offset:         126
        .size:           2
        .value_kind:     hidden_remainder_z
      - .offset:         144
        .size:           8
        .value_kind:     hidden_global_offset_x
      - .offset:         152
        .size:           8
        .value_kind:     hidden_global_offset_y
      - .offset:         160
        .size:           8
        .value_kind:     hidden_global_offset_z
      - .offset:         168
        .size:           2
        .value_kind:     hidden_grid_dims
    .group_segment_fixed_size: 0
    .kernarg_segment_align: 8
    .kernarg_segment_size: 360
    .language:       OpenCL C
    .language_version:
      - 2
      - 0
    .max_flat_workgroup_size: 64
    .name:           _ZL36rocblas_hemvn_kernel_upper_block_sumILi64Ei19rocblas_complex_numIdEPKPS1_S1_EviT1_lS5_lT2_lT0_lPT3_i
    .private_segment_fixed_size: 0
    .sgpr_count:     29
    .sgpr_spill_count: 0
    .symbol:         _ZL36rocblas_hemvn_kernel_upper_block_sumILi64Ei19rocblas_complex_numIdEPKPS1_S1_EviT1_lS5_lT2_lT0_lPT3_i.kd
    .uniform_work_group_size: 1
    .uses_dynamic_stack: false
    .vgpr_count:     14
    .vgpr_spill_count: 0
    .wavefront_size: 64
  - .agpr_count:     0
    .args:
      - .offset:         0
        .size:           4
        .value_kind:     by_value
      - .address_space:  global
        .offset:         8
        .size:           8
        .value_kind:     global_buffer
      - .offset:         16
        .size:           8
        .value_kind:     by_value
      - .address_space:  global
        .offset:         24
        .size:           8
        .value_kind:     global_buffer
      - .offset:         32
        .size:           8
        .value_kind:     by_value
      - .offset:         40
        .size:           8
        .value_kind:     by_value
      - .offset:         48
        .size:           8
        .value_kind:     by_value
      - .address_space:  global
        .offset:         56
        .size:           8
        .value_kind:     global_buffer
      - .offset:         64
        .size:           8
        .value_kind:     by_value
      - .offset:         72
        .size:           8
        .value_kind:     by_value
      - .offset:         80
        .size:           8
        .value_kind:     by_value
      - .address_space:  global
        .offset:         88
        .size:           8
        .value_kind:     global_buffer
      - .offset:         96
        .size:           8
        .value_kind:     by_value
      - .address_space:  global
        .offset:         104
        .size:           8
        .value_kind:     global_buffer
      - .offset:         112
        .size:           4
        .value_kind:     by_value
      - .offset:         120
        .size:           4
        .value_kind:     hidden_block_count_x
      - .offset:         124
        .size:           4
        .value_kind:     hidden_block_count_y
      - .offset:         128
        .size:           4
        .value_kind:     hidden_block_count_z
      - .offset:         132
        .size:           2
        .value_kind:     hidden_group_size_x
      - .offset:         134
        .size:           2
        .value_kind:     hidden_group_size_y
      - .offset:         136
        .size:           2
        .value_kind:     hidden_group_size_z
      - .offset:         138
        .size:           2
        .value_kind:     hidden_remainder_x
      - .offset:         140
        .size:           2
        .value_kind:     hidden_remainder_y
      - .offset:         142
        .size:           2
        .value_kind:     hidden_remainder_z
      - .offset:         160
        .size:           8
        .value_kind:     hidden_global_offset_x
      - .offset:         168
        .size:           8
        .value_kind:     hidden_global_offset_y
      - .offset:         176
        .size:           8
        .value_kind:     hidden_global_offset_z
      - .offset:         184
        .size:           2
        .value_kind:     hidden_grid_dims
    .group_segment_fixed_size: 19200
    .kernarg_segment_align: 8
    .kernarg_segment_size: 376
    .language:       OpenCL C
    .language_version:
      - 2
      - 0
    .max_flat_workgroup_size: 256
    .name:           _ZL26rocblas_hemvn_kernel_lowerILb1ELi64ELi4ELi33ELi32ELi16ElPK19rocblas_complex_numIdEPKS3_PS1_EviT6_lT7_lT5_lS8_lS9_lS7_lT8_i
    .private_segment_fixed_size: 0
    .sgpr_count:     48
    .sgpr_spill_count: 0
    .symbol:         _ZL26rocblas_hemvn_kernel_lowerILb1ELi64ELi4ELi33ELi32ELi16ElPK19rocblas_complex_numIdEPKS3_PS1_EviT6_lT7_lT5_lS8_lS9_lS7_lT8_i.kd
    .uniform_work_group_size: 1
    .uses_dynamic_stack: false
    .vgpr_count:     190
    .vgpr_spill_count: 0
    .wavefront_size: 64
  - .agpr_count:     0
    .args:
      - .offset:         0
        .size:           4
        .value_kind:     by_value
      - .address_space:  global
        .offset:         8
        .size:           8
        .value_kind:     global_buffer
      - .offset:         16
        .size:           8
        .value_kind:     by_value
      - .address_space:  global
        .offset:         24
        .size:           8
        .value_kind:     global_buffer
      - .offset:         32
        .size:           8
        .value_kind:     by_value
      - .actual_access:  read_only
        .address_space:  global
        .offset:         40
        .size:           8
        .value_kind:     global_buffer
      - .offset:         48
        .size:           8
        .value_kind:     by_value
      - .offset:         56
        .size:           8
        .value_kind:     by_value
      - .offset:         64
        .size:           8
        .value_kind:     by_value
      - .actual_access:  read_only
        .address_space:  global
        .offset:         72
        .size:           8
        .value_kind:     global_buffer
      - .offset:         80
        .size:           4
        .value_kind:     by_value
      - .offset:         88
        .size:           4
        .value_kind:     hidden_block_count_x
      - .offset:         92
        .size:           4
        .value_kind:     hidden_block_count_y
      - .offset:         96
        .size:           4
        .value_kind:     hidden_block_count_z
      - .offset:         100
        .size:           2
        .value_kind:     hidden_group_size_x
      - .offset:         102
        .size:           2
        .value_kind:     hidden_group_size_y
      - .offset:         104
        .size:           2
        .value_kind:     hidden_group_size_z
      - .offset:         106
        .size:           2
        .value_kind:     hidden_remainder_x
      - .offset:         108
        .size:           2
        .value_kind:     hidden_remainder_y
      - .offset:         110
        .size:           2
        .value_kind:     hidden_remainder_z
      - .offset:         128
        .size:           8
        .value_kind:     hidden_global_offset_x
      - .offset:         136
        .size:           8
        .value_kind:     hidden_global_offset_y
      - .offset:         144
        .size:           8
        .value_kind:     hidden_global_offset_z
      - .offset:         152
        .size:           2
        .value_kind:     hidden_grid_dims
    .group_segment_fixed_size: 0
    .kernarg_segment_align: 8
    .kernarg_segment_size: 344
    .language:       OpenCL C
    .language_version:
      - 2
      - 0
    .max_flat_workgroup_size: 64
    .name:           _ZL36rocblas_hemvn_kernel_lower_block_sumILi64ElPK19rocblas_complex_numIdEPKPS1_S1_EviT1_lS7_lT2_lT0_lPT3_i
    .private_segment_fixed_size: 0
    .sgpr_count:     32
    .sgpr_spill_count: 0
    .symbol:         _ZL36rocblas_hemvn_kernel_lower_block_sumILi64ElPK19rocblas_complex_numIdEPKPS1_S1_EviT1_lS7_lT2_lT0_lPT3_i.kd
    .uniform_work_group_size: 1
    .uses_dynamic_stack: false
    .vgpr_count:     12
    .vgpr_spill_count: 0
    .wavefront_size: 64
  - .agpr_count:     0
    .args:
      - .offset:         0
        .size:           4
        .value_kind:     by_value
      - .address_space:  global
        .offset:         8
        .size:           8
        .value_kind:     global_buffer
      - .offset:         16
        .size:           8
        .value_kind:     by_value
      - .address_space:  global
        .offset:         24
        .size:           8
        .value_kind:     global_buffer
      - .offset:         32
        .size:           8
        .value_kind:     by_value
      - .offset:         40
        .size:           4
        .value_kind:     by_value
      - .offset:         48
        .size:           8
        .value_kind:     by_value
      - .address_space:  global
        .offset:         56
        .size:           8
        .value_kind:     global_buffer
      - .offset:         64
        .size:           8
        .value_kind:     by_value
      - .offset:         72
        .size:           4
        .value_kind:     by_value
      - .offset:         80
        .size:           8
        .value_kind:     by_value
      - .address_space:  global
        .offset:         88
        .size:           8
        .value_kind:     global_buffer
      - .offset:         96
        .size:           8
        .value_kind:     by_value
      - .address_space:  global
        .offset:         104
        .size:           8
        .value_kind:     global_buffer
      - .offset:         112
        .size:           4
        .value_kind:     by_value
      - .offset:         120
        .size:           4
        .value_kind:     hidden_block_count_x
      - .offset:         124
        .size:           4
        .value_kind:     hidden_block_count_y
      - .offset:         128
        .size:           4
        .value_kind:     hidden_block_count_z
      - .offset:         132
        .size:           2
        .value_kind:     hidden_group_size_x
      - .offset:         134
        .size:           2
        .value_kind:     hidden_group_size_y
      - .offset:         136
        .size:           2
        .value_kind:     hidden_group_size_z
      - .offset:         138
        .size:           2
        .value_kind:     hidden_remainder_x
      - .offset:         140
        .size:           2
        .value_kind:     hidden_remainder_y
      - .offset:         142
        .size:           2
        .value_kind:     hidden_remainder_z
      - .offset:         160
        .size:           8
        .value_kind:     hidden_global_offset_x
      - .offset:         168
        .size:           8
        .value_kind:     hidden_global_offset_y
      - .offset:         176
        .size:           8
        .value_kind:     hidden_global_offset_z
      - .offset:         184
        .size:           2
        .value_kind:     hidden_grid_dims
    .group_segment_fixed_size: 19200
    .kernarg_segment_align: 8
    .kernarg_segment_size: 376
    .language:       OpenCL C
    .language_version:
      - 2
      - 0
    .max_flat_workgroup_size: 256
    .name:           _ZL26rocblas_hemvn_kernel_lowerILb1ELi64ELi4ELi33ELi32ELi16EiPK19rocblas_complex_numIdEPKS3_PS1_EviT6_lT7_lT5_lS8_lS9_lS7_lT8_i
    .private_segment_fixed_size: 0
    .sgpr_count:     50
    .sgpr_spill_count: 0
    .symbol:         _ZL26rocblas_hemvn_kernel_lowerILb1ELi64ELi4ELi33ELi32ELi16EiPK19rocblas_complex_numIdEPKS3_PS1_EviT6_lT7_lT5_lS8_lS9_lS7_lT8_i.kd
    .uniform_work_group_size: 1
    .uses_dynamic_stack: false
    .vgpr_count:     188
    .vgpr_spill_count: 0
    .wavefront_size: 64
  - .agpr_count:     0
    .args:
      - .offset:         0
        .size:           4
        .value_kind:     by_value
      - .address_space:  global
        .offset:         8
        .size:           8
        .value_kind:     global_buffer
      - .offset:         16
        .size:           8
        .value_kind:     by_value
      - .address_space:  global
        .offset:         24
        .size:           8
        .value_kind:     global_buffer
      - .offset:         32
        .size:           8
        .value_kind:     by_value
      - .actual_access:  read_only
        .address_space:  global
        .offset:         40
        .size:           8
        .value_kind:     global_buffer
      - .offset:         48
        .size:           8
        .value_kind:     by_value
      - .offset:         56
        .size:           4
        .value_kind:     by_value
      - .offset:         64
        .size:           8
        .value_kind:     by_value
      - .actual_access:  read_only
        .address_space:  global
        .offset:         72
        .size:           8
        .value_kind:     global_buffer
      - .offset:         80
        .size:           4
        .value_kind:     by_value
      - .offset:         88
        .size:           4
        .value_kind:     hidden_block_count_x
      - .offset:         92
        .size:           4
        .value_kind:     hidden_block_count_y
      - .offset:         96
        .size:           4
        .value_kind:     hidden_block_count_z
      - .offset:         100
        .size:           2
        .value_kind:     hidden_group_size_x
      - .offset:         102
        .size:           2
        .value_kind:     hidden_group_size_y
      - .offset:         104
        .size:           2
        .value_kind:     hidden_group_size_z
      - .offset:         106
        .size:           2
        .value_kind:     hidden_remainder_x
      - .offset:         108
        .size:           2
        .value_kind:     hidden_remainder_y
      - .offset:         110
        .size:           2
        .value_kind:     hidden_remainder_z
      - .offset:         128
        .size:           8
        .value_kind:     hidden_global_offset_x
      - .offset:         136
        .size:           8
        .value_kind:     hidden_global_offset_y
      - .offset:         144
        .size:           8
        .value_kind:     hidden_global_offset_z
      - .offset:         152
        .size:           2
        .value_kind:     hidden_grid_dims
    .group_segment_fixed_size: 0
    .kernarg_segment_align: 8
    .kernarg_segment_size: 344
    .language:       OpenCL C
    .language_version:
      - 2
      - 0
    .max_flat_workgroup_size: 64
    .name:           _ZL36rocblas_hemvn_kernel_lower_block_sumILi64EiPK19rocblas_complex_numIdEPKPS1_S1_EviT1_lS7_lT2_lT0_lPT3_i
    .private_segment_fixed_size: 0
    .sgpr_count:     32
    .sgpr_spill_count: 0
    .symbol:         _ZL36rocblas_hemvn_kernel_lower_block_sumILi64EiPK19rocblas_complex_numIdEPKPS1_S1_EviT1_lS7_lT2_lT0_lPT3_i.kd
    .uniform_work_group_size: 1
    .uses_dynamic_stack: false
    .vgpr_count:     14
    .vgpr_spill_count: 0
    .wavefront_size: 64
  - .agpr_count:     0
    .args:
      - .offset:         0
        .size:           4
        .value_kind:     by_value
      - .offset:         8
        .size:           16
        .value_kind:     by_value
      - .offset:         24
        .size:           8
        .value_kind:     by_value
      - .address_space:  global
        .offset:         32
        .size:           8
        .value_kind:     global_buffer
      - .offset:         40
        .size:           8
        .value_kind:     by_value
      - .offset:         48
        .size:           8
        .value_kind:     by_value
      - .offset:         56
        .size:           8
        .value_kind:     by_value
      - .address_space:  global
        .offset:         64
        .size:           8
        .value_kind:     global_buffer
      - .offset:         72
        .size:           8
        .value_kind:     by_value
      - .offset:         80
        .size:           8
        .value_kind:     by_value
      - .offset:         88
        .size:           8
        .value_kind:     by_value
      - .offset:         96
        .size:           16
        .value_kind:     by_value
      - .offset:         112
        .size:           8
        .value_kind:     by_value
      - .address_space:  global
        .offset:         120
        .size:           8
        .value_kind:     global_buffer
      - .offset:         128
        .size:           4
        .value_kind:     by_value
      - .offset:         136
        .size:           4
        .value_kind:     hidden_block_count_x
      - .offset:         140
        .size:           4
        .value_kind:     hidden_block_count_y
      - .offset:         144
        .size:           4
        .value_kind:     hidden_block_count_z
      - .offset:         148
        .size:           2
        .value_kind:     hidden_group_size_x
      - .offset:         150
        .size:           2
        .value_kind:     hidden_group_size_y
      - .offset:         152
        .size:           2
        .value_kind:     hidden_group_size_z
      - .offset:         154
        .size:           2
        .value_kind:     hidden_remainder_x
      - .offset:         156
        .size:           2
        .value_kind:     hidden_remainder_y
      - .offset:         158
        .size:           2
        .value_kind:     hidden_remainder_z
      - .offset:         176
        .size:           8
        .value_kind:     hidden_global_offset_x
      - .offset:         184
        .size:           8
        .value_kind:     hidden_global_offset_y
      - .offset:         192
        .size:           8
        .value_kind:     hidden_global_offset_z
      - .offset:         200
        .size:           2
        .value_kind:     hidden_grid_dims
    .group_segment_fixed_size: 19200
    .kernarg_segment_align: 8
    .kernarg_segment_size: 392
    .language:       OpenCL C
    .language_version:
      - 2
      - 0
    .max_flat_workgroup_size: 256
    .name:           _ZL26rocblas_hemvn_kernel_lowerILb1ELi64ELi4ELi33ELi32ELi16El19rocblas_complex_numIdEPKPKS1_PS1_EviT6_lT7_lT5_lS8_lS9_lS7_lT8_i
    .private_segment_fixed_size: 0
    .sgpr_count:     48
    .sgpr_spill_count: 0
    .symbol:         _ZL26rocblas_hemvn_kernel_lowerILb1ELi64ELi4ELi33ELi32ELi16El19rocblas_complex_numIdEPKPKS1_PS1_EviT6_lT7_lT5_lS8_lS9_lS7_lT8_i.kd
    .uniform_work_group_size: 1
    .uses_dynamic_stack: false
    .vgpr_count:     190
    .vgpr_spill_count: 0
    .wavefront_size: 64
  - .agpr_count:     0
    .args:
      - .offset:         0
        .size:           4
        .value_kind:     by_value
      - .offset:         8
        .size:           16
        .value_kind:     by_value
      - .offset:         24
        .size:           8
        .value_kind:     by_value
      - .offset:         32
        .size:           16
        .value_kind:     by_value
      - .offset:         48
        .size:           8
        .value_kind:     by_value
      - .actual_access:  read_only
        .address_space:  global
        .offset:         56
        .size:           8
        .value_kind:     global_buffer
      - .offset:         64
        .size:           8
        .value_kind:     by_value
      - .offset:         72
        .size:           8
        .value_kind:     by_value
      - .offset:         80
        .size:           8
        .value_kind:     by_value
      - .actual_access:  read_only
        .address_space:  global
        .offset:         88
        .size:           8
        .value_kind:     global_buffer
      - .offset:         96
        .size:           4
        .value_kind:     by_value
      - .offset:         104
        .size:           4
        .value_kind:     hidden_block_count_x
      - .offset:         108
        .size:           4
        .value_kind:     hidden_block_count_y
      - .offset:         112
        .size:           4
        .value_kind:     hidden_block_count_z
      - .offset:         116
        .size:           2
        .value_kind:     hidden_group_size_x
      - .offset:         118
        .size:           2
        .value_kind:     hidden_group_size_y
      - .offset:         120
        .size:           2
        .value_kind:     hidden_group_size_z
      - .offset:         122
        .size:           2
        .value_kind:     hidden_remainder_x
      - .offset:         124
        .size:           2
        .value_kind:     hidden_remainder_y
      - .offset:         126
        .size:           2
        .value_kind:     hidden_remainder_z
      - .offset:         144
        .size:           8
        .value_kind:     hidden_global_offset_x
      - .offset:         152
        .size:           8
        .value_kind:     hidden_global_offset_y
      - .offset:         160
        .size:           8
        .value_kind:     hidden_global_offset_z
      - .offset:         168
        .size:           2
        .value_kind:     hidden_grid_dims
    .group_segment_fixed_size: 0
    .kernarg_segment_align: 8
    .kernarg_segment_size: 360
    .language:       OpenCL C
    .language_version:
      - 2
      - 0
    .max_flat_workgroup_size: 64
    .name:           _ZL36rocblas_hemvn_kernel_lower_block_sumILi64El19rocblas_complex_numIdEPKPS1_S1_EviT1_lS5_lT2_lT0_lPT3_i
    .private_segment_fixed_size: 0
    .sgpr_count:     32
    .sgpr_spill_count: 0
    .symbol:         _ZL36rocblas_hemvn_kernel_lower_block_sumILi64El19rocblas_complex_numIdEPKPS1_S1_EviT1_lS5_lT2_lT0_lPT3_i.kd
    .uniform_work_group_size: 1
    .uses_dynamic_stack: false
    .vgpr_count:     12
    .vgpr_spill_count: 0
    .wavefront_size: 64
  - .agpr_count:     0
    .args:
      - .offset:         0
        .size:           4
        .value_kind:     by_value
      - .offset:         8
        .size:           16
        .value_kind:     by_value
      - .offset:         24
        .size:           8
        .value_kind:     by_value
      - .address_space:  global
        .offset:         32
        .size:           8
        .value_kind:     global_buffer
      - .offset:         40
        .size:           8
        .value_kind:     by_value
      - .offset:         48
        .size:           4
        .value_kind:     by_value
      - .offset:         56
        .size:           8
        .value_kind:     by_value
      - .address_space:  global
        .offset:         64
        .size:           8
        .value_kind:     global_buffer
      - .offset:         72
        .size:           8
        .value_kind:     by_value
      - .offset:         80
        .size:           4
        .value_kind:     by_value
      - .offset:         88
        .size:           8
        .value_kind:     by_value
      - .offset:         96
        .size:           16
        .value_kind:     by_value
      - .offset:         112
        .size:           8
        .value_kind:     by_value
      - .address_space:  global
        .offset:         120
        .size:           8
        .value_kind:     global_buffer
      - .offset:         128
        .size:           4
        .value_kind:     by_value
      - .offset:         136
        .size:           4
        .value_kind:     hidden_block_count_x
      - .offset:         140
        .size:           4
        .value_kind:     hidden_block_count_y
      - .offset:         144
        .size:           4
        .value_kind:     hidden_block_count_z
      - .offset:         148
        .size:           2
        .value_kind:     hidden_group_size_x
      - .offset:         150
        .size:           2
        .value_kind:     hidden_group_size_y
      - .offset:         152
        .size:           2
        .value_kind:     hidden_group_size_z
      - .offset:         154
        .size:           2
        .value_kind:     hidden_remainder_x
      - .offset:         156
        .size:           2
        .value_kind:     hidden_remainder_y
      - .offset:         158
        .size:           2
        .value_kind:     hidden_remainder_z
      - .offset:         176
        .size:           8
        .value_kind:     hidden_global_offset_x
      - .offset:         184
        .size:           8
        .value_kind:     hidden_global_offset_y
      - .offset:         192
        .size:           8
        .value_kind:     hidden_global_offset_z
      - .offset:         200
        .size:           2
        .value_kind:     hidden_grid_dims
    .group_segment_fixed_size: 19200
    .kernarg_segment_align: 8
    .kernarg_segment_size: 392
    .language:       OpenCL C
    .language_version:
      - 2
      - 0
    .max_flat_workgroup_size: 256
    .name:           _ZL26rocblas_hemvn_kernel_lowerILb1ELi64ELi4ELi33ELi32ELi16Ei19rocblas_complex_numIdEPKPKS1_PS1_EviT6_lT7_lT5_lS8_lS9_lS7_lT8_i
    .private_segment_fixed_size: 0
    .sgpr_count:     50
    .sgpr_spill_count: 0
    .symbol:         _ZL26rocblas_hemvn_kernel_lowerILb1ELi64ELi4ELi33ELi32ELi16Ei19rocblas_complex_numIdEPKPKS1_PS1_EviT6_lT7_lT5_lS8_lS9_lS7_lT8_i.kd
    .uniform_work_group_size: 1
    .uses_dynamic_stack: false
    .vgpr_count:     188
    .vgpr_spill_count: 0
    .wavefront_size: 64
  - .agpr_count:     0
    .args:
      - .offset:         0
        .size:           4
        .value_kind:     by_value
      - .offset:         8
        .size:           16
        .value_kind:     by_value
      - .offset:         24
        .size:           8
        .value_kind:     by_value
      - .offset:         32
        .size:           16
        .value_kind:     by_value
      - .offset:         48
        .size:           8
        .value_kind:     by_value
      - .actual_access:  read_only
        .address_space:  global
        .offset:         56
        .size:           8
        .value_kind:     global_buffer
      - .offset:         64
        .size:           8
        .value_kind:     by_value
      - .offset:         72
        .size:           4
        .value_kind:     by_value
      - .offset:         80
        .size:           8
        .value_kind:     by_value
      - .actual_access:  read_only
        .address_space:  global
        .offset:         88
        .size:           8
        .value_kind:     global_buffer
      - .offset:         96
        .size:           4
        .value_kind:     by_value
      - .offset:         104
        .size:           4
        .value_kind:     hidden_block_count_x
      - .offset:         108
        .size:           4
        .value_kind:     hidden_block_count_y
      - .offset:         112
        .size:           4
        .value_kind:     hidden_block_count_z
      - .offset:         116
        .size:           2
        .value_kind:     hidden_group_size_x
      - .offset:         118
        .size:           2
        .value_kind:     hidden_group_size_y
      - .offset:         120
        .size:           2
        .value_kind:     hidden_group_size_z
      - .offset:         122
        .size:           2
        .value_kind:     hidden_remainder_x
      - .offset:         124
        .size:           2
        .value_kind:     hidden_remainder_y
      - .offset:         126
        .size:           2
        .value_kind:     hidden_remainder_z
      - .offset:         144
        .size:           8
        .value_kind:     hidden_global_offset_x
      - .offset:         152
        .size:           8
        .value_kind:     hidden_global_offset_y
      - .offset:         160
        .size:           8
        .value_kind:     hidden_global_offset_z
      - .offset:         168
        .size:           2
        .value_kind:     hidden_grid_dims
    .group_segment_fixed_size: 0
    .kernarg_segment_align: 8
    .kernarg_segment_size: 360
    .language:       OpenCL C
    .language_version:
      - 2
      - 0
    .max_flat_workgroup_size: 64
    .name:           _ZL36rocblas_hemvn_kernel_lower_block_sumILi64Ei19rocblas_complex_numIdEPKPS1_S1_EviT1_lS5_lT2_lT0_lPT3_i
    .private_segment_fixed_size: 0
    .sgpr_count:     29
    .sgpr_spill_count: 0
    .symbol:         _ZL36rocblas_hemvn_kernel_lower_block_sumILi64Ei19rocblas_complex_numIdEPKPS1_S1_EviT1_lS5_lT2_lT0_lPT3_i.kd
    .uniform_work_group_size: 1
    .uses_dynamic_stack: false
    .vgpr_count:     14
    .vgpr_spill_count: 0
    .wavefront_size: 64
  - .agpr_count:     0
    .args:
      - .offset:         0
        .size:           1
        .value_kind:     by_value
      - .offset:         4
        .size:           4
        .value_kind:     by_value
      - .offset:         8
        .size:           8
        .value_kind:     by_value
      - .offset:         16
        .size:           8
        .value_kind:     by_value
      - .address_space:  global
        .offset:         24
        .size:           8
        .value_kind:     global_buffer
      - .offset:         32
        .size:           8
        .value_kind:     by_value
      - .offset:         40
        .size:           8
        .value_kind:     by_value
      - .offset:         48
        .size:           8
        .value_kind:     by_value
      - .address_space:  global
        .offset:         56
        .size:           8
        .value_kind:     global_buffer
      - .offset:         64
        .size:           8
        .value_kind:     by_value
      - .offset:         72
        .size:           8
        .value_kind:     by_value
      - .offset:         80
        .size:           8
        .value_kind:     by_value
      - .offset:         88
        .size:           8
        .value_kind:     by_value
      - .offset:         96
        .size:           8
        .value_kind:     by_value
      - .address_space:  global
        .offset:         104
        .size:           8
        .value_kind:     global_buffer
      - .offset:         112
        .size:           8
        .value_kind:     by_value
      - .offset:         120
        .size:           8
        .value_kind:     by_value
      - .offset:         128
        .size:           8
        .value_kind:     by_value
      - .offset:         136
        .size:           4
        .value_kind:     by_value
    .group_segment_fixed_size: 5248
    .kernarg_segment_align: 8
    .kernarg_segment_size: 140
    .language:       OpenCL C
    .language_version:
      - 2
      - 0
    .max_flat_workgroup_size: 128
    .name:           _ZL50rocblas_symv_kernel_upper_double_buffered_diagonalILi32ELi4E24rocblas_internal_val_ptrIfEPKfPfEvbiT1_lT2_lllS6_lllS5_lT3_llli
    .private_segment_fixed_size: 0
    .sgpr_count:     38
    .sgpr_spill_count: 0
    .symbol:         _ZL50rocblas_symv_kernel_upper_double_buffered_diagonalILi32ELi4E24rocblas_internal_val_ptrIfEPKfPfEvbiT1_lT2_lllS6_lllS5_lT3_llli.kd
    .uniform_work_group_size: 1
    .uses_dynamic_stack: false
    .vgpr_count:     18
    .vgpr_spill_count: 0
    .wavefront_size: 64
  - .agpr_count:     0
    .args:
      - .offset:         0
        .size:           1
        .value_kind:     by_value
      - .offset:         4
        .size:           4
        .value_kind:     by_value
      - .offset:         8
        .size:           8
        .value_kind:     by_value
      - .offset:         16
        .size:           8
        .value_kind:     by_value
      - .address_space:  global
        .offset:         24
        .size:           8
        .value_kind:     global_buffer
      - .offset:         32
        .size:           8
        .value_kind:     by_value
      - .offset:         40
        .size:           8
        .value_kind:     by_value
      - .offset:         48
        .size:           8
        .value_kind:     by_value
      - .address_space:  global
        .offset:         56
        .size:           8
        .value_kind:     global_buffer
      - .offset:         64
        .size:           8
        .value_kind:     by_value
      - .offset:         72
        .size:           8
        .value_kind:     by_value
      - .offset:         80
        .size:           8
        .value_kind:     by_value
      - .address_space:  global
        .offset:         88
        .size:           8
        .value_kind:     global_buffer
      - .offset:         96
        .size:           8
        .value_kind:     by_value
      - .offset:         104
        .size:           8
        .value_kind:     by_value
      - .offset:         112
        .size:           8
        .value_kind:     by_value
      - .offset:         120
        .size:           4
        .value_kind:     by_value
      - .offset:         128
        .size:           4
        .value_kind:     hidden_block_count_x
      - .offset:         132
        .size:           4
        .value_kind:     hidden_block_count_y
      - .offset:         136
        .size:           4
        .value_kind:     hidden_block_count_z
      - .offset:         140
        .size:           2
        .value_kind:     hidden_group_size_x
      - .offset:         142
        .size:           2
        .value_kind:     hidden_group_size_y
      - .offset:         144
        .size:           2
        .value_kind:     hidden_group_size_z
      - .offset:         146
        .size:           2
        .value_kind:     hidden_remainder_x
      - .offset:         148
        .size:           2
        .value_kind:     hidden_remainder_y
      - .offset:         150
        .size:           2
        .value_kind:     hidden_remainder_z
      - .offset:         168
        .size:           8
        .value_kind:     hidden_global_offset_x
      - .offset:         176
        .size:           8
        .value_kind:     hidden_global_offset_y
      - .offset:         184
        .size:           8
        .value_kind:     hidden_global_offset_z
      - .offset:         192
        .size:           2
        .value_kind:     hidden_grid_dims
    .group_segment_fixed_size: 3200
    .kernarg_segment_align: 8
    .kernarg_segment_size: 384
    .language:       OpenCL C
    .language_version:
      - 2
      - 0
    .max_flat_workgroup_size: 128
    .name:           _ZL54rocblas_symv_kernel_upper_double_buffered_non_diagonalILi32ELi4ELi4E24rocblas_internal_val_ptrIfEPKfPfEvbiT2_lT3_lllS6_lllT4_llli
    .private_segment_fixed_size: 0
    .sgpr_count:     38
    .sgpr_spill_count: 0
    .symbol:         _ZL54rocblas_symv_kernel_upper_double_buffered_non_diagonalILi32ELi4ELi4E24rocblas_internal_val_ptrIfEPKfPfEvbiT2_lT3_lllS6_lllT4_llli.kd
    .uniform_work_group_size: 1
    .uses_dynamic_stack: false
    .vgpr_count:     49
    .vgpr_spill_count: 0
    .wavefront_size: 64
  - .agpr_count:     0
    .args:
      - .offset:         0
        .size:           1
        .value_kind:     by_value
      - .offset:         4
        .size:           4
        .value_kind:     by_value
      - .offset:         8
        .size:           8
        .value_kind:     by_value
      - .offset:         16
        .size:           8
        .value_kind:     by_value
      - .address_space:  global
        .offset:         24
        .size:           8
        .value_kind:     global_buffer
      - .offset:         32
        .size:           8
        .value_kind:     by_value
      - .offset:         40
        .size:           8
        .value_kind:     by_value
      - .offset:         48
        .size:           8
        .value_kind:     by_value
      - .address_space:  global
        .offset:         56
        .size:           8
        .value_kind:     global_buffer
      - .offset:         64
        .size:           8
        .value_kind:     by_value
      - .offset:         72
        .size:           8
        .value_kind:     by_value
      - .offset:         80
        .size:           8
        .value_kind:     by_value
      - .offset:         88
        .size:           8
        .value_kind:     by_value
      - .offset:         96
        .size:           8
        .value_kind:     by_value
      - .address_space:  global
        .offset:         104
        .size:           8
        .value_kind:     global_buffer
      - .offset:         112
        .size:           8
        .value_kind:     by_value
      - .offset:         120
        .size:           8
        .value_kind:     by_value
      - .offset:         128
        .size:           8
        .value_kind:     by_value
      - .offset:         136
        .size:           4
        .value_kind:     by_value
      - .offset:         140
        .size:           4
        .value_kind:     by_value
      - .offset:         144
        .size:           4
        .value_kind:     hidden_block_count_x
      - .offset:         148
        .size:           4
        .value_kind:     hidden_block_count_y
      - .offset:         152
        .size:           4
        .value_kind:     hidden_block_count_z
      - .offset:         156
        .size:           2
        .value_kind:     hidden_group_size_x
      - .offset:         158
        .size:           2
        .value_kind:     hidden_group_size_y
      - .offset:         160
        .size:           2
        .value_kind:     hidden_group_size_z
      - .offset:         162
        .size:           2
        .value_kind:     hidden_remainder_x
      - .offset:         164
        .size:           2
        .value_kind:     hidden_remainder_y
      - .offset:         166
        .size:           2
        .value_kind:     hidden_remainder_z
      - .offset:         184
        .size:           8
        .value_kind:     hidden_global_offset_x
      - .offset:         192
        .size:           8
        .value_kind:     hidden_global_offset_y
      - .offset:         200
        .size:           8
        .value_kind:     hidden_global_offset_z
      - .offset:         208
        .size:           2
        .value_kind:     hidden_grid_dims
    .group_segment_fixed_size: 6272
    .kernarg_segment_align: 8
    .kernarg_segment_size: 400
    .language:       OpenCL C
    .language_version:
      - 2
      - 0
    .max_flat_workgroup_size: 256
    .name:           _ZL58rocblas_symv_kernel_upper_double_buffered_diagonal_genericILi32ELi8E24rocblas_internal_val_ptrIfEPKfPfEvbiT1_lT2_lllS6_lllS5_lT3_lllii
    .private_segment_fixed_size: 0
    .sgpr_count:     48
    .sgpr_spill_count: 0
    .symbol:         _ZL58rocblas_symv_kernel_upper_double_buffered_diagonal_genericILi32ELi8E24rocblas_internal_val_ptrIfEPKfPfEvbiT1_lT2_lllS6_lllS5_lT3_lllii.kd
    .uniform_work_group_size: 1
    .uses_dynamic_stack: false
    .vgpr_count:     21
    .vgpr_spill_count: 0
    .wavefront_size: 64
  - .agpr_count:     0
    .args:
      - .offset:         0
        .size:           1
        .value_kind:     by_value
      - .offset:         4
        .size:           4
        .value_kind:     by_value
      - .offset:         8
        .size:           8
        .value_kind:     by_value
      - .offset:         16
        .size:           8
        .value_kind:     by_value
      - .address_space:  global
        .offset:         24
        .size:           8
        .value_kind:     global_buffer
      - .offset:         32
        .size:           8
        .value_kind:     by_value
      - .offset:         40
        .size:           8
        .value_kind:     by_value
      - .offset:         48
        .size:           8
        .value_kind:     by_value
      - .address_space:  global
        .offset:         56
        .size:           8
        .value_kind:     global_buffer
      - .offset:         64
        .size:           8
        .value_kind:     by_value
      - .offset:         72
        .size:           8
        .value_kind:     by_value
      - .offset:         80
        .size:           8
        .value_kind:     by_value
      - .address_space:  global
        .offset:         88
        .size:           8
        .value_kind:     global_buffer
      - .offset:         96
        .size:           8
        .value_kind:     by_value
      - .offset:         104
        .size:           8
        .value_kind:     by_value
      - .offset:         112
        .size:           8
        .value_kind:     by_value
      - .offset:         120
        .size:           4
        .value_kind:     by_value
      - .offset:         124
        .size:           4
        .value_kind:     by_value
      - .offset:         128
        .size:           4
        .value_kind:     hidden_block_count_x
      - .offset:         132
        .size:           4
        .value_kind:     hidden_block_count_y
      - .offset:         136
        .size:           4
        .value_kind:     hidden_block_count_z
      - .offset:         140
        .size:           2
        .value_kind:     hidden_group_size_x
      - .offset:         142
        .size:           2
        .value_kind:     hidden_group_size_y
      - .offset:         144
        .size:           2
        .value_kind:     hidden_group_size_z
      - .offset:         146
        .size:           2
        .value_kind:     hidden_remainder_x
      - .offset:         148
        .size:           2
        .value_kind:     hidden_remainder_y
      - .offset:         150
        .size:           2
        .value_kind:     hidden_remainder_z
      - .offset:         168
        .size:           8
        .value_kind:     hidden_global_offset_x
      - .offset:         176
        .size:           8
        .value_kind:     hidden_global_offset_y
      - .offset:         184
        .size:           8
        .value_kind:     hidden_global_offset_z
      - .offset:         192
        .size:           2
        .value_kind:     hidden_grid_dims
    .group_segment_fixed_size: 4224
    .kernarg_segment_align: 8
    .kernarg_segment_size: 384
    .language:       OpenCL C
    .language_version:
      - 2
      - 0
    .max_flat_workgroup_size: 256
    .name:           _ZL62rocblas_symv_kernel_upper_double_buffered_non_diagonal_genericILi32ELi8ELi2ELi0E24rocblas_internal_val_ptrIfEPKfPfEvbiT3_lT4_lllS6_lllT5_lllii
    .private_segment_fixed_size: 0
    .sgpr_count:     41
    .sgpr_spill_count: 0
    .symbol:         _ZL62rocblas_symv_kernel_upper_double_buffered_non_diagonal_genericILi32ELi8ELi2ELi0E24rocblas_internal_val_ptrIfEPKfPfEvbiT3_lT4_lllS6_lllT5_lllii.kd
    .uniform_work_group_size: 1
    .uses_dynamic_stack: false
    .vgpr_count:     41
    .vgpr_spill_count: 0
    .wavefront_size: 64
  - .agpr_count:     0
    .args:
      - .offset:         0
        .size:           1
        .value_kind:     by_value
      - .offset:         4
        .size:           4
        .value_kind:     by_value
      - .offset:         8
        .size:           8
        .value_kind:     by_value
      - .offset:         16
        .size:           8
        .value_kind:     by_value
      - .address_space:  global
        .offset:         24
        .size:           8
        .value_kind:     global_buffer
      - .offset:         32
        .size:           8
        .value_kind:     by_value
      - .offset:         40
        .size:           8
        .value_kind:     by_value
      - .offset:         48
        .size:           8
        .value_kind:     by_value
      - .address_space:  global
        .offset:         56
        .size:           8
        .value_kind:     global_buffer
      - .offset:         64
        .size:           8
        .value_kind:     by_value
      - .offset:         72
        .size:           8
        .value_kind:     by_value
      - .offset:         80
        .size:           8
        .value_kind:     by_value
      - .address_space:  global
        .offset:         88
        .size:           8
        .value_kind:     global_buffer
      - .offset:         96
        .size:           8
        .value_kind:     by_value
      - .offset:         104
        .size:           8
        .value_kind:     by_value
      - .offset:         112
        .size:           8
        .value_kind:     by_value
      - .offset:         120
        .size:           4
        .value_kind:     by_value
      - .offset:         124
        .size:           4
        .value_kind:     by_value
      - .offset:         128
        .size:           4
        .value_kind:     hidden_block_count_x
      - .offset:         132
        .size:           4
        .value_kind:     hidden_block_count_y
      - .offset:         136
        .size:           4
        .value_kind:     hidden_block_count_z
      - .offset:         140
        .size:           2
        .value_kind:     hidden_group_size_x
      - .offset:         142
        .size:           2
        .value_kind:     hidden_group_size_y
      - .offset:         144
        .size:           2
        .value_kind:     hidden_group_size_z
      - .offset:         146
        .size:           2
        .value_kind:     hidden_remainder_x
      - .offset:         148
        .size:           2
        .value_kind:     hidden_remainder_y
      - .offset:         150
        .size:           2
        .value_kind:     hidden_remainder_z
      - .offset:         168
        .size:           8
        .value_kind:     hidden_global_offset_x
      - .offset:         176
        .size:           8
        .value_kind:     hidden_global_offset_y
      - .offset:         184
        .size:           8
        .value_kind:     hidden_global_offset_z
      - .offset:         192
        .size:           2
        .value_kind:     hidden_grid_dims
    .group_segment_fixed_size: 4224
    .kernarg_segment_align: 8
    .kernarg_segment_size: 384
    .language:       OpenCL C
    .language_version:
      - 2
      - 0
    .max_flat_workgroup_size: 256
    .name:           _ZL62rocblas_symv_kernel_upper_double_buffered_non_diagonal_genericILi32ELi8ELi2ELi1E24rocblas_internal_val_ptrIfEPKfPfEvbiT3_lT4_lllS6_lllT5_lllii
    .private_segment_fixed_size: 0
    .sgpr_count:     42
    .sgpr_spill_count: 0
    .symbol:         _ZL62rocblas_symv_kernel_upper_double_buffered_non_diagonal_genericILi32ELi8ELi2ELi1E24rocblas_internal_val_ptrIfEPKfPfEvbiT3_lT4_lllS6_lllT5_lllii.kd
    .uniform_work_group_size: 1
    .uses_dynamic_stack: false
    .vgpr_count:     39
    .vgpr_spill_count: 0
    .wavefront_size: 64
  - .agpr_count:     0
    .args:
      - .offset:         0
        .size:           4
        .value_kind:     by_value
      - .address_space:  global
        .offset:         8
        .size:           8
        .value_kind:     global_buffer
      - .offset:         16
        .size:           8
        .value_kind:     by_value
      - .address_space:  global
        .offset:         24
        .size:           8
        .value_kind:     global_buffer
      - .offset:         32
        .size:           8
        .value_kind:     by_value
      - .offset:         40
        .size:           8
        .value_kind:     by_value
      - .offset:         48
        .size:           8
        .value_kind:     by_value
      - .address_space:  global
        .offset:         56
        .size:           8
        .value_kind:     global_buffer
      - .offset:         64
        .size:           8
        .value_kind:     by_value
      - .offset:         72
        .size:           8
        .value_kind:     by_value
      - .offset:         80
        .size:           8
        .value_kind:     by_value
      - .address_space:  global
        .offset:         88
        .size:           8
        .value_kind:     global_buffer
      - .offset:         96
        .size:           8
        .value_kind:     by_value
      - .address_space:  global
        .offset:         104
        .size:           8
        .value_kind:     global_buffer
      - .offset:         112
        .size:           4
        .value_kind:     by_value
      - .offset:         120
        .size:           4
        .value_kind:     hidden_block_count_x
      - .offset:         124
        .size:           4
        .value_kind:     hidden_block_count_y
      - .offset:         128
        .size:           4
        .value_kind:     hidden_block_count_z
      - .offset:         132
        .size:           2
        .value_kind:     hidden_group_size_x
      - .offset:         134
        .size:           2
        .value_kind:     hidden_group_size_y
      - .offset:         136
        .size:           2
        .value_kind:     hidden_group_size_z
      - .offset:         138
        .size:           2
        .value_kind:     hidden_remainder_x
      - .offset:         140
        .size:           2
        .value_kind:     hidden_remainder_y
      - .offset:         142
        .size:           2
        .value_kind:     hidden_remainder_z
      - .offset:         160
        .size:           8
        .value_kind:     hidden_global_offset_x
      - .offset:         168
        .size:           8
        .value_kind:     hidden_global_offset_y
      - .offset:         176
        .size:           8
        .value_kind:     hidden_global_offset_z
      - .offset:         184
        .size:           2
        .value_kind:     hidden_grid_dims
    .group_segment_fixed_size: 4800
    .kernarg_segment_align: 8
    .kernarg_segment_size: 376
    .language:       OpenCL C
    .language_version:
      - 2
      - 0
    .max_flat_workgroup_size: 256
    .name:           _ZL26rocblas_hemvn_kernel_upperILb0ELi64ELi4ELi33ELi32ELi16ElPKfS1_PfEviT6_lT7_lT5_lS4_lS5_lS3_lT8_i
    .private_segment_fixed_size: 0
    .sgpr_count:     48
    .sgpr_spill_count: 0
    .symbol:         _ZL26rocblas_hemvn_kernel_upperILb0ELi64ELi4ELi33ELi32ELi16ElPKfS1_PfEviT6_lT7_lT5_lS4_lS5_lS3_lT8_i.kd
    .uniform_work_group_size: 1
    .uses_dynamic_stack: false
    .vgpr_count:     110
    .vgpr_spill_count: 0
    .wavefront_size: 64
  - .agpr_count:     0
    .args:
      - .offset:         0
        .size:           4
        .value_kind:     by_value
      - .address_space:  global
        .offset:         8
        .size:           8
        .value_kind:     global_buffer
      - .offset:         16
        .size:           8
        .value_kind:     by_value
      - .address_space:  global
        .offset:         24
        .size:           8
        .value_kind:     global_buffer
      - .offset:         32
        .size:           8
        .value_kind:     by_value
      - .address_space:  global
        .offset:         40
        .size:           8
        .value_kind:     global_buffer
      - .offset:         48
        .size:           8
        .value_kind:     by_value
      - .offset:         56
        .size:           8
        .value_kind:     by_value
      - .offset:         64
        .size:           8
        .value_kind:     by_value
      - .address_space:  global
        .offset:         72
        .size:           8
        .value_kind:     global_buffer
      - .offset:         80
        .size:           4
        .value_kind:     by_value
      - .offset:         88
        .size:           4
        .value_kind:     hidden_block_count_x
      - .offset:         92
        .size:           4
        .value_kind:     hidden_block_count_y
      - .offset:         96
        .size:           4
        .value_kind:     hidden_block_count_z
      - .offset:         100
        .size:           2
        .value_kind:     hidden_group_size_x
      - .offset:         102
        .size:           2
        .value_kind:     hidden_group_size_y
      - .offset:         104
        .size:           2
        .value_kind:     hidden_group_size_z
      - .offset:         106
        .size:           2
        .value_kind:     hidden_remainder_x
      - .offset:         108
        .size:           2
        .value_kind:     hidden_remainder_y
      - .offset:         110
        .size:           2
        .value_kind:     hidden_remainder_z
      - .offset:         128
        .size:           8
        .value_kind:     hidden_global_offset_x
      - .offset:         136
        .size:           8
        .value_kind:     hidden_global_offset_y
      - .offset:         144
        .size:           8
        .value_kind:     hidden_global_offset_z
      - .offset:         152
        .size:           2
        .value_kind:     hidden_grid_dims
    .group_segment_fixed_size: 0
    .kernarg_segment_align: 8
    .kernarg_segment_size: 344
    .language:       OpenCL C
    .language_version:
      - 2
      - 0
    .max_flat_workgroup_size: 64
    .name:           _ZL36rocblas_hemvn_kernel_upper_block_sumILi64ElPKfPffEviT1_lS3_lT2_lT0_lPT3_i
    .private_segment_fixed_size: 0
    .sgpr_count:     26
    .sgpr_spill_count: 0
    .symbol:         _ZL36rocblas_hemvn_kernel_upper_block_sumILi64ElPKfPffEviT1_lS3_lT2_lT0_lPT3_i.kd
    .uniform_work_group_size: 1
    .uses_dynamic_stack: false
    .vgpr_count:     7
    .vgpr_spill_count: 0
    .wavefront_size: 64
  - .agpr_count:     0
    .args:
      - .offset:         0
        .size:           4
        .value_kind:     by_value
      - .address_space:  global
        .offset:         8
        .size:           8
        .value_kind:     global_buffer
      - .offset:         16
        .size:           8
        .value_kind:     by_value
      - .address_space:  global
        .offset:         24
        .size:           8
        .value_kind:     global_buffer
      - .offset:         32
        .size:           8
        .value_kind:     by_value
      - .offset:         40
        .size:           4
        .value_kind:     by_value
      - .offset:         48
        .size:           8
        .value_kind:     by_value
      - .address_space:  global
        .offset:         56
        .size:           8
        .value_kind:     global_buffer
      - .offset:         64
        .size:           8
        .value_kind:     by_value
      - .offset:         72
        .size:           4
        .value_kind:     by_value
      - .offset:         80
        .size:           8
        .value_kind:     by_value
      - .address_space:  global
        .offset:         88
        .size:           8
        .value_kind:     global_buffer
      - .offset:         96
        .size:           8
        .value_kind:     by_value
      - .address_space:  global
        .offset:         104
        .size:           8
        .value_kind:     global_buffer
      - .offset:         112
        .size:           4
        .value_kind:     by_value
      - .offset:         120
        .size:           4
        .value_kind:     hidden_block_count_x
      - .offset:         124
        .size:           4
        .value_kind:     hidden_block_count_y
      - .offset:         128
        .size:           4
        .value_kind:     hidden_block_count_z
      - .offset:         132
        .size:           2
        .value_kind:     hidden_group_size_x
      - .offset:         134
        .size:           2
        .value_kind:     hidden_group_size_y
      - .offset:         136
        .size:           2
        .value_kind:     hidden_group_size_z
      - .offset:         138
        .size:           2
        .value_kind:     hidden_remainder_x
      - .offset:         140
        .size:           2
        .value_kind:     hidden_remainder_y
      - .offset:         142
        .size:           2
        .value_kind:     hidden_remainder_z
      - .offset:         160
        .size:           8
        .value_kind:     hidden_global_offset_x
      - .offset:         168
        .size:           8
        .value_kind:     hidden_global_offset_y
      - .offset:         176
        .size:           8
        .value_kind:     hidden_global_offset_z
      - .offset:         184
        .size:           2
        .value_kind:     hidden_grid_dims
    .group_segment_fixed_size: 4800
    .kernarg_segment_align: 8
    .kernarg_segment_size: 376
    .language:       OpenCL C
    .language_version:
      - 2
      - 0
    .max_flat_workgroup_size: 256
    .name:           _ZL26rocblas_hemvn_kernel_upperILb0ELi64ELi4ELi33ELi32ELi16EiPKfS1_PfEviT6_lT7_lT5_lS4_lS5_lS3_lT8_i
    .private_segment_fixed_size: 0
    .sgpr_count:     59
    .sgpr_spill_count: 0
    .symbol:         _ZL26rocblas_hemvn_kernel_upperILb0ELi64ELi4ELi33ELi32ELi16EiPKfS1_PfEviT6_lT7_lT5_lS4_lS5_lS3_lT8_i.kd
    .uniform_work_group_size: 1
    .uses_dynamic_stack: false
    .vgpr_count:     130
    .vgpr_spill_count: 0
    .wavefront_size: 64
  - .agpr_count:     0
    .args:
      - .offset:         0
        .size:           4
        .value_kind:     by_value
      - .address_space:  global
        .offset:         8
        .size:           8
        .value_kind:     global_buffer
      - .offset:         16
        .size:           8
        .value_kind:     by_value
      - .address_space:  global
        .offset:         24
        .size:           8
        .value_kind:     global_buffer
      - .offset:         32
        .size:           8
        .value_kind:     by_value
      - .address_space:  global
        .offset:         40
        .size:           8
        .value_kind:     global_buffer
      - .offset:         48
        .size:           8
        .value_kind:     by_value
      - .offset:         56
        .size:           4
        .value_kind:     by_value
      - .offset:         64
        .size:           8
        .value_kind:     by_value
      - .address_space:  global
        .offset:         72
        .size:           8
        .value_kind:     global_buffer
      - .offset:         80
        .size:           4
        .value_kind:     by_value
      - .offset:         88
        .size:           4
        .value_kind:     hidden_block_count_x
      - .offset:         92
        .size:           4
        .value_kind:     hidden_block_count_y
      - .offset:         96
        .size:           4
        .value_kind:     hidden_block_count_z
      - .offset:         100
        .size:           2
        .value_kind:     hidden_group_size_x
      - .offset:         102
        .size:           2
        .value_kind:     hidden_group_size_y
      - .offset:         104
        .size:           2
        .value_kind:     hidden_group_size_z
      - .offset:         106
        .size:           2
        .value_kind:     hidden_remainder_x
      - .offset:         108
        .size:           2
        .value_kind:     hidden_remainder_y
      - .offset:         110
        .size:           2
        .value_kind:     hidden_remainder_z
      - .offset:         128
        .size:           8
        .value_kind:     hidden_global_offset_x
      - .offset:         136
        .size:           8
        .value_kind:     hidden_global_offset_y
      - .offset:         144
        .size:           8
        .value_kind:     hidden_global_offset_z
      - .offset:         152
        .size:           2
        .value_kind:     hidden_grid_dims
    .group_segment_fixed_size: 0
    .kernarg_segment_align: 8
    .kernarg_segment_size: 344
    .language:       OpenCL C
    .language_version:
      - 2
      - 0
    .max_flat_workgroup_size: 64
    .name:           _ZL36rocblas_hemvn_kernel_upper_block_sumILi64EiPKfPffEviT1_lS3_lT2_lT0_lPT3_i
    .private_segment_fixed_size: 0
    .sgpr_count:     25
    .sgpr_spill_count: 0
    .symbol:         _ZL36rocblas_hemvn_kernel_upper_block_sumILi64EiPKfPffEviT1_lS3_lT2_lT0_lPT3_i.kd
    .uniform_work_group_size: 1
    .uses_dynamic_stack: false
    .vgpr_count:     6
    .vgpr_spill_count: 0
    .wavefront_size: 64
  - .agpr_count:     0
    .args:
      - .offset:         0
        .size:           4
        .value_kind:     by_value
      - .offset:         4
        .size:           4
        .value_kind:     by_value
      - .offset:         8
        .size:           8
        .value_kind:     by_value
      - .address_space:  global
        .offset:         16
        .size:           8
        .value_kind:     global_buffer
      - .offset:         24
        .size:           8
        .value_kind:     by_value
      - .offset:         32
        .size:           8
        .value_kind:     by_value
      - .offset:         40
        .size:           8
        .value_kind:     by_value
      - .address_space:  global
        .offset:         48
        .size:           8
        .value_kind:     global_buffer
      - .offset:         56
        .size:           8
        .value_kind:     by_value
      - .offset:         64
        .size:           8
        .value_kind:     by_value
      - .offset:         72
        .size:           8
        .value_kind:     by_value
      - .offset:         80
        .size:           4
        .value_kind:     by_value
      - .offset:         88
        .size:           8
        .value_kind:     by_value
      - .address_space:  global
        .offset:         96
        .size:           8
        .value_kind:     global_buffer
      - .offset:         104
        .size:           4
        .value_kind:     by_value
      - .offset:         112
        .size:           4
        .value_kind:     hidden_block_count_x
      - .offset:         116
        .size:           4
        .value_kind:     hidden_block_count_y
      - .offset:         120
        .size:           4
        .value_kind:     hidden_block_count_z
      - .offset:         124
        .size:           2
        .value_kind:     hidden_group_size_x
      - .offset:         126
        .size:           2
        .value_kind:     hidden_group_size_y
      - .offset:         128
        .size:           2
        .value_kind:     hidden_group_size_z
      - .offset:         130
        .size:           2
        .value_kind:     hidden_remainder_x
      - .offset:         132
        .size:           2
        .value_kind:     hidden_remainder_y
      - .offset:         134
        .size:           2
        .value_kind:     hidden_remainder_z
      - .offset:         152
        .size:           8
        .value_kind:     hidden_global_offset_x
      - .offset:         160
        .size:           8
        .value_kind:     hidden_global_offset_y
      - .offset:         168
        .size:           8
        .value_kind:     hidden_global_offset_z
      - .offset:         176
        .size:           2
        .value_kind:     hidden_grid_dims
    .group_segment_fixed_size: 4800
    .kernarg_segment_align: 8
    .kernarg_segment_size: 368
    .language:       OpenCL C
    .language_version:
      - 2
      - 0
    .max_flat_workgroup_size: 256
    .name:           _ZL26rocblas_hemvn_kernel_upperILb0ELi64ELi4ELi33ELi32ELi16ElfPKfPfEviT6_lT7_lT5_lS4_lS5_lS3_lT8_i
    .private_segment_fixed_size: 0
    .sgpr_count:     48
    .sgpr_spill_count: 0
    .symbol:         _ZL26rocblas_hemvn_kernel_upperILb0ELi64ELi4ELi33ELi32ELi16ElfPKfPfEviT6_lT7_lT5_lS4_lS5_lS3_lT8_i.kd
    .uniform_work_group_size: 1
    .uses_dynamic_stack: false
    .vgpr_count:     110
    .vgpr_spill_count: 0
    .wavefront_size: 64
  - .agpr_count:     0
    .args:
      - .offset:         0
        .size:           4
        .value_kind:     by_value
      - .offset:         4
        .size:           4
        .value_kind:     by_value
      - .offset:         8
        .size:           8
        .value_kind:     by_value
      - .offset:         16
        .size:           4
        .value_kind:     by_value
      - .offset:         24
        .size:           8
        .value_kind:     by_value
      - .address_space:  global
        .offset:         32
        .size:           8
        .value_kind:     global_buffer
      - .offset:         40
        .size:           8
        .value_kind:     by_value
      - .offset:         48
        .size:           8
        .value_kind:     by_value
      - .offset:         56
        .size:           8
        .value_kind:     by_value
      - .address_space:  global
        .offset:         64
        .size:           8
        .value_kind:     global_buffer
      - .offset:         72
        .size:           4
        .value_kind:     by_value
      - .offset:         80
        .size:           4
        .value_kind:     hidden_block_count_x
      - .offset:         84
        .size:           4
        .value_kind:     hidden_block_count_y
      - .offset:         88
        .size:           4
        .value_kind:     hidden_block_count_z
      - .offset:         92
        .size:           2
        .value_kind:     hidden_group_size_x
      - .offset:         94
        .size:           2
        .value_kind:     hidden_group_size_y
      - .offset:         96
        .size:           2
        .value_kind:     hidden_group_size_z
      - .offset:         98
        .size:           2
        .value_kind:     hidden_remainder_x
      - .offset:         100
        .size:           2
        .value_kind:     hidden_remainder_y
      - .offset:         102
        .size:           2
        .value_kind:     hidden_remainder_z
      - .offset:         120
        .size:           8
        .value_kind:     hidden_global_offset_x
      - .offset:         128
        .size:           8
        .value_kind:     hidden_global_offset_y
      - .offset:         136
        .size:           8
        .value_kind:     hidden_global_offset_z
      - .offset:         144
        .size:           2
        .value_kind:     hidden_grid_dims
    .group_segment_fixed_size: 0
    .kernarg_segment_align: 8
    .kernarg_segment_size: 336
    .language:       OpenCL C
    .language_version:
      - 2
      - 0
    .max_flat_workgroup_size: 64
    .name:           _ZL36rocblas_hemvn_kernel_upper_block_sumILi64ElfPffEviT1_lS1_lT2_lT0_lPT3_i
    .private_segment_fixed_size: 0
    .sgpr_count:     25
    .sgpr_spill_count: 0
    .symbol:         _ZL36rocblas_hemvn_kernel_upper_block_sumILi64ElfPffEviT1_lS1_lT2_lT0_lPT3_i.kd
    .uniform_work_group_size: 1
    .uses_dynamic_stack: false
    .vgpr_count:     7
    .vgpr_spill_count: 0
    .wavefront_size: 64
  - .agpr_count:     0
    .args:
      - .offset:         0
        .size:           4
        .value_kind:     by_value
      - .offset:         4
        .size:           4
        .value_kind:     by_value
      - .offset:         8
        .size:           8
        .value_kind:     by_value
      - .address_space:  global
        .offset:         16
        .size:           8
        .value_kind:     global_buffer
      - .offset:         24
        .size:           8
        .value_kind:     by_value
      - .offset:         32
        .size:           4
        .value_kind:     by_value
      - .offset:         40
        .size:           8
        .value_kind:     by_value
      - .address_space:  global
        .offset:         48
        .size:           8
        .value_kind:     global_buffer
      - .offset:         56
        .size:           8
        .value_kind:     by_value
      - .offset:         64
        .size:           4
        .value_kind:     by_value
      - .offset:         72
        .size:           8
        .value_kind:     by_value
      - .offset:         80
        .size:           4
        .value_kind:     by_value
      - .offset:         88
        .size:           8
        .value_kind:     by_value
      - .address_space:  global
        .offset:         96
        .size:           8
        .value_kind:     global_buffer
      - .offset:         104
        .size:           4
        .value_kind:     by_value
      - .offset:         112
        .size:           4
        .value_kind:     hidden_block_count_x
      - .offset:         116
        .size:           4
        .value_kind:     hidden_block_count_y
      - .offset:         120
        .size:           4
        .value_kind:     hidden_block_count_z
      - .offset:         124
        .size:           2
        .value_kind:     hidden_group_size_x
      - .offset:         126
        .size:           2
        .value_kind:     hidden_group_size_y
      - .offset:         128
        .size:           2
        .value_kind:     hidden_group_size_z
      - .offset:         130
        .size:           2
        .value_kind:     hidden_remainder_x
      - .offset:         132
        .size:           2
        .value_kind:     hidden_remainder_y
      - .offset:         134
        .size:           2
        .value_kind:     hidden_remainder_z
      - .offset:         152
        .size:           8
        .value_kind:     hidden_global_offset_x
      - .offset:         160
        .size:           8
        .value_kind:     hidden_global_offset_y
      - .offset:         168
        .size:           8
        .value_kind:     hidden_global_offset_z
      - .offset:         176
        .size:           2
        .value_kind:     hidden_grid_dims
    .group_segment_fixed_size: 4800
    .kernarg_segment_align: 8
    .kernarg_segment_size: 368
    .language:       OpenCL C
    .language_version:
      - 2
      - 0
    .max_flat_workgroup_size: 256
    .name:           _ZL26rocblas_hemvn_kernel_upperILb0ELi64ELi4ELi33ELi32ELi16EifPKfPfEviT6_lT7_lT5_lS4_lS5_lS3_lT8_i
    .private_segment_fixed_size: 0
    .sgpr_count:     59
    .sgpr_spill_count: 0
    .symbol:         _ZL26rocblas_hemvn_kernel_upperILb0ELi64ELi4ELi33ELi32ELi16EifPKfPfEviT6_lT7_lT5_lS4_lS5_lS3_lT8_i.kd
    .uniform_work_group_size: 1
    .uses_dynamic_stack: false
    .vgpr_count:     130
    .vgpr_spill_count: 0
    .wavefront_size: 64
  - .agpr_count:     0
    .args:
      - .offset:         0
        .size:           4
        .value_kind:     by_value
      - .offset:         4
        .size:           4
        .value_kind:     by_value
      - .offset:         8
        .size:           8
        .value_kind:     by_value
      - .offset:         16
        .size:           4
        .value_kind:     by_value
      - .offset:         24
        .size:           8
        .value_kind:     by_value
      - .address_space:  global
        .offset:         32
        .size:           8
        .value_kind:     global_buffer
      - .offset:         40
        .size:           8
        .value_kind:     by_value
      - .offset:         48
        .size:           4
        .value_kind:     by_value
      - .offset:         56
        .size:           8
        .value_kind:     by_value
      - .address_space:  global
        .offset:         64
        .size:           8
        .value_kind:     global_buffer
      - .offset:         72
        .size:           4
        .value_kind:     by_value
      - .offset:         80
        .size:           4
        .value_kind:     hidden_block_count_x
      - .offset:         84
        .size:           4
        .value_kind:     hidden_block_count_y
      - .offset:         88
        .size:           4
        .value_kind:     hidden_block_count_z
      - .offset:         92
        .size:           2
        .value_kind:     hidden_group_size_x
      - .offset:         94
        .size:           2
        .value_kind:     hidden_group_size_y
      - .offset:         96
        .size:           2
        .value_kind:     hidden_group_size_z
      - .offset:         98
        .size:           2
        .value_kind:     hidden_remainder_x
      - .offset:         100
        .size:           2
        .value_kind:     hidden_remainder_y
      - .offset:         102
        .size:           2
        .value_kind:     hidden_remainder_z
      - .offset:         120
        .size:           8
        .value_kind:     hidden_global_offset_x
      - .offset:         128
        .size:           8
        .value_kind:     hidden_global_offset_y
      - .offset:         136
        .size:           8
        .value_kind:     hidden_global_offset_z
      - .offset:         144
        .size:           2
        .value_kind:     hidden_grid_dims
    .group_segment_fixed_size: 0
    .kernarg_segment_align: 8
    .kernarg_segment_size: 336
    .language:       OpenCL C
    .language_version:
      - 2
      - 0
    .max_flat_workgroup_size: 64
    .name:           _ZL36rocblas_hemvn_kernel_upper_block_sumILi64EifPffEviT1_lS1_lT2_lT0_lPT3_i
    .private_segment_fixed_size: 0
    .sgpr_count:     24
    .sgpr_spill_count: 0
    .symbol:         _ZL36rocblas_hemvn_kernel_upper_block_sumILi64EifPffEviT1_lS1_lT2_lT0_lPT3_i.kd
    .uniform_work_group_size: 1
    .uses_dynamic_stack: false
    .vgpr_count:     6
    .vgpr_spill_count: 0
    .wavefront_size: 64
  - .agpr_count:     0
    .args:
      - .offset:         0
        .size:           1
        .value_kind:     by_value
      - .offset:         4
        .size:           4
        .value_kind:     by_value
      - .offset:         8
        .size:           8
        .value_kind:     by_value
      - .offset:         16
        .size:           8
        .value_kind:     by_value
      - .address_space:  global
        .offset:         24
        .size:           8
        .value_kind:     global_buffer
      - .offset:         32
        .size:           8
        .value_kind:     by_value
      - .offset:         40
        .size:           8
        .value_kind:     by_value
      - .offset:         48
        .size:           8
        .value_kind:     by_value
      - .address_space:  global
        .offset:         56
        .size:           8
        .value_kind:     global_buffer
      - .offset:         64
        .size:           8
        .value_kind:     by_value
      - .offset:         72
        .size:           8
        .value_kind:     by_value
      - .offset:         80
        .size:           8
        .value_kind:     by_value
      - .offset:         88
        .size:           8
        .value_kind:     by_value
      - .offset:         96
        .size:           8
        .value_kind:     by_value
      - .address_space:  global
        .offset:         104
        .size:           8
        .value_kind:     global_buffer
      - .offset:         112
        .size:           8
        .value_kind:     by_value
      - .offset:         120
        .size:           8
        .value_kind:     by_value
      - .offset:         128
        .size:           8
        .value_kind:     by_value
      - .offset:         136
        .size:           4
        .value_kind:     by_value
    .group_segment_fixed_size: 5248
    .kernarg_segment_align: 8
    .kernarg_segment_size: 140
    .language:       OpenCL C
    .language_version:
      - 2
      - 0
    .max_flat_workgroup_size: 128
    .name:           _ZL50rocblas_symv_kernel_lower_double_buffered_diagonalILi32ELi4E24rocblas_internal_val_ptrIfEPKfPfEvbiT1_lT2_lllS6_lllS5_lT3_llli
    .private_segment_fixed_size: 0
    .sgpr_count:     38
    .sgpr_spill_count: 0
    .symbol:         _ZL50rocblas_symv_kernel_lower_double_buffered_diagonalILi32ELi4E24rocblas_internal_val_ptrIfEPKfPfEvbiT1_lT2_lllS6_lllS5_lT3_llli.kd
    .uniform_work_group_size: 1
    .uses_dynamic_stack: false
    .vgpr_count:     22
    .vgpr_spill_count: 0
    .wavefront_size: 64
  - .agpr_count:     0
    .args:
      - .offset:         0
        .size:           1
        .value_kind:     by_value
      - .offset:         4
        .size:           4
        .value_kind:     by_value
      - .offset:         8
        .size:           8
        .value_kind:     by_value
      - .offset:         16
        .size:           8
        .value_kind:     by_value
      - .address_space:  global
        .offset:         24
        .size:           8
        .value_kind:     global_buffer
      - .offset:         32
        .size:           8
        .value_kind:     by_value
      - .offset:         40
        .size:           8
        .value_kind:     by_value
      - .offset:         48
        .size:           8
        .value_kind:     by_value
      - .address_space:  global
        .offset:         56
        .size:           8
        .value_kind:     global_buffer
      - .offset:         64
        .size:           8
        .value_kind:     by_value
      - .offset:         72
        .size:           8
        .value_kind:     by_value
      - .offset:         80
        .size:           8
        .value_kind:     by_value
      - .address_space:  global
        .offset:         88
        .size:           8
        .value_kind:     global_buffer
      - .offset:         96
        .size:           8
        .value_kind:     by_value
      - .offset:         104
        .size:           8
        .value_kind:     by_value
      - .offset:         112
        .size:           8
        .value_kind:     by_value
      - .offset:         120
        .size:           4
        .value_kind:     by_value
      - .offset:         128
        .size:           4
        .value_kind:     hidden_block_count_x
      - .offset:         132
        .size:           4
        .value_kind:     hidden_block_count_y
      - .offset:         136
        .size:           4
        .value_kind:     hidden_block_count_z
      - .offset:         140
        .size:           2
        .value_kind:     hidden_group_size_x
      - .offset:         142
        .size:           2
        .value_kind:     hidden_group_size_y
      - .offset:         144
        .size:           2
        .value_kind:     hidden_group_size_z
      - .offset:         146
        .size:           2
        .value_kind:     hidden_remainder_x
      - .offset:         148
        .size:           2
        .value_kind:     hidden_remainder_y
      - .offset:         150
        .size:           2
        .value_kind:     hidden_remainder_z
      - .offset:         168
        .size:           8
        .value_kind:     hidden_global_offset_x
      - .offset:         176
        .size:           8
        .value_kind:     hidden_global_offset_y
      - .offset:         184
        .size:           8
        .value_kind:     hidden_global_offset_z
      - .offset:         192
        .size:           2
        .value_kind:     hidden_grid_dims
    .group_segment_fixed_size: 3200
    .kernarg_segment_align: 8
    .kernarg_segment_size: 384
    .language:       OpenCL C
    .language_version:
      - 2
      - 0
    .max_flat_workgroup_size: 128
    .name:           _ZL54rocblas_symv_kernel_lower_double_buffered_non_diagonalILi32ELi4ELi4E24rocblas_internal_val_ptrIfEPKfPfEvbiT2_lT3_lllS6_lllT4_llli
    .private_segment_fixed_size: 0
    .sgpr_count:     38
    .sgpr_spill_count: 0
    .symbol:         _ZL54rocblas_symv_kernel_lower_double_buffered_non_diagonalILi32ELi4ELi4E24rocblas_internal_val_ptrIfEPKfPfEvbiT2_lT3_lllS6_lllT4_llli.kd
    .uniform_work_group_size: 1
    .uses_dynamic_stack: false
    .vgpr_count:     48
    .vgpr_spill_count: 0
    .wavefront_size: 64
  - .agpr_count:     0
    .args:
      - .offset:         0
        .size:           1
        .value_kind:     by_value
      - .offset:         4
        .size:           4
        .value_kind:     by_value
      - .offset:         8
        .size:           8
        .value_kind:     by_value
      - .offset:         16
        .size:           8
        .value_kind:     by_value
      - .address_space:  global
        .offset:         24
        .size:           8
        .value_kind:     global_buffer
      - .offset:         32
        .size:           8
        .value_kind:     by_value
      - .offset:         40
        .size:           8
        .value_kind:     by_value
      - .offset:         48
        .size:           8
        .value_kind:     by_value
      - .address_space:  global
        .offset:         56
        .size:           8
        .value_kind:     global_buffer
      - .offset:         64
        .size:           8
        .value_kind:     by_value
      - .offset:         72
        .size:           8
        .value_kind:     by_value
      - .offset:         80
        .size:           8
        .value_kind:     by_value
      - .offset:         88
        .size:           8
        .value_kind:     by_value
      - .offset:         96
        .size:           8
        .value_kind:     by_value
      - .address_space:  global
        .offset:         104
        .size:           8
        .value_kind:     global_buffer
      - .offset:         112
        .size:           8
        .value_kind:     by_value
      - .offset:         120
        .size:           8
        .value_kind:     by_value
      - .offset:         128
        .size:           8
        .value_kind:     by_value
      - .offset:         136
        .size:           4
        .value_kind:     by_value
      - .offset:         140
        .size:           4
        .value_kind:     by_value
      - .offset:         144
        .size:           4
        .value_kind:     hidden_block_count_x
      - .offset:         148
        .size:           4
        .value_kind:     hidden_block_count_y
      - .offset:         152
        .size:           4
        .value_kind:     hidden_block_count_z
      - .offset:         156
        .size:           2
        .value_kind:     hidden_group_size_x
      - .offset:         158
        .size:           2
        .value_kind:     hidden_group_size_y
      - .offset:         160
        .size:           2
        .value_kind:     hidden_group_size_z
      - .offset:         162
        .size:           2
        .value_kind:     hidden_remainder_x
      - .offset:         164
        .size:           2
        .value_kind:     hidden_remainder_y
      - .offset:         166
        .size:           2
        .value_kind:     hidden_remainder_z
      - .offset:         184
        .size:           8
        .value_kind:     hidden_global_offset_x
      - .offset:         192
        .size:           8
        .value_kind:     hidden_global_offset_y
      - .offset:         200
        .size:           8
        .value_kind:     hidden_global_offset_z
      - .offset:         208
        .size:           2
        .value_kind:     hidden_grid_dims
    .group_segment_fixed_size: 5248
    .kernarg_segment_align: 8
    .kernarg_segment_size: 400
    .language:       OpenCL C
    .language_version:
      - 2
      - 0
    .max_flat_workgroup_size: 128
    .name:           _ZL58rocblas_symv_kernel_lower_double_buffered_diagonal_genericILi32ELi4E24rocblas_internal_val_ptrIfEPKfPfEvbiT1_lT2_lllS6_lllS5_lT3_lllii
    .private_segment_fixed_size: 0
    .sgpr_count:     48
    .sgpr_spill_count: 0
    .symbol:         _ZL58rocblas_symv_kernel_lower_double_buffered_diagonal_genericILi32ELi4E24rocblas_internal_val_ptrIfEPKfPfEvbiT1_lT2_lllS6_lllS5_lT3_lllii.kd
    .uniform_work_group_size: 1
    .uses_dynamic_stack: false
    .vgpr_count:     23
    .vgpr_spill_count: 0
    .wavefront_size: 64
  - .agpr_count:     0
    .args:
      - .offset:         0
        .size:           1
        .value_kind:     by_value
      - .offset:         4
        .size:           4
        .value_kind:     by_value
      - .offset:         8
        .size:           8
        .value_kind:     by_value
      - .offset:         16
        .size:           8
        .value_kind:     by_value
      - .address_space:  global
        .offset:         24
        .size:           8
        .value_kind:     global_buffer
      - .offset:         32
        .size:           8
        .value_kind:     by_value
      - .offset:         40
        .size:           8
        .value_kind:     by_value
      - .offset:         48
        .size:           8
        .value_kind:     by_value
      - .address_space:  global
        .offset:         56
        .size:           8
        .value_kind:     global_buffer
      - .offset:         64
        .size:           8
        .value_kind:     by_value
      - .offset:         72
        .size:           8
        .value_kind:     by_value
      - .offset:         80
        .size:           8
        .value_kind:     by_value
      - .address_space:  global
        .offset:         88
        .size:           8
        .value_kind:     global_buffer
      - .offset:         96
        .size:           8
        .value_kind:     by_value
      - .offset:         104
        .size:           8
        .value_kind:     by_value
      - .offset:         112
        .size:           8
        .value_kind:     by_value
      - .offset:         120
        .size:           4
        .value_kind:     by_value
      - .offset:         124
        .size:           4
        .value_kind:     by_value
      - .offset:         128
        .size:           4
        .value_kind:     hidden_block_count_x
      - .offset:         132
        .size:           4
        .value_kind:     hidden_block_count_y
      - .offset:         136
        .size:           4
        .value_kind:     hidden_block_count_z
      - .offset:         140
        .size:           2
        .value_kind:     hidden_group_size_x
      - .offset:         142
        .size:           2
        .value_kind:     hidden_group_size_y
      - .offset:         144
        .size:           2
        .value_kind:     hidden_group_size_z
      - .offset:         146
        .size:           2
        .value_kind:     hidden_remainder_x
      - .offset:         148
        .size:           2
        .value_kind:     hidden_remainder_y
      - .offset:         150
        .size:           2
        .value_kind:     hidden_remainder_z
      - .offset:         168
        .size:           8
        .value_kind:     hidden_global_offset_x
      - .offset:         176
        .size:           8
        .value_kind:     hidden_global_offset_y
      - .offset:         184
        .size:           8
        .value_kind:     hidden_global_offset_z
      - .offset:         192
        .size:           2
        .value_kind:     hidden_grid_dims
    .group_segment_fixed_size: 3200
    .kernarg_segment_align: 8
    .kernarg_segment_size: 384
    .language:       OpenCL C
    .language_version:
      - 2
      - 0
    .max_flat_workgroup_size: 128
    .name:           _ZL62rocblas_symv_kernel_lower_double_buffered_non_diagonal_genericILi32ELi4ELi4E24rocblas_internal_val_ptrIfEPKfPfEvbiT2_lT3_lllS6_lllT4_lllii
    .private_segment_fixed_size: 0
    .sgpr_count:     42
    .sgpr_spill_count: 0
    .symbol:         _ZL62rocblas_symv_kernel_lower_double_buffered_non_diagonal_genericILi32ELi4ELi4E24rocblas_internal_val_ptrIfEPKfPfEvbiT2_lT3_lllS6_lllT4_lllii.kd
    .uniform_work_group_size: 1
    .uses_dynamic_stack: false
    .vgpr_count:     52
    .vgpr_spill_count: 0
    .wavefront_size: 64
  - .agpr_count:     0
    .args:
      - .offset:         0
        .size:           4
        .value_kind:     by_value
      - .address_space:  global
        .offset:         8
        .size:           8
        .value_kind:     global_buffer
      - .offset:         16
        .size:           8
        .value_kind:     by_value
      - .address_space:  global
        .offset:         24
        .size:           8
        .value_kind:     global_buffer
      - .offset:         32
        .size:           8
        .value_kind:     by_value
      - .offset:         40
        .size:           8
        .value_kind:     by_value
      - .offset:         48
        .size:           8
        .value_kind:     by_value
      - .address_space:  global
        .offset:         56
        .size:           8
        .value_kind:     global_buffer
      - .offset:         64
        .size:           8
        .value_kind:     by_value
      - .offset:         72
        .size:           8
        .value_kind:     by_value
      - .offset:         80
        .size:           8
        .value_kind:     by_value
      - .address_space:  global
        .offset:         88
        .size:           8
        .value_kind:     global_buffer
      - .offset:         96
        .size:           8
        .value_kind:     by_value
      - .address_space:  global
        .offset:         104
        .size:           8
        .value_kind:     global_buffer
      - .offset:         112
        .size:           4
        .value_kind:     by_value
      - .offset:         120
        .size:           4
        .value_kind:     hidden_block_count_x
      - .offset:         124
        .size:           4
        .value_kind:     hidden_block_count_y
      - .offset:         128
        .size:           4
        .value_kind:     hidden_block_count_z
      - .offset:         132
        .size:           2
        .value_kind:     hidden_group_size_x
      - .offset:         134
        .size:           2
        .value_kind:     hidden_group_size_y
      - .offset:         136
        .size:           2
        .value_kind:     hidden_group_size_z
      - .offset:         138
        .size:           2
        .value_kind:     hidden_remainder_x
      - .offset:         140
        .size:           2
        .value_kind:     hidden_remainder_y
      - .offset:         142
        .size:           2
        .value_kind:     hidden_remainder_z
      - .offset:         160
        .size:           8
        .value_kind:     hidden_global_offset_x
      - .offset:         168
        .size:           8
        .value_kind:     hidden_global_offset_y
      - .offset:         176
        .size:           8
        .value_kind:     hidden_global_offset_z
      - .offset:         184
        .size:           2
        .value_kind:     hidden_grid_dims
    .group_segment_fixed_size: 4800
    .kernarg_segment_align: 8
    .kernarg_segment_size: 376
    .language:       OpenCL C
    .language_version:
      - 2
      - 0
    .max_flat_workgroup_size: 256
    .name:           _ZL26rocblas_hemvn_kernel_lowerILb0ELi64ELi4ELi33ELi32ELi16ElPKfS1_PfEviT6_lT7_lT5_lS4_lS5_lS3_lT8_i
    .private_segment_fixed_size: 0
    .sgpr_count:     52
    .sgpr_spill_count: 0
    .symbol:         _ZL26rocblas_hemvn_kernel_lowerILb0ELi64ELi4ELi33ELi32ELi16ElPKfS1_PfEviT6_lT7_lT5_lS4_lS5_lS3_lT8_i.kd
    .uniform_work_group_size: 1
    .uses_dynamic_stack: false
    .vgpr_count:     82
    .vgpr_spill_count: 0
    .wavefront_size: 64
  - .agpr_count:     0
    .args:
      - .offset:         0
        .size:           4
        .value_kind:     by_value
      - .address_space:  global
        .offset:         8
        .size:           8
        .value_kind:     global_buffer
      - .offset:         16
        .size:           8
        .value_kind:     by_value
      - .address_space:  global
        .offset:         24
        .size:           8
        .value_kind:     global_buffer
      - .offset:         32
        .size:           8
        .value_kind:     by_value
      - .address_space:  global
        .offset:         40
        .size:           8
        .value_kind:     global_buffer
      - .offset:         48
        .size:           8
        .value_kind:     by_value
      - .offset:         56
        .size:           8
        .value_kind:     by_value
      - .offset:         64
        .size:           8
        .value_kind:     by_value
      - .actual_access:  read_only
        .address_space:  global
        .offset:         72
        .size:           8
        .value_kind:     global_buffer
      - .offset:         80
        .size:           4
        .value_kind:     by_value
      - .offset:         88
        .size:           4
        .value_kind:     hidden_block_count_x
      - .offset:         92
        .size:           4
        .value_kind:     hidden_block_count_y
      - .offset:         96
        .size:           4
        .value_kind:     hidden_block_count_z
      - .offset:         100
        .size:           2
        .value_kind:     hidden_group_size_x
      - .offset:         102
        .size:           2
        .value_kind:     hidden_group_size_y
      - .offset:         104
        .size:           2
        .value_kind:     hidden_group_size_z
      - .offset:         106
        .size:           2
        .value_kind:     hidden_remainder_x
      - .offset:         108
        .size:           2
        .value_kind:     hidden_remainder_y
      - .offset:         110
        .size:           2
        .value_kind:     hidden_remainder_z
      - .offset:         128
        .size:           8
        .value_kind:     hidden_global_offset_x
      - .offset:         136
        .size:           8
        .value_kind:     hidden_global_offset_y
      - .offset:         144
        .size:           8
        .value_kind:     hidden_global_offset_z
      - .offset:         152
        .size:           2
        .value_kind:     hidden_grid_dims
    .group_segment_fixed_size: 0
    .kernarg_segment_align: 8
    .kernarg_segment_size: 344
    .language:       OpenCL C
    .language_version:
      - 2
      - 0
    .max_flat_workgroup_size: 64
    .name:           _ZL36rocblas_hemvn_kernel_lower_block_sumILi64ElPKfPffEviT1_lS3_lT2_lT0_lPT3_i
    .private_segment_fixed_size: 0
    .sgpr_count:     24
    .sgpr_spill_count: 0
    .symbol:         _ZL36rocblas_hemvn_kernel_lower_block_sumILi64ElPKfPffEviT1_lS3_lT2_lT0_lPT3_i.kd
    .uniform_work_group_size: 1
    .uses_dynamic_stack: false
    .vgpr_count:     7
    .vgpr_spill_count: 0
    .wavefront_size: 64
  - .agpr_count:     0
    .args:
      - .offset:         0
        .size:           4
        .value_kind:     by_value
      - .address_space:  global
        .offset:         8
        .size:           8
        .value_kind:     global_buffer
      - .offset:         16
        .size:           8
        .value_kind:     by_value
      - .address_space:  global
        .offset:         24
        .size:           8
        .value_kind:     global_buffer
      - .offset:         32
        .size:           8
        .value_kind:     by_value
      - .offset:         40
        .size:           4
        .value_kind:     by_value
      - .offset:         48
        .size:           8
        .value_kind:     by_value
      - .address_space:  global
        .offset:         56
        .size:           8
        .value_kind:     global_buffer
      - .offset:         64
        .size:           8
        .value_kind:     by_value
      - .offset:         72
        .size:           4
        .value_kind:     by_value
      - .offset:         80
        .size:           8
        .value_kind:     by_value
      - .address_space:  global
        .offset:         88
        .size:           8
        .value_kind:     global_buffer
      - .offset:         96
        .size:           8
        .value_kind:     by_value
      - .address_space:  global
        .offset:         104
        .size:           8
        .value_kind:     global_buffer
      - .offset:         112
        .size:           4
        .value_kind:     by_value
      - .offset:         120
        .size:           4
        .value_kind:     hidden_block_count_x
      - .offset:         124
        .size:           4
        .value_kind:     hidden_block_count_y
      - .offset:         128
        .size:           4
        .value_kind:     hidden_block_count_z
      - .offset:         132
        .size:           2
        .value_kind:     hidden_group_size_x
      - .offset:         134
        .size:           2
        .value_kind:     hidden_group_size_y
      - .offset:         136
        .size:           2
        .value_kind:     hidden_group_size_z
      - .offset:         138
        .size:           2
        .value_kind:     hidden_remainder_x
      - .offset:         140
        .size:           2
        .value_kind:     hidden_remainder_y
      - .offset:         142
        .size:           2
        .value_kind:     hidden_remainder_z
      - .offset:         160
        .size:           8
        .value_kind:     hidden_global_offset_x
      - .offset:         168
        .size:           8
        .value_kind:     hidden_global_offset_y
      - .offset:         176
        .size:           8
        .value_kind:     hidden_global_offset_z
      - .offset:         184
        .size:           2
        .value_kind:     hidden_grid_dims
    .group_segment_fixed_size: 4800
    .kernarg_segment_align: 8
    .kernarg_segment_size: 376
    .language:       OpenCL C
    .language_version:
      - 2
      - 0
    .max_flat_workgroup_size: 256
    .name:           _ZL26rocblas_hemvn_kernel_lowerILb0ELi64ELi4ELi33ELi32ELi16EiPKfS1_PfEviT6_lT7_lT5_lS4_lS5_lS3_lT8_i
    .private_segment_fixed_size: 0
    .sgpr_count:     50
    .sgpr_spill_count: 0
    .symbol:         _ZL26rocblas_hemvn_kernel_lowerILb0ELi64ELi4ELi33ELi32ELi16EiPKfS1_PfEviT6_lT7_lT5_lS4_lS5_lS3_lT8_i.kd
    .uniform_work_group_size: 1
    .uses_dynamic_stack: false
    .vgpr_count:     82
    .vgpr_spill_count: 0
    .wavefront_size: 64
  - .agpr_count:     0
    .args:
      - .offset:         0
        .size:           4
        .value_kind:     by_value
      - .address_space:  global
        .offset:         8
        .size:           8
        .value_kind:     global_buffer
      - .offset:         16
        .size:           8
        .value_kind:     by_value
      - .address_space:  global
        .offset:         24
        .size:           8
        .value_kind:     global_buffer
      - .offset:         32
        .size:           8
        .value_kind:     by_value
      - .address_space:  global
        .offset:         40
        .size:           8
        .value_kind:     global_buffer
      - .offset:         48
        .size:           8
        .value_kind:     by_value
      - .offset:         56
        .size:           4
        .value_kind:     by_value
      - .offset:         64
        .size:           8
        .value_kind:     by_value
      - .actual_access:  read_only
        .address_space:  global
        .offset:         72
        .size:           8
        .value_kind:     global_buffer
      - .offset:         80
        .size:           4
        .value_kind:     by_value
      - .offset:         88
        .size:           4
        .value_kind:     hidden_block_count_x
      - .offset:         92
        .size:           4
        .value_kind:     hidden_block_count_y
      - .offset:         96
        .size:           4
        .value_kind:     hidden_block_count_z
      - .offset:         100
        .size:           2
        .value_kind:     hidden_group_size_x
      - .offset:         102
        .size:           2
        .value_kind:     hidden_group_size_y
      - .offset:         104
        .size:           2
        .value_kind:     hidden_group_size_z
      - .offset:         106
        .size:           2
        .value_kind:     hidden_remainder_x
      - .offset:         108
        .size:           2
        .value_kind:     hidden_remainder_y
      - .offset:         110
        .size:           2
        .value_kind:     hidden_remainder_z
      - .offset:         128
        .size:           8
        .value_kind:     hidden_global_offset_x
      - .offset:         136
        .size:           8
        .value_kind:     hidden_global_offset_y
      - .offset:         144
        .size:           8
        .value_kind:     hidden_global_offset_z
      - .offset:         152
        .size:           2
        .value_kind:     hidden_grid_dims
    .group_segment_fixed_size: 0
    .kernarg_segment_align: 8
    .kernarg_segment_size: 344
    .language:       OpenCL C
    .language_version:
      - 2
      - 0
    .max_flat_workgroup_size: 64
    .name:           _ZL36rocblas_hemvn_kernel_lower_block_sumILi64EiPKfPffEviT1_lS3_lT2_lT0_lPT3_i
    .private_segment_fixed_size: 0
    .sgpr_count:     24
    .sgpr_spill_count: 0
    .symbol:         _ZL36rocblas_hemvn_kernel_lower_block_sumILi64EiPKfPffEviT1_lS3_lT2_lT0_lPT3_i.kd
    .uniform_work_group_size: 1
    .uses_dynamic_stack: false
    .vgpr_count:     6
    .vgpr_spill_count: 0
    .wavefront_size: 64
  - .agpr_count:     0
    .args:
      - .offset:         0
        .size:           4
        .value_kind:     by_value
      - .offset:         4
        .size:           4
        .value_kind:     by_value
      - .offset:         8
        .size:           8
        .value_kind:     by_value
      - .address_space:  global
        .offset:         16
        .size:           8
        .value_kind:     global_buffer
      - .offset:         24
        .size:           8
        .value_kind:     by_value
      - .offset:         32
        .size:           8
        .value_kind:     by_value
      - .offset:         40
        .size:           8
        .value_kind:     by_value
      - .address_space:  global
        .offset:         48
        .size:           8
        .value_kind:     global_buffer
      - .offset:         56
        .size:           8
        .value_kind:     by_value
      - .offset:         64
        .size:           8
        .value_kind:     by_value
      - .offset:         72
        .size:           8
        .value_kind:     by_value
      - .offset:         80
        .size:           4
        .value_kind:     by_value
      - .offset:         88
        .size:           8
        .value_kind:     by_value
      - .address_space:  global
        .offset:         96
        .size:           8
        .value_kind:     global_buffer
      - .offset:         104
        .size:           4
        .value_kind:     by_value
      - .offset:         112
        .size:           4
        .value_kind:     hidden_block_count_x
      - .offset:         116
        .size:           4
        .value_kind:     hidden_block_count_y
      - .offset:         120
        .size:           4
        .value_kind:     hidden_block_count_z
      - .offset:         124
        .size:           2
        .value_kind:     hidden_group_size_x
      - .offset:         126
        .size:           2
        .value_kind:     hidden_group_size_y
      - .offset:         128
        .size:           2
        .value_kind:     hidden_group_size_z
      - .offset:         130
        .size:           2
        .value_kind:     hidden_remainder_x
      - .offset:         132
        .size:           2
        .value_kind:     hidden_remainder_y
      - .offset:         134
        .size:           2
        .value_kind:     hidden_remainder_z
      - .offset:         152
        .size:           8
        .value_kind:     hidden_global_offset_x
      - .offset:         160
        .size:           8
        .value_kind:     hidden_global_offset_y
      - .offset:         168
        .size:           8
        .value_kind:     hidden_global_offset_z
      - .offset:         176
        .size:           2
        .value_kind:     hidden_grid_dims
    .group_segment_fixed_size: 4800
    .kernarg_segment_align: 8
    .kernarg_segment_size: 368
    .language:       OpenCL C
    .language_version:
      - 2
      - 0
    .max_flat_workgroup_size: 256
    .name:           _ZL26rocblas_hemvn_kernel_lowerILb0ELi64ELi4ELi33ELi32ELi16ElfPKfPfEviT6_lT7_lT5_lS4_lS5_lS3_lT8_i
    .private_segment_fixed_size: 0
    .sgpr_count:     56
    .sgpr_spill_count: 0
    .symbol:         _ZL26rocblas_hemvn_kernel_lowerILb0ELi64ELi4ELi33ELi32ELi16ElfPKfPfEviT6_lT7_lT5_lS4_lS5_lS3_lT8_i.kd
    .uniform_work_group_size: 1
    .uses_dynamic_stack: false
    .vgpr_count:     84
    .vgpr_spill_count: 0
    .wavefront_size: 64
  - .agpr_count:     0
    .args:
      - .offset:         0
        .size:           4
        .value_kind:     by_value
      - .offset:         4
        .size:           4
        .value_kind:     by_value
      - .offset:         8
        .size:           8
        .value_kind:     by_value
      - .offset:         16
        .size:           4
        .value_kind:     by_value
      - .offset:         24
        .size:           8
        .value_kind:     by_value
      - .address_space:  global
        .offset:         32
        .size:           8
        .value_kind:     global_buffer
      - .offset:         40
        .size:           8
        .value_kind:     by_value
      - .offset:         48
        .size:           8
        .value_kind:     by_value
      - .offset:         56
        .size:           8
        .value_kind:     by_value
      - .actual_access:  read_only
        .address_space:  global
        .offset:         64
        .size:           8
        .value_kind:     global_buffer
      - .offset:         72
        .size:           4
        .value_kind:     by_value
      - .offset:         80
        .size:           4
        .value_kind:     hidden_block_count_x
      - .offset:         84
        .size:           4
        .value_kind:     hidden_block_count_y
      - .offset:         88
        .size:           4
        .value_kind:     hidden_block_count_z
      - .offset:         92
        .size:           2
        .value_kind:     hidden_group_size_x
      - .offset:         94
        .size:           2
        .value_kind:     hidden_group_size_y
      - .offset:         96
        .size:           2
        .value_kind:     hidden_group_size_z
      - .offset:         98
        .size:           2
        .value_kind:     hidden_remainder_x
      - .offset:         100
        .size:           2
        .value_kind:     hidden_remainder_y
      - .offset:         102
        .size:           2
        .value_kind:     hidden_remainder_z
      - .offset:         120
        .size:           8
        .value_kind:     hidden_global_offset_x
      - .offset:         128
        .size:           8
        .value_kind:     hidden_global_offset_y
      - .offset:         136
        .size:           8
        .value_kind:     hidden_global_offset_z
      - .offset:         144
        .size:           2
        .value_kind:     hidden_grid_dims
    .group_segment_fixed_size: 0
    .kernarg_segment_align: 8
    .kernarg_segment_size: 336
    .language:       OpenCL C
    .language_version:
      - 2
      - 0
    .max_flat_workgroup_size: 64
    .name:           _ZL36rocblas_hemvn_kernel_lower_block_sumILi64ElfPffEviT1_lS1_lT2_lT0_lPT3_i
    .private_segment_fixed_size: 0
    .sgpr_count:     26
    .sgpr_spill_count: 0
    .symbol:         _ZL36rocblas_hemvn_kernel_lower_block_sumILi64ElfPffEviT1_lS1_lT2_lT0_lPT3_i.kd
    .uniform_work_group_size: 1
    .uses_dynamic_stack: false
    .vgpr_count:     7
    .vgpr_spill_count: 0
    .wavefront_size: 64
  - .agpr_count:     0
    .args:
      - .offset:         0
        .size:           4
        .value_kind:     by_value
      - .offset:         4
        .size:           4
        .value_kind:     by_value
      - .offset:         8
        .size:           8
        .value_kind:     by_value
      - .address_space:  global
        .offset:         16
        .size:           8
        .value_kind:     global_buffer
      - .offset:         24
        .size:           8
        .value_kind:     by_value
      - .offset:         32
        .size:           4
        .value_kind:     by_value
      - .offset:         40
        .size:           8
        .value_kind:     by_value
      - .address_space:  global
        .offset:         48
        .size:           8
        .value_kind:     global_buffer
      - .offset:         56
        .size:           8
        .value_kind:     by_value
      - .offset:         64
        .size:           4
        .value_kind:     by_value
      - .offset:         72
        .size:           8
        .value_kind:     by_value
      - .offset:         80
        .size:           4
        .value_kind:     by_value
      - .offset:         88
        .size:           8
        .value_kind:     by_value
      - .address_space:  global
        .offset:         96
        .size:           8
        .value_kind:     global_buffer
      - .offset:         104
        .size:           4
        .value_kind:     by_value
      - .offset:         112
        .size:           4
        .value_kind:     hidden_block_count_x
      - .offset:         116
        .size:           4
        .value_kind:     hidden_block_count_y
      - .offset:         120
        .size:           4
        .value_kind:     hidden_block_count_z
      - .offset:         124
        .size:           2
        .value_kind:     hidden_group_size_x
      - .offset:         126
        .size:           2
        .value_kind:     hidden_group_size_y
      - .offset:         128
        .size:           2
        .value_kind:     hidden_group_size_z
      - .offset:         130
        .size:           2
        .value_kind:     hidden_remainder_x
      - .offset:         132
        .size:           2
        .value_kind:     hidden_remainder_y
      - .offset:         134
        .size:           2
        .value_kind:     hidden_remainder_z
      - .offset:         152
        .size:           8
        .value_kind:     hidden_global_offset_x
      - .offset:         160
        .size:           8
        .value_kind:     hidden_global_offset_y
      - .offset:         168
        .size:           8
        .value_kind:     hidden_global_offset_z
      - .offset:         176
        .size:           2
        .value_kind:     hidden_grid_dims
    .group_segment_fixed_size: 4800
    .kernarg_segment_align: 8
    .kernarg_segment_size: 368
    .language:       OpenCL C
    .language_version:
      - 2
      - 0
    .max_flat_workgroup_size: 256
    .name:           _ZL26rocblas_hemvn_kernel_lowerILb0ELi64ELi4ELi33ELi32ELi16EifPKfPfEviT6_lT7_lT5_lS4_lS5_lS3_lT8_i
    .private_segment_fixed_size: 0
    .sgpr_count:     50
    .sgpr_spill_count: 0
    .symbol:         _ZL26rocblas_hemvn_kernel_lowerILb0ELi64ELi4ELi33ELi32ELi16EifPKfPfEviT6_lT7_lT5_lS4_lS5_lS3_lT8_i.kd
    .uniform_work_group_size: 1
    .uses_dynamic_stack: false
    .vgpr_count:     82
    .vgpr_spill_count: 0
    .wavefront_size: 64
  - .agpr_count:     0
    .args:
      - .offset:         0
        .size:           4
        .value_kind:     by_value
      - .offset:         4
        .size:           4
        .value_kind:     by_value
      - .offset:         8
        .size:           8
        .value_kind:     by_value
      - .offset:         16
        .size:           4
        .value_kind:     by_value
      - .offset:         24
        .size:           8
        .value_kind:     by_value
      - .address_space:  global
        .offset:         32
        .size:           8
        .value_kind:     global_buffer
      - .offset:         40
        .size:           8
        .value_kind:     by_value
      - .offset:         48
        .size:           4
        .value_kind:     by_value
      - .offset:         56
        .size:           8
        .value_kind:     by_value
      - .actual_access:  read_only
        .address_space:  global
        .offset:         64
        .size:           8
        .value_kind:     global_buffer
      - .offset:         72
        .size:           4
        .value_kind:     by_value
      - .offset:         80
        .size:           4
        .value_kind:     hidden_block_count_x
      - .offset:         84
        .size:           4
        .value_kind:     hidden_block_count_y
      - .offset:         88
        .size:           4
        .value_kind:     hidden_block_count_z
      - .offset:         92
        .size:           2
        .value_kind:     hidden_group_size_x
      - .offset:         94
        .size:           2
        .value_kind:     hidden_group_size_y
      - .offset:         96
        .size:           2
        .value_kind:     hidden_group_size_z
      - .offset:         98
        .size:           2
        .value_kind:     hidden_remainder_x
      - .offset:         100
        .size:           2
        .value_kind:     hidden_remainder_y
      - .offset:         102
        .size:           2
        .value_kind:     hidden_remainder_z
      - .offset:         120
        .size:           8
        .value_kind:     hidden_global_offset_x
      - .offset:         128
        .size:           8
        .value_kind:     hidden_global_offset_y
      - .offset:         136
        .size:           8
        .value_kind:     hidden_global_offset_z
      - .offset:         144
        .size:           2
        .value_kind:     hidden_grid_dims
    .group_segment_fixed_size: 0
    .kernarg_segment_align: 8
    .kernarg_segment_size: 336
    .language:       OpenCL C
    .language_version:
      - 2
      - 0
    .max_flat_workgroup_size: 64
    .name:           _ZL36rocblas_hemvn_kernel_lower_block_sumILi64EifPffEviT1_lS1_lT2_lT0_lPT3_i
    .private_segment_fixed_size: 0
    .sgpr_count:     24
    .sgpr_spill_count: 0
    .symbol:         _ZL36rocblas_hemvn_kernel_lower_block_sumILi64EifPffEviT1_lS1_lT2_lT0_lPT3_i.kd
    .uniform_work_group_size: 1
    .uses_dynamic_stack: false
    .vgpr_count:     6
    .vgpr_spill_count: 0
    .wavefront_size: 64
  - .agpr_count:     0
    .args:
      - .offset:         0
        .size:           1
        .value_kind:     by_value
      - .offset:         4
        .size:           4
        .value_kind:     by_value
      - .offset:         8
        .size:           8
        .value_kind:     by_value
      - .offset:         16
        .size:           8
        .value_kind:     by_value
      - .address_space:  global
        .offset:         24
        .size:           8
        .value_kind:     global_buffer
      - .offset:         32
        .size:           8
        .value_kind:     by_value
      - .offset:         40
        .size:           8
        .value_kind:     by_value
      - .offset:         48
        .size:           8
        .value_kind:     by_value
      - .address_space:  global
        .offset:         56
        .size:           8
        .value_kind:     global_buffer
      - .offset:         64
        .size:           8
        .value_kind:     by_value
      - .offset:         72
        .size:           8
        .value_kind:     by_value
      - .offset:         80
        .size:           8
        .value_kind:     by_value
      - .offset:         88
        .size:           8
        .value_kind:     by_value
      - .offset:         96
        .size:           8
        .value_kind:     by_value
      - .address_space:  global
        .offset:         104
        .size:           8
        .value_kind:     global_buffer
      - .offset:         112
        .size:           8
        .value_kind:     by_value
      - .offset:         120
        .size:           8
        .value_kind:     by_value
      - .offset:         128
        .size:           8
        .value_kind:     by_value
      - .offset:         136
        .size:           4
        .value_kind:     by_value
    .group_segment_fixed_size: 10496
    .kernarg_segment_align: 8
    .kernarg_segment_size: 140
    .language:       OpenCL C
    .language_version:
      - 2
      - 0
    .max_flat_workgroup_size: 128
    .name:           _ZL50rocblas_symv_kernel_upper_double_buffered_diagonalILi32ELi4E24rocblas_internal_val_ptrIdEPKdPdEvbiT1_lT2_lllS6_lllS5_lT3_llli
    .private_segment_fixed_size: 0
    .sgpr_count:     36
    .sgpr_spill_count: 0
    .symbol:         _ZL50rocblas_symv_kernel_upper_double_buffered_diagonalILi32ELi4E24rocblas_internal_val_ptrIdEPKdPdEvbiT1_lT2_lllS6_lllS5_lT3_llli.kd
    .uniform_work_group_size: 1
    .uses_dynamic_stack: false
    .vgpr_count:     34
    .vgpr_spill_count: 0
    .wavefront_size: 64
  - .agpr_count:     0
    .args:
      - .offset:         0
        .size:           1
        .value_kind:     by_value
      - .offset:         4
        .size:           4
        .value_kind:     by_value
      - .offset:         8
        .size:           8
        .value_kind:     by_value
      - .offset:         16
        .size:           8
        .value_kind:     by_value
      - .address_space:  global
        .offset:         24
        .size:           8
        .value_kind:     global_buffer
      - .offset:         32
        .size:           8
        .value_kind:     by_value
      - .offset:         40
        .size:           8
        .value_kind:     by_value
      - .offset:         48
        .size:           8
        .value_kind:     by_value
      - .address_space:  global
        .offset:         56
        .size:           8
        .value_kind:     global_buffer
      - .offset:         64
        .size:           8
        .value_kind:     by_value
      - .offset:         72
        .size:           8
        .value_kind:     by_value
      - .offset:         80
        .size:           8
        .value_kind:     by_value
      - .address_space:  global
        .offset:         88
        .size:           8
        .value_kind:     global_buffer
      - .offset:         96
        .size:           8
        .value_kind:     by_value
      - .offset:         104
        .size:           8
        .value_kind:     by_value
      - .offset:         112
        .size:           8
        .value_kind:     by_value
      - .offset:         120
        .size:           4
        .value_kind:     by_value
      - .offset:         128
        .size:           4
        .value_kind:     hidden_block_count_x
      - .offset:         132
        .size:           4
        .value_kind:     hidden_block_count_y
      - .offset:         136
        .size:           4
        .value_kind:     hidden_block_count_z
      - .offset:         140
        .size:           2
        .value_kind:     hidden_group_size_x
      - .offset:         142
        .size:           2
        .value_kind:     hidden_group_size_y
      - .offset:         144
        .size:           2
        .value_kind:     hidden_group_size_z
      - .offset:         146
        .size:           2
        .value_kind:     hidden_remainder_x
      - .offset:         148
        .size:           2
        .value_kind:     hidden_remainder_y
      - .offset:         150
        .size:           2
        .value_kind:     hidden_remainder_z
      - .offset:         168
        .size:           8
        .value_kind:     hidden_global_offset_x
      - .offset:         176
        .size:           8
        .value_kind:     hidden_global_offset_y
      - .offset:         184
        .size:           8
        .value_kind:     hidden_global_offset_z
      - .offset:         192
        .size:           2
        .value_kind:     hidden_grid_dims
    .group_segment_fixed_size: 6400
    .kernarg_segment_align: 8
    .kernarg_segment_size: 384
    .language:       OpenCL C
    .language_version:
      - 2
      - 0
    .max_flat_workgroup_size: 128
    .name:           _ZL54rocblas_symv_kernel_upper_double_buffered_non_diagonalILi32ELi4ELi4E24rocblas_internal_val_ptrIdEPKdPdEvbiT2_lT3_lllS6_lllT4_llli
    .private_segment_fixed_size: 0
    .sgpr_count:     36
    .sgpr_spill_count: 0
    .symbol:         _ZL54rocblas_symv_kernel_upper_double_buffered_non_diagonalILi32ELi4ELi4E24rocblas_internal_val_ptrIdEPKdPdEvbiT2_lT3_lllS6_lllT4_llli.kd
    .uniform_work_group_size: 1
    .uses_dynamic_stack: false
    .vgpr_count:     78
    .vgpr_spill_count: 0
    .wavefront_size: 64
  - .agpr_count:     0
    .args:
      - .offset:         0
        .size:           1
        .value_kind:     by_value
      - .offset:         4
        .size:           4
        .value_kind:     by_value
      - .offset:         8
        .size:           8
        .value_kind:     by_value
      - .offset:         16
        .size:           8
        .value_kind:     by_value
      - .address_space:  global
        .offset:         24
        .size:           8
        .value_kind:     global_buffer
      - .offset:         32
        .size:           8
        .value_kind:     by_value
      - .offset:         40
        .size:           8
        .value_kind:     by_value
      - .offset:         48
        .size:           8
        .value_kind:     by_value
      - .address_space:  global
        .offset:         56
        .size:           8
        .value_kind:     global_buffer
      - .offset:         64
        .size:           8
        .value_kind:     by_value
      - .offset:         72
        .size:           8
        .value_kind:     by_value
      - .offset:         80
        .size:           8
        .value_kind:     by_value
      - .offset:         88
        .size:           8
        .value_kind:     by_value
      - .offset:         96
        .size:           8
        .value_kind:     by_value
      - .address_space:  global
        .offset:         104
        .size:           8
        .value_kind:     global_buffer
      - .offset:         112
        .size:           8
        .value_kind:     by_value
      - .offset:         120
        .size:           8
        .value_kind:     by_value
      - .offset:         128
        .size:           8
        .value_kind:     by_value
      - .offset:         136
        .size:           4
        .value_kind:     by_value
      - .offset:         140
        .size:           4
        .value_kind:     by_value
      - .offset:         144
        .size:           4
        .value_kind:     hidden_block_count_x
      - .offset:         148
        .size:           4
        .value_kind:     hidden_block_count_y
      - .offset:         152
        .size:           4
        .value_kind:     hidden_block_count_z
      - .offset:         156
        .size:           2
        .value_kind:     hidden_group_size_x
      - .offset:         158
        .size:           2
        .value_kind:     hidden_group_size_y
      - .offset:         160
        .size:           2
        .value_kind:     hidden_group_size_z
      - .offset:         162
        .size:           2
        .value_kind:     hidden_remainder_x
      - .offset:         164
        .size:           2
        .value_kind:     hidden_remainder_y
      - .offset:         166
        .size:           2
        .value_kind:     hidden_remainder_z
      - .offset:         184
        .size:           8
        .value_kind:     hidden_global_offset_x
      - .offset:         192
        .size:           8
        .value_kind:     hidden_global_offset_y
      - .offset:         200
        .size:           8
        .value_kind:     hidden_global_offset_z
      - .offset:         208
        .size:           2
        .value_kind:     hidden_grid_dims
    .group_segment_fixed_size: 12544
    .kernarg_segment_align: 8
    .kernarg_segment_size: 400
    .language:       OpenCL C
    .language_version:
      - 2
      - 0
    .max_flat_workgroup_size: 256
    .name:           _ZL58rocblas_symv_kernel_upper_double_buffered_diagonal_genericILi32ELi8E24rocblas_internal_val_ptrIdEPKdPdEvbiT1_lT2_lllS6_lllS5_lT3_lllii
    .private_segment_fixed_size: 0
    .sgpr_count:     46
    .sgpr_spill_count: 0
    .symbol:         _ZL58rocblas_symv_kernel_upper_double_buffered_diagonal_genericILi32ELi8E24rocblas_internal_val_ptrIdEPKdPdEvbiT1_lT2_lllS6_lllS5_lT3_lllii.kd
    .uniform_work_group_size: 1
    .uses_dynamic_stack: false
    .vgpr_count:     40
    .vgpr_spill_count: 0
    .wavefront_size: 64
  - .agpr_count:     0
    .args:
      - .offset:         0
        .size:           1
        .value_kind:     by_value
      - .offset:         4
        .size:           4
        .value_kind:     by_value
      - .offset:         8
        .size:           8
        .value_kind:     by_value
      - .offset:         16
        .size:           8
        .value_kind:     by_value
      - .address_space:  global
        .offset:         24
        .size:           8
        .value_kind:     global_buffer
      - .offset:         32
        .size:           8
        .value_kind:     by_value
      - .offset:         40
        .size:           8
        .value_kind:     by_value
      - .offset:         48
        .size:           8
        .value_kind:     by_value
      - .address_space:  global
        .offset:         56
        .size:           8
        .value_kind:     global_buffer
      - .offset:         64
        .size:           8
        .value_kind:     by_value
      - .offset:         72
        .size:           8
        .value_kind:     by_value
      - .offset:         80
        .size:           8
        .value_kind:     by_value
      - .address_space:  global
        .offset:         88
        .size:           8
        .value_kind:     global_buffer
      - .offset:         96
        .size:           8
        .value_kind:     by_value
      - .offset:         104
        .size:           8
        .value_kind:     by_value
      - .offset:         112
        .size:           8
        .value_kind:     by_value
      - .offset:         120
        .size:           4
        .value_kind:     by_value
      - .offset:         124
        .size:           4
        .value_kind:     by_value
      - .offset:         128
        .size:           4
        .value_kind:     hidden_block_count_x
      - .offset:         132
        .size:           4
        .value_kind:     hidden_block_count_y
      - .offset:         136
        .size:           4
        .value_kind:     hidden_block_count_z
      - .offset:         140
        .size:           2
        .value_kind:     hidden_group_size_x
      - .offset:         142
        .size:           2
        .value_kind:     hidden_group_size_y
      - .offset:         144
        .size:           2
        .value_kind:     hidden_group_size_z
      - .offset:         146
        .size:           2
        .value_kind:     hidden_remainder_x
      - .offset:         148
        .size:           2
        .value_kind:     hidden_remainder_y
      - .offset:         150
        .size:           2
        .value_kind:     hidden_remainder_z
      - .offset:         168
        .size:           8
        .value_kind:     hidden_global_offset_x
      - .offset:         176
        .size:           8
        .value_kind:     hidden_global_offset_y
      - .offset:         184
        .size:           8
        .value_kind:     hidden_global_offset_z
      - .offset:         192
        .size:           2
        .value_kind:     hidden_grid_dims
    .group_segment_fixed_size: 8448
    .kernarg_segment_align: 8
    .kernarg_segment_size: 384
    .language:       OpenCL C
    .language_version:
      - 2
      - 0
    .max_flat_workgroup_size: 256
    .name:           _ZL62rocblas_symv_kernel_upper_double_buffered_non_diagonal_genericILi32ELi8ELi2ELi0E24rocblas_internal_val_ptrIdEPKdPdEvbiT3_lT4_lllS6_lllT5_lllii
    .private_segment_fixed_size: 0
    .sgpr_count:     40
    .sgpr_spill_count: 0
    .symbol:         _ZL62rocblas_symv_kernel_upper_double_buffered_non_diagonal_genericILi32ELi8ELi2ELi0E24rocblas_internal_val_ptrIdEPKdPdEvbiT3_lT4_lllS6_lllT5_lllii.kd
    .uniform_work_group_size: 1
    .uses_dynamic_stack: false
    .vgpr_count:     64
    .vgpr_spill_count: 0
    .wavefront_size: 64
  - .agpr_count:     0
    .args:
      - .offset:         0
        .size:           1
        .value_kind:     by_value
      - .offset:         4
        .size:           4
        .value_kind:     by_value
      - .offset:         8
        .size:           8
        .value_kind:     by_value
      - .offset:         16
        .size:           8
        .value_kind:     by_value
      - .address_space:  global
        .offset:         24
        .size:           8
        .value_kind:     global_buffer
      - .offset:         32
        .size:           8
        .value_kind:     by_value
      - .offset:         40
        .size:           8
        .value_kind:     by_value
      - .offset:         48
        .size:           8
        .value_kind:     by_value
      - .address_space:  global
        .offset:         56
        .size:           8
        .value_kind:     global_buffer
      - .offset:         64
        .size:           8
        .value_kind:     by_value
      - .offset:         72
        .size:           8
        .value_kind:     by_value
      - .offset:         80
        .size:           8
        .value_kind:     by_value
      - .address_space:  global
        .offset:         88
        .size:           8
        .value_kind:     global_buffer
      - .offset:         96
        .size:           8
        .value_kind:     by_value
      - .offset:         104
        .size:           8
        .value_kind:     by_value
      - .offset:         112
        .size:           8
        .value_kind:     by_value
      - .offset:         120
        .size:           4
        .value_kind:     by_value
      - .offset:         124
        .size:           4
        .value_kind:     by_value
      - .offset:         128
        .size:           4
        .value_kind:     hidden_block_count_x
      - .offset:         132
        .size:           4
        .value_kind:     hidden_block_count_y
      - .offset:         136
        .size:           4
        .value_kind:     hidden_block_count_z
      - .offset:         140
        .size:           2
        .value_kind:     hidden_group_size_x
      - .offset:         142
        .size:           2
        .value_kind:     hidden_group_size_y
      - .offset:         144
        .size:           2
        .value_kind:     hidden_group_size_z
      - .offset:         146
        .size:           2
        .value_kind:     hidden_remainder_x
      - .offset:         148
        .size:           2
        .value_kind:     hidden_remainder_y
      - .offset:         150
        .size:           2
        .value_kind:     hidden_remainder_z
      - .offset:         168
        .size:           8
        .value_kind:     hidden_global_offset_x
      - .offset:         176
        .size:           8
        .value_kind:     hidden_global_offset_y
      - .offset:         184
        .size:           8
        .value_kind:     hidden_global_offset_z
      - .offset:         192
        .size:           2
        .value_kind:     hidden_grid_dims
    .group_segment_fixed_size: 8448
    .kernarg_segment_align: 8
    .kernarg_segment_size: 384
    .language:       OpenCL C
    .language_version:
      - 2
      - 0
    .max_flat_workgroup_size: 256
    .name:           _ZL62rocblas_symv_kernel_upper_double_buffered_non_diagonal_genericILi32ELi8ELi2ELi1E24rocblas_internal_val_ptrIdEPKdPdEvbiT3_lT4_lllS6_lllT5_lllii
    .private_segment_fixed_size: 0
    .sgpr_count:     41
    .sgpr_spill_count: 0
    .symbol:         _ZL62rocblas_symv_kernel_upper_double_buffered_non_diagonal_genericILi32ELi8ELi2ELi1E24rocblas_internal_val_ptrIdEPKdPdEvbiT3_lT4_lllS6_lllT5_lllii.kd
    .uniform_work_group_size: 1
    .uses_dynamic_stack: false
    .vgpr_count:     62
    .vgpr_spill_count: 0
    .wavefront_size: 64
  - .agpr_count:     0
    .args:
      - .offset:         0
        .size:           4
        .value_kind:     by_value
      - .address_space:  global
        .offset:         8
        .size:           8
        .value_kind:     global_buffer
      - .offset:         16
        .size:           8
        .value_kind:     by_value
      - .address_space:  global
        .offset:         24
        .size:           8
        .value_kind:     global_buffer
      - .offset:         32
        .size:           8
        .value_kind:     by_value
      - .offset:         40
        .size:           8
        .value_kind:     by_value
      - .offset:         48
        .size:           8
        .value_kind:     by_value
      - .address_space:  global
        .offset:         56
        .size:           8
        .value_kind:     global_buffer
      - .offset:         64
        .size:           8
        .value_kind:     by_value
      - .offset:         72
        .size:           8
        .value_kind:     by_value
      - .offset:         80
        .size:           8
        .value_kind:     by_value
      - .address_space:  global
        .offset:         88
        .size:           8
        .value_kind:     global_buffer
      - .offset:         96
        .size:           8
        .value_kind:     by_value
      - .address_space:  global
        .offset:         104
        .size:           8
        .value_kind:     global_buffer
      - .offset:         112
        .size:           4
        .value_kind:     by_value
      - .offset:         120
        .size:           4
        .value_kind:     hidden_block_count_x
      - .offset:         124
        .size:           4
        .value_kind:     hidden_block_count_y
      - .offset:         128
        .size:           4
        .value_kind:     hidden_block_count_z
      - .offset:         132
        .size:           2
        .value_kind:     hidden_group_size_x
      - .offset:         134
        .size:           2
        .value_kind:     hidden_group_size_y
      - .offset:         136
        .size:           2
        .value_kind:     hidden_group_size_z
      - .offset:         138
        .size:           2
        .value_kind:     hidden_remainder_x
      - .offset:         140
        .size:           2
        .value_kind:     hidden_remainder_y
      - .offset:         142
        .size:           2
        .value_kind:     hidden_remainder_z
      - .offset:         160
        .size:           8
        .value_kind:     hidden_global_offset_x
      - .offset:         168
        .size:           8
        .value_kind:     hidden_global_offset_y
      - .offset:         176
        .size:           8
        .value_kind:     hidden_global_offset_z
      - .offset:         184
        .size:           2
        .value_kind:     hidden_grid_dims
    .group_segment_fixed_size: 9600
    .kernarg_segment_align: 8
    .kernarg_segment_size: 376
    .language:       OpenCL C
    .language_version:
      - 2
      - 0
    .max_flat_workgroup_size: 256
    .name:           _ZL26rocblas_hemvn_kernel_upperILb0ELi64ELi4ELi33ELi32ELi16ElPKdS1_PdEviT6_lT7_lT5_lS4_lS5_lS3_lT8_i
    .private_segment_fixed_size: 0
    .sgpr_count:     46
    .sgpr_spill_count: 0
    .symbol:         _ZL26rocblas_hemvn_kernel_upperILb0ELi64ELi4ELi33ELi32ELi16ElPKdS1_PdEviT6_lT7_lT5_lS4_lS5_lS3_lT8_i.kd
    .uniform_work_group_size: 1
    .uses_dynamic_stack: false
    .vgpr_count:     152
    .vgpr_spill_count: 0
    .wavefront_size: 64
  - .agpr_count:     0
    .args:
      - .offset:         0
        .size:           4
        .value_kind:     by_value
      - .address_space:  global
        .offset:         8
        .size:           8
        .value_kind:     global_buffer
      - .offset:         16
        .size:           8
        .value_kind:     by_value
      - .address_space:  global
        .offset:         24
        .size:           8
        .value_kind:     global_buffer
      - .offset:         32
        .size:           8
        .value_kind:     by_value
      - .address_space:  global
        .offset:         40
        .size:           8
        .value_kind:     global_buffer
      - .offset:         48
        .size:           8
        .value_kind:     by_value
      - .offset:         56
        .size:           8
        .value_kind:     by_value
      - .offset:         64
        .size:           8
        .value_kind:     by_value
      - .address_space:  global
        .offset:         72
        .size:           8
        .value_kind:     global_buffer
      - .offset:         80
        .size:           4
        .value_kind:     by_value
      - .offset:         88
        .size:           4
        .value_kind:     hidden_block_count_x
      - .offset:         92
        .size:           4
        .value_kind:     hidden_block_count_y
      - .offset:         96
        .size:           4
        .value_kind:     hidden_block_count_z
      - .offset:         100
        .size:           2
        .value_kind:     hidden_group_size_x
      - .offset:         102
        .size:           2
        .value_kind:     hidden_group_size_y
      - .offset:         104
        .size:           2
        .value_kind:     hidden_group_size_z
      - .offset:         106
        .size:           2
        .value_kind:     hidden_remainder_x
      - .offset:         108
        .size:           2
        .value_kind:     hidden_remainder_y
      - .offset:         110
        .size:           2
        .value_kind:     hidden_remainder_z
      - .offset:         128
        .size:           8
        .value_kind:     hidden_global_offset_x
      - .offset:         136
        .size:           8
        .value_kind:     hidden_global_offset_y
      - .offset:         144
        .size:           8
        .value_kind:     hidden_global_offset_z
      - .offset:         152
        .size:           2
        .value_kind:     hidden_grid_dims
    .group_segment_fixed_size: 0
    .kernarg_segment_align: 8
    .kernarg_segment_size: 344
    .language:       OpenCL C
    .language_version:
      - 2
      - 0
    .max_flat_workgroup_size: 64
    .name:           _ZL36rocblas_hemvn_kernel_upper_block_sumILi64ElPKdPddEviT1_lS3_lT2_lT0_lPT3_i
    .private_segment_fixed_size: 0
    .sgpr_count:     28
    .sgpr_spill_count: 0
    .symbol:         _ZL36rocblas_hemvn_kernel_upper_block_sumILi64ElPKdPddEviT1_lS3_lT2_lT0_lPT3_i.kd
    .uniform_work_group_size: 1
    .uses_dynamic_stack: false
    .vgpr_count:     10
    .vgpr_spill_count: 0
    .wavefront_size: 64
  - .agpr_count:     0
    .args:
      - .offset:         0
        .size:           4
        .value_kind:     by_value
      - .address_space:  global
        .offset:         8
        .size:           8
        .value_kind:     global_buffer
      - .offset:         16
        .size:           8
        .value_kind:     by_value
      - .address_space:  global
        .offset:         24
        .size:           8
        .value_kind:     global_buffer
      - .offset:         32
        .size:           8
        .value_kind:     by_value
      - .offset:         40
        .size:           4
        .value_kind:     by_value
      - .offset:         48
        .size:           8
        .value_kind:     by_value
      - .address_space:  global
        .offset:         56
        .size:           8
        .value_kind:     global_buffer
      - .offset:         64
        .size:           8
        .value_kind:     by_value
      - .offset:         72
        .size:           4
        .value_kind:     by_value
      - .offset:         80
        .size:           8
        .value_kind:     by_value
      - .address_space:  global
        .offset:         88
        .size:           8
        .value_kind:     global_buffer
      - .offset:         96
        .size:           8
        .value_kind:     by_value
      - .address_space:  global
        .offset:         104
        .size:           8
        .value_kind:     global_buffer
      - .offset:         112
        .size:           4
        .value_kind:     by_value
      - .offset:         120
        .size:           4
        .value_kind:     hidden_block_count_x
      - .offset:         124
        .size:           4
        .value_kind:     hidden_block_count_y
      - .offset:         128
        .size:           4
        .value_kind:     hidden_block_count_z
      - .offset:         132
        .size:           2
        .value_kind:     hidden_group_size_x
      - .offset:         134
        .size:           2
        .value_kind:     hidden_group_size_y
      - .offset:         136
        .size:           2
        .value_kind:     hidden_group_size_z
      - .offset:         138
        .size:           2
        .value_kind:     hidden_remainder_x
      - .offset:         140
        .size:           2
        .value_kind:     hidden_remainder_y
      - .offset:         142
        .size:           2
        .value_kind:     hidden_remainder_z
      - .offset:         160
        .size:           8
        .value_kind:     hidden_global_offset_x
      - .offset:         168
        .size:           8
        .value_kind:     hidden_global_offset_y
      - .offset:         176
        .size:           8
        .value_kind:     hidden_global_offset_z
      - .offset:         184
        .size:           2
        .value_kind:     hidden_grid_dims
    .group_segment_fixed_size: 9600
    .kernarg_segment_align: 8
    .kernarg_segment_size: 376
    .language:       OpenCL C
    .language_version:
      - 2
      - 0
    .max_flat_workgroup_size: 256
    .name:           _ZL26rocblas_hemvn_kernel_upperILb0ELi64ELi4ELi33ELi32ELi16EiPKdS1_PdEviT6_lT7_lT5_lS4_lS5_lS3_lT8_i
    .private_segment_fixed_size: 0
    .sgpr_count:     51
    .sgpr_spill_count: 0
    .symbol:         _ZL26rocblas_hemvn_kernel_upperILb0ELi64ELi4ELi33ELi32ELi16EiPKdS1_PdEviT6_lT7_lT5_lS4_lS5_lS3_lT8_i.kd
    .uniform_work_group_size: 1
    .uses_dynamic_stack: false
    .vgpr_count:     172
    .vgpr_spill_count: 0
    .wavefront_size: 64
  - .agpr_count:     0
    .args:
      - .offset:         0
        .size:           4
        .value_kind:     by_value
      - .address_space:  global
        .offset:         8
        .size:           8
        .value_kind:     global_buffer
      - .offset:         16
        .size:           8
        .value_kind:     by_value
      - .address_space:  global
        .offset:         24
        .size:           8
        .value_kind:     global_buffer
      - .offset:         32
        .size:           8
        .value_kind:     by_value
      - .address_space:  global
        .offset:         40
        .size:           8
        .value_kind:     global_buffer
      - .offset:         48
        .size:           8
        .value_kind:     by_value
      - .offset:         56
        .size:           4
        .value_kind:     by_value
      - .offset:         64
        .size:           8
        .value_kind:     by_value
      - .address_space:  global
        .offset:         72
        .size:           8
        .value_kind:     global_buffer
      - .offset:         80
        .size:           4
        .value_kind:     by_value
      - .offset:         88
        .size:           4
        .value_kind:     hidden_block_count_x
      - .offset:         92
        .size:           4
        .value_kind:     hidden_block_count_y
      - .offset:         96
        .size:           4
        .value_kind:     hidden_block_count_z
      - .offset:         100
        .size:           2
        .value_kind:     hidden_group_size_x
      - .offset:         102
        .size:           2
        .value_kind:     hidden_group_size_y
      - .offset:         104
        .size:           2
        .value_kind:     hidden_group_size_z
      - .offset:         106
        .size:           2
        .value_kind:     hidden_remainder_x
      - .offset:         108
        .size:           2
        .value_kind:     hidden_remainder_y
      - .offset:         110
        .size:           2
        .value_kind:     hidden_remainder_z
      - .offset:         128
        .size:           8
        .value_kind:     hidden_global_offset_x
      - .offset:         136
        .size:           8
        .value_kind:     hidden_global_offset_y
      - .offset:         144
        .size:           8
        .value_kind:     hidden_global_offset_z
      - .offset:         152
        .size:           2
        .value_kind:     hidden_grid_dims
    .group_segment_fixed_size: 0
    .kernarg_segment_align: 8
    .kernarg_segment_size: 344
    .language:       OpenCL C
    .language_version:
      - 2
      - 0
    .max_flat_workgroup_size: 64
    .name:           _ZL36rocblas_hemvn_kernel_upper_block_sumILi64EiPKdPddEviT1_lS3_lT2_lT0_lPT3_i
    .private_segment_fixed_size: 0
    .sgpr_count:     27
    .sgpr_spill_count: 0
    .symbol:         _ZL36rocblas_hemvn_kernel_upper_block_sumILi64EiPKdPddEviT1_lS3_lT2_lT0_lPT3_i.kd
    .uniform_work_group_size: 1
    .uses_dynamic_stack: false
    .vgpr_count:     8
    .vgpr_spill_count: 0
    .wavefront_size: 64
  - .agpr_count:     0
    .args:
      - .offset:         0
        .size:           4
        .value_kind:     by_value
      - .offset:         8
        .size:           8
        .value_kind:     by_value
      - .offset:         16
        .size:           8
        .value_kind:     by_value
      - .address_space:  global
        .offset:         24
        .size:           8
        .value_kind:     global_buffer
      - .offset:         32
        .size:           8
        .value_kind:     by_value
      - .offset:         40
        .size:           8
        .value_kind:     by_value
      - .offset:         48
        .size:           8
        .value_kind:     by_value
      - .address_space:  global
        .offset:         56
        .size:           8
        .value_kind:     global_buffer
      - .offset:         64
        .size:           8
        .value_kind:     by_value
      - .offset:         72
        .size:           8
        .value_kind:     by_value
      - .offset:         80
        .size:           8
        .value_kind:     by_value
      - .offset:         88
        .size:           8
        .value_kind:     by_value
      - .offset:         96
        .size:           8
        .value_kind:     by_value
      - .address_space:  global
        .offset:         104
        .size:           8
        .value_kind:     global_buffer
      - .offset:         112
        .size:           4
        .value_kind:     by_value
      - .offset:         120
        .size:           4
        .value_kind:     hidden_block_count_x
      - .offset:         124
        .size:           4
        .value_kind:     hidden_block_count_y
      - .offset:         128
        .size:           4
        .value_kind:     hidden_block_count_z
      - .offset:         132
        .size:           2
        .value_kind:     hidden_group_size_x
      - .offset:         134
        .size:           2
        .value_kind:     hidden_group_size_y
      - .offset:         136
        .size:           2
        .value_kind:     hidden_group_size_z
      - .offset:         138
        .size:           2
        .value_kind:     hidden_remainder_x
      - .offset:         140
        .size:           2
        .value_kind:     hidden_remainder_y
      - .offset:         142
        .size:           2
        .value_kind:     hidden_remainder_z
      - .offset:         160
        .size:           8
        .value_kind:     hidden_global_offset_x
      - .offset:         168
        .size:           8
        .value_kind:     hidden_global_offset_y
      - .offset:         176
        .size:           8
        .value_kind:     hidden_global_offset_z
      - .offset:         184
        .size:           2
        .value_kind:     hidden_grid_dims
    .group_segment_fixed_size: 9600
    .kernarg_segment_align: 8
    .kernarg_segment_size: 376
    .language:       OpenCL C
    .language_version:
      - 2
      - 0
    .max_flat_workgroup_size: 256
    .name:           _ZL26rocblas_hemvn_kernel_upperILb0ELi64ELi4ELi33ELi32ELi16EldPKdPdEviT6_lT7_lT5_lS4_lS5_lS3_lT8_i
    .private_segment_fixed_size: 0
    .sgpr_count:     46
    .sgpr_spill_count: 0
    .symbol:         _ZL26rocblas_hemvn_kernel_upperILb0ELi64ELi4ELi33ELi32ELi16EldPKdPdEviT6_lT7_lT5_lS4_lS5_lS3_lT8_i.kd
    .uniform_work_group_size: 1
    .uses_dynamic_stack: false
    .vgpr_count:     152
    .vgpr_spill_count: 0
    .wavefront_size: 64
  - .agpr_count:     0
    .args:
      - .offset:         0
        .size:           4
        .value_kind:     by_value
      - .offset:         8
        .size:           8
        .value_kind:     by_value
      - .offset:         16
        .size:           8
        .value_kind:     by_value
      - .offset:         24
        .size:           8
        .value_kind:     by_value
      - .offset:         32
        .size:           8
        .value_kind:     by_value
      - .address_space:  global
        .offset:         40
        .size:           8
        .value_kind:     global_buffer
      - .offset:         48
        .size:           8
        .value_kind:     by_value
      - .offset:         56
        .size:           8
        .value_kind:     by_value
      - .offset:         64
        .size:           8
        .value_kind:     by_value
      - .address_space:  global
        .offset:         72
        .size:           8
        .value_kind:     global_buffer
      - .offset:         80
        .size:           4
        .value_kind:     by_value
      - .offset:         88
        .size:           4
        .value_kind:     hidden_block_count_x
      - .offset:         92
        .size:           4
        .value_kind:     hidden_block_count_y
      - .offset:         96
        .size:           4
        .value_kind:     hidden_block_count_z
      - .offset:         100
        .size:           2
        .value_kind:     hidden_group_size_x
      - .offset:         102
        .size:           2
        .value_kind:     hidden_group_size_y
      - .offset:         104
        .size:           2
        .value_kind:     hidden_group_size_z
      - .offset:         106
        .size:           2
        .value_kind:     hidden_remainder_x
      - .offset:         108
        .size:           2
        .value_kind:     hidden_remainder_y
      - .offset:         110
        .size:           2
        .value_kind:     hidden_remainder_z
      - .offset:         128
        .size:           8
        .value_kind:     hidden_global_offset_x
      - .offset:         136
        .size:           8
        .value_kind:     hidden_global_offset_y
      - .offset:         144
        .size:           8
        .value_kind:     hidden_global_offset_z
      - .offset:         152
        .size:           2
        .value_kind:     hidden_grid_dims
    .group_segment_fixed_size: 0
    .kernarg_segment_align: 8
    .kernarg_segment_size: 344
    .language:       OpenCL C
    .language_version:
      - 2
      - 0
    .max_flat_workgroup_size: 64
    .name:           _ZL36rocblas_hemvn_kernel_upper_block_sumILi64EldPddEviT1_lS1_lT2_lT0_lPT3_i
    .private_segment_fixed_size: 0
    .sgpr_count:     28
    .sgpr_spill_count: 0
    .symbol:         _ZL36rocblas_hemvn_kernel_upper_block_sumILi64EldPddEviT1_lS1_lT2_lT0_lPT3_i.kd
    .uniform_work_group_size: 1
    .uses_dynamic_stack: false
    .vgpr_count:     10
    .vgpr_spill_count: 0
    .wavefront_size: 64
  - .agpr_count:     0
    .args:
      - .offset:         0
        .size:           4
        .value_kind:     by_value
      - .offset:         8
        .size:           8
        .value_kind:     by_value
      - .offset:         16
        .size:           8
        .value_kind:     by_value
      - .address_space:  global
        .offset:         24
        .size:           8
        .value_kind:     global_buffer
      - .offset:         32
        .size:           8
        .value_kind:     by_value
      - .offset:         40
        .size:           4
        .value_kind:     by_value
      - .offset:         48
        .size:           8
        .value_kind:     by_value
      - .address_space:  global
        .offset:         56
        .size:           8
        .value_kind:     global_buffer
      - .offset:         64
        .size:           8
        .value_kind:     by_value
      - .offset:         72
        .size:           4
        .value_kind:     by_value
      - .offset:         80
        .size:           8
        .value_kind:     by_value
      - .offset:         88
        .size:           8
        .value_kind:     by_value
      - .offset:         96
        .size:           8
        .value_kind:     by_value
      - .address_space:  global
        .offset:         104
        .size:           8
        .value_kind:     global_buffer
      - .offset:         112
        .size:           4
        .value_kind:     by_value
      - .offset:         120
        .size:           4
        .value_kind:     hidden_block_count_x
      - .offset:         124
        .size:           4
        .value_kind:     hidden_block_count_y
      - .offset:         128
        .size:           4
        .value_kind:     hidden_block_count_z
      - .offset:         132
        .size:           2
        .value_kind:     hidden_group_size_x
      - .offset:         134
        .size:           2
        .value_kind:     hidden_group_size_y
      - .offset:         136
        .size:           2
        .value_kind:     hidden_group_size_z
      - .offset:         138
        .size:           2
        .value_kind:     hidden_remainder_x
      - .offset:         140
        .size:           2
        .value_kind:     hidden_remainder_y
      - .offset:         142
        .size:           2
        .value_kind:     hidden_remainder_z
      - .offset:         160
        .size:           8
        .value_kind:     hidden_global_offset_x
      - .offset:         168
        .size:           8
        .value_kind:     hidden_global_offset_y
      - .offset:         176
        .size:           8
        .value_kind:     hidden_global_offset_z
      - .offset:         184
        .size:           2
        .value_kind:     hidden_grid_dims
    .group_segment_fixed_size: 9600
    .kernarg_segment_align: 8
    .kernarg_segment_size: 376
    .language:       OpenCL C
    .language_version:
      - 2
      - 0
    .max_flat_workgroup_size: 256
    .name:           _ZL26rocblas_hemvn_kernel_upperILb0ELi64ELi4ELi33ELi32ELi16EidPKdPdEviT6_lT7_lT5_lS4_lS5_lS3_lT8_i
    .private_segment_fixed_size: 0
    .sgpr_count:     51
    .sgpr_spill_count: 0
    .symbol:         _ZL26rocblas_hemvn_kernel_upperILb0ELi64ELi4ELi33ELi32ELi16EidPKdPdEviT6_lT7_lT5_lS4_lS5_lS3_lT8_i.kd
    .uniform_work_group_size: 1
    .uses_dynamic_stack: false
    .vgpr_count:     172
    .vgpr_spill_count: 0
    .wavefront_size: 64
  - .agpr_count:     0
    .args:
      - .offset:         0
        .size:           4
        .value_kind:     by_value
      - .offset:         8
        .size:           8
        .value_kind:     by_value
      - .offset:         16
        .size:           8
        .value_kind:     by_value
      - .offset:         24
        .size:           8
        .value_kind:     by_value
      - .offset:         32
        .size:           8
        .value_kind:     by_value
      - .address_space:  global
        .offset:         40
        .size:           8
        .value_kind:     global_buffer
      - .offset:         48
        .size:           8
        .value_kind:     by_value
      - .offset:         56
        .size:           4
        .value_kind:     by_value
      - .offset:         64
        .size:           8
        .value_kind:     by_value
      - .address_space:  global
        .offset:         72
        .size:           8
        .value_kind:     global_buffer
      - .offset:         80
        .size:           4
        .value_kind:     by_value
      - .offset:         88
        .size:           4
        .value_kind:     hidden_block_count_x
      - .offset:         92
        .size:           4
        .value_kind:     hidden_block_count_y
      - .offset:         96
        .size:           4
        .value_kind:     hidden_block_count_z
      - .offset:         100
        .size:           2
        .value_kind:     hidden_group_size_x
      - .offset:         102
        .size:           2
        .value_kind:     hidden_group_size_y
      - .offset:         104
        .size:           2
        .value_kind:     hidden_group_size_z
      - .offset:         106
        .size:           2
        .value_kind:     hidden_remainder_x
      - .offset:         108
        .size:           2
        .value_kind:     hidden_remainder_y
      - .offset:         110
        .size:           2
        .value_kind:     hidden_remainder_z
      - .offset:         128
        .size:           8
        .value_kind:     hidden_global_offset_x
      - .offset:         136
        .size:           8
        .value_kind:     hidden_global_offset_y
      - .offset:         144
        .size:           8
        .value_kind:     hidden_global_offset_z
      - .offset:         152
        .size:           2
        .value_kind:     hidden_grid_dims
    .group_segment_fixed_size: 0
    .kernarg_segment_align: 8
    .kernarg_segment_size: 344
    .language:       OpenCL C
    .language_version:
      - 2
      - 0
    .max_flat_workgroup_size: 64
    .name:           _ZL36rocblas_hemvn_kernel_upper_block_sumILi64EidPddEviT1_lS1_lT2_lT0_lPT3_i
    .private_segment_fixed_size: 0
    .sgpr_count:     27
    .sgpr_spill_count: 0
    .symbol:         _ZL36rocblas_hemvn_kernel_upper_block_sumILi64EidPddEviT1_lS1_lT2_lT0_lPT3_i.kd
    .uniform_work_group_size: 1
    .uses_dynamic_stack: false
    .vgpr_count:     8
    .vgpr_spill_count: 0
    .wavefront_size: 64
  - .agpr_count:     0
    .args:
      - .offset:         0
        .size:           1
        .value_kind:     by_value
      - .offset:         4
        .size:           4
        .value_kind:     by_value
      - .offset:         8
        .size:           8
        .value_kind:     by_value
      - .offset:         16
        .size:           8
        .value_kind:     by_value
      - .address_space:  global
        .offset:         24
        .size:           8
        .value_kind:     global_buffer
      - .offset:         32
        .size:           8
        .value_kind:     by_value
      - .offset:         40
        .size:           8
        .value_kind:     by_value
      - .offset:         48
        .size:           8
        .value_kind:     by_value
      - .address_space:  global
        .offset:         56
        .size:           8
        .value_kind:     global_buffer
      - .offset:         64
        .size:           8
        .value_kind:     by_value
      - .offset:         72
        .size:           8
        .value_kind:     by_value
      - .offset:         80
        .size:           8
        .value_kind:     by_value
      - .offset:         88
        .size:           8
        .value_kind:     by_value
      - .offset:         96
        .size:           8
        .value_kind:     by_value
      - .address_space:  global
        .offset:         104
        .size:           8
        .value_kind:     global_buffer
      - .offset:         112
        .size:           8
        .value_kind:     by_value
      - .offset:         120
        .size:           8
        .value_kind:     by_value
      - .offset:         128
        .size:           8
        .value_kind:     by_value
      - .offset:         136
        .size:           4
        .value_kind:     by_value
    .group_segment_fixed_size: 10496
    .kernarg_segment_align: 8
    .kernarg_segment_size: 140
    .language:       OpenCL C
    .language_version:
      - 2
      - 0
    .max_flat_workgroup_size: 128
    .name:           _ZL50rocblas_symv_kernel_lower_double_buffered_diagonalILi32ELi4E24rocblas_internal_val_ptrIdEPKdPdEvbiT1_lT2_lllS6_lllS5_lT3_llli
    .private_segment_fixed_size: 0
    .sgpr_count:     36
    .sgpr_spill_count: 0
    .symbol:         _ZL50rocblas_symv_kernel_lower_double_buffered_diagonalILi32ELi4E24rocblas_internal_val_ptrIdEPKdPdEvbiT1_lT2_lllS6_lllS5_lT3_llli.kd
    .uniform_work_group_size: 1
    .uses_dynamic_stack: false
    .vgpr_count:     36
    .vgpr_spill_count: 0
    .wavefront_size: 64
  - .agpr_count:     0
    .args:
      - .offset:         0
        .size:           1
        .value_kind:     by_value
      - .offset:         4
        .size:           4
        .value_kind:     by_value
      - .offset:         8
        .size:           8
        .value_kind:     by_value
      - .offset:         16
        .size:           8
        .value_kind:     by_value
      - .address_space:  global
        .offset:         24
        .size:           8
        .value_kind:     global_buffer
      - .offset:         32
        .size:           8
        .value_kind:     by_value
      - .offset:         40
        .size:           8
        .value_kind:     by_value
      - .offset:         48
        .size:           8
        .value_kind:     by_value
      - .address_space:  global
        .offset:         56
        .size:           8
        .value_kind:     global_buffer
      - .offset:         64
        .size:           8
        .value_kind:     by_value
      - .offset:         72
        .size:           8
        .value_kind:     by_value
      - .offset:         80
        .size:           8
        .value_kind:     by_value
      - .address_space:  global
        .offset:         88
        .size:           8
        .value_kind:     global_buffer
      - .offset:         96
        .size:           8
        .value_kind:     by_value
      - .offset:         104
        .size:           8
        .value_kind:     by_value
      - .offset:         112
        .size:           8
        .value_kind:     by_value
      - .offset:         120
        .size:           4
        .value_kind:     by_value
      - .offset:         128
        .size:           4
        .value_kind:     hidden_block_count_x
      - .offset:         132
        .size:           4
        .value_kind:     hidden_block_count_y
      - .offset:         136
        .size:           4
        .value_kind:     hidden_block_count_z
      - .offset:         140
        .size:           2
        .value_kind:     hidden_group_size_x
      - .offset:         142
        .size:           2
        .value_kind:     hidden_group_size_y
      - .offset:         144
        .size:           2
        .value_kind:     hidden_group_size_z
      - .offset:         146
        .size:           2
        .value_kind:     hidden_remainder_x
      - .offset:         148
        .size:           2
        .value_kind:     hidden_remainder_y
      - .offset:         150
        .size:           2
        .value_kind:     hidden_remainder_z
      - .offset:         168
        .size:           8
        .value_kind:     hidden_global_offset_x
      - .offset:         176
        .size:           8
        .value_kind:     hidden_global_offset_y
      - .offset:         184
        .size:           8
        .value_kind:     hidden_global_offset_z
      - .offset:         192
        .size:           2
        .value_kind:     hidden_grid_dims
    .group_segment_fixed_size: 6400
    .kernarg_segment_align: 8
    .kernarg_segment_size: 384
    .language:       OpenCL C
    .language_version:
      - 2
      - 0
    .max_flat_workgroup_size: 128
    .name:           _ZL54rocblas_symv_kernel_lower_double_buffered_non_diagonalILi32ELi4ELi4E24rocblas_internal_val_ptrIdEPKdPdEvbiT2_lT3_lllS6_lllT4_llli
    .private_segment_fixed_size: 0
    .sgpr_count:     36
    .sgpr_spill_count: 0
    .symbol:         _ZL54rocblas_symv_kernel_lower_double_buffered_non_diagonalILi32ELi4ELi4E24rocblas_internal_val_ptrIdEPKdPdEvbiT2_lT3_lllS6_lllT4_llli.kd
    .uniform_work_group_size: 1
    .uses_dynamic_stack: false
    .vgpr_count:     76
    .vgpr_spill_count: 0
    .wavefront_size: 64
  - .agpr_count:     0
    .args:
      - .offset:         0
        .size:           1
        .value_kind:     by_value
      - .offset:         4
        .size:           4
        .value_kind:     by_value
      - .offset:         8
        .size:           8
        .value_kind:     by_value
      - .offset:         16
        .size:           8
        .value_kind:     by_value
      - .address_space:  global
        .offset:         24
        .size:           8
        .value_kind:     global_buffer
      - .offset:         32
        .size:           8
        .value_kind:     by_value
      - .offset:         40
        .size:           8
        .value_kind:     by_value
      - .offset:         48
        .size:           8
        .value_kind:     by_value
      - .address_space:  global
        .offset:         56
        .size:           8
        .value_kind:     global_buffer
      - .offset:         64
        .size:           8
        .value_kind:     by_value
      - .offset:         72
        .size:           8
        .value_kind:     by_value
      - .offset:         80
        .size:           8
        .value_kind:     by_value
      - .offset:         88
        .size:           8
        .value_kind:     by_value
      - .offset:         96
        .size:           8
        .value_kind:     by_value
      - .address_space:  global
        .offset:         104
        .size:           8
        .value_kind:     global_buffer
      - .offset:         112
        .size:           8
        .value_kind:     by_value
      - .offset:         120
        .size:           8
        .value_kind:     by_value
      - .offset:         128
        .size:           8
        .value_kind:     by_value
      - .offset:         136
        .size:           4
        .value_kind:     by_value
      - .offset:         140
        .size:           4
        .value_kind:     by_value
      - .offset:         144
        .size:           4
        .value_kind:     hidden_block_count_x
      - .offset:         148
        .size:           4
        .value_kind:     hidden_block_count_y
      - .offset:         152
        .size:           4
        .value_kind:     hidden_block_count_z
      - .offset:         156
        .size:           2
        .value_kind:     hidden_group_size_x
      - .offset:         158
        .size:           2
        .value_kind:     hidden_group_size_y
      - .offset:         160
        .size:           2
        .value_kind:     hidden_group_size_z
      - .offset:         162
        .size:           2
        .value_kind:     hidden_remainder_x
      - .offset:         164
        .size:           2
        .value_kind:     hidden_remainder_y
      - .offset:         166
        .size:           2
        .value_kind:     hidden_remainder_z
      - .offset:         184
        .size:           8
        .value_kind:     hidden_global_offset_x
      - .offset:         192
        .size:           8
        .value_kind:     hidden_global_offset_y
      - .offset:         200
        .size:           8
        .value_kind:     hidden_global_offset_z
      - .offset:         208
        .size:           2
        .value_kind:     hidden_grid_dims
    .group_segment_fixed_size: 10496
    .kernarg_segment_align: 8
    .kernarg_segment_size: 400
    .language:       OpenCL C
    .language_version:
      - 2
      - 0
    .max_flat_workgroup_size: 128
    .name:           _ZL58rocblas_symv_kernel_lower_double_buffered_diagonal_genericILi32ELi4E24rocblas_internal_val_ptrIdEPKdPdEvbiT1_lT2_lllS6_lllS5_lT3_lllii
    .private_segment_fixed_size: 0
    .sgpr_count:     42
    .sgpr_spill_count: 0
    .symbol:         _ZL58rocblas_symv_kernel_lower_double_buffered_diagonal_genericILi32ELi4E24rocblas_internal_val_ptrIdEPKdPdEvbiT1_lT2_lllS6_lllS5_lT3_lllii.kd
    .uniform_work_group_size: 1
    .uses_dynamic_stack: false
    .vgpr_count:     40
    .vgpr_spill_count: 0
    .wavefront_size: 64
  - .agpr_count:     0
    .args:
      - .offset:         0
        .size:           1
        .value_kind:     by_value
      - .offset:         4
        .size:           4
        .value_kind:     by_value
      - .offset:         8
        .size:           8
        .value_kind:     by_value
      - .offset:         16
        .size:           8
        .value_kind:     by_value
      - .address_space:  global
        .offset:         24
        .size:           8
        .value_kind:     global_buffer
      - .offset:         32
        .size:           8
        .value_kind:     by_value
      - .offset:         40
        .size:           8
        .value_kind:     by_value
      - .offset:         48
        .size:           8
        .value_kind:     by_value
      - .address_space:  global
        .offset:         56
        .size:           8
        .value_kind:     global_buffer
      - .offset:         64
        .size:           8
        .value_kind:     by_value
      - .offset:         72
        .size:           8
        .value_kind:     by_value
      - .offset:         80
        .size:           8
        .value_kind:     by_value
      - .address_space:  global
        .offset:         88
        .size:           8
        .value_kind:     global_buffer
      - .offset:         96
        .size:           8
        .value_kind:     by_value
      - .offset:         104
        .size:           8
        .value_kind:     by_value
      - .offset:         112
        .size:           8
        .value_kind:     by_value
      - .offset:         120
        .size:           4
        .value_kind:     by_value
      - .offset:         124
        .size:           4
        .value_kind:     by_value
      - .offset:         128
        .size:           4
        .value_kind:     hidden_block_count_x
      - .offset:         132
        .size:           4
        .value_kind:     hidden_block_count_y
      - .offset:         136
        .size:           4
        .value_kind:     hidden_block_count_z
      - .offset:         140
        .size:           2
        .value_kind:     hidden_group_size_x
      - .offset:         142
        .size:           2
        .value_kind:     hidden_group_size_y
      - .offset:         144
        .size:           2
        .value_kind:     hidden_group_size_z
      - .offset:         146
        .size:           2
        .value_kind:     hidden_remainder_x
      - .offset:         148
        .size:           2
        .value_kind:     hidden_remainder_y
      - .offset:         150
        .size:           2
        .value_kind:     hidden_remainder_z
      - .offset:         168
        .size:           8
        .value_kind:     hidden_global_offset_x
      - .offset:         176
        .size:           8
        .value_kind:     hidden_global_offset_y
      - .offset:         184
        .size:           8
        .value_kind:     hidden_global_offset_z
      - .offset:         192
        .size:           2
        .value_kind:     hidden_grid_dims
    .group_segment_fixed_size: 6400
    .kernarg_segment_align: 8
    .kernarg_segment_size: 384
    .language:       OpenCL C
    .language_version:
      - 2
      - 0
    .max_flat_workgroup_size: 128
    .name:           _ZL62rocblas_symv_kernel_lower_double_buffered_non_diagonal_genericILi32ELi4ELi4E24rocblas_internal_val_ptrIdEPKdPdEvbiT2_lT3_lllS6_lllT4_lllii
    .private_segment_fixed_size: 0
    .sgpr_count:     41
    .sgpr_spill_count: 0
    .symbol:         _ZL62rocblas_symv_kernel_lower_double_buffered_non_diagonal_genericILi32ELi4ELi4E24rocblas_internal_val_ptrIdEPKdPdEvbiT2_lT3_lllS6_lllT4_lllii.kd
    .uniform_work_group_size: 1
    .uses_dynamic_stack: false
    .vgpr_count:     82
    .vgpr_spill_count: 0
    .wavefront_size: 64
  - .agpr_count:     0
    .args:
      - .offset:         0
        .size:           4
        .value_kind:     by_value
      - .address_space:  global
        .offset:         8
        .size:           8
        .value_kind:     global_buffer
      - .offset:         16
        .size:           8
        .value_kind:     by_value
      - .address_space:  global
        .offset:         24
        .size:           8
        .value_kind:     global_buffer
      - .offset:         32
        .size:           8
        .value_kind:     by_value
      - .offset:         40
        .size:           8
        .value_kind:     by_value
      - .offset:         48
        .size:           8
        .value_kind:     by_value
      - .address_space:  global
        .offset:         56
        .size:           8
        .value_kind:     global_buffer
      - .offset:         64
        .size:           8
        .value_kind:     by_value
      - .offset:         72
        .size:           8
        .value_kind:     by_value
      - .offset:         80
        .size:           8
        .value_kind:     by_value
      - .address_space:  global
        .offset:         88
        .size:           8
        .value_kind:     global_buffer
      - .offset:         96
        .size:           8
        .value_kind:     by_value
      - .address_space:  global
        .offset:         104
        .size:           8
        .value_kind:     global_buffer
      - .offset:         112
        .size:           4
        .value_kind:     by_value
      - .offset:         120
        .size:           4
        .value_kind:     hidden_block_count_x
      - .offset:         124
        .size:           4
        .value_kind:     hidden_block_count_y
      - .offset:         128
        .size:           4
        .value_kind:     hidden_block_count_z
      - .offset:         132
        .size:           2
        .value_kind:     hidden_group_size_x
      - .offset:         134
        .size:           2
        .value_kind:     hidden_group_size_y
      - .offset:         136
        .size:           2
        .value_kind:     hidden_group_size_z
      - .offset:         138
        .size:           2
        .value_kind:     hidden_remainder_x
      - .offset:         140
        .size:           2
        .value_kind:     hidden_remainder_y
      - .offset:         142
        .size:           2
        .value_kind:     hidden_remainder_z
      - .offset:         160
        .size:           8
        .value_kind:     hidden_global_offset_x
      - .offset:         168
        .size:           8
        .value_kind:     hidden_global_offset_y
      - .offset:         176
        .size:           8
        .value_kind:     hidden_global_offset_z
      - .offset:         184
        .size:           2
        .value_kind:     hidden_grid_dims
    .group_segment_fixed_size: 9600
    .kernarg_segment_align: 8
    .kernarg_segment_size: 376
    .language:       OpenCL C
    .language_version:
      - 2
      - 0
    .max_flat_workgroup_size: 256
    .name:           _ZL26rocblas_hemvn_kernel_lowerILb0ELi64ELi4ELi33ELi32ELi16ElPKdS1_PdEviT6_lT7_lT5_lS4_lS5_lS3_lT8_i
    .private_segment_fixed_size: 0
    .sgpr_count:     50
    .sgpr_spill_count: 0
    .symbol:         _ZL26rocblas_hemvn_kernel_lowerILb0ELi64ELi4ELi33ELi32ELi16ElPKdS1_PdEviT6_lT7_lT5_lS4_lS5_lS3_lT8_i.kd
    .uniform_work_group_size: 1
    .uses_dynamic_stack: false
    .vgpr_count:     124
    .vgpr_spill_count: 0
    .wavefront_size: 64
  - .agpr_count:     0
    .args:
      - .offset:         0
        .size:           4
        .value_kind:     by_value
      - .address_space:  global
        .offset:         8
        .size:           8
        .value_kind:     global_buffer
      - .offset:         16
        .size:           8
        .value_kind:     by_value
      - .address_space:  global
        .offset:         24
        .size:           8
        .value_kind:     global_buffer
      - .offset:         32
        .size:           8
        .value_kind:     by_value
      - .address_space:  global
        .offset:         40
        .size:           8
        .value_kind:     global_buffer
      - .offset:         48
        .size:           8
        .value_kind:     by_value
      - .offset:         56
        .size:           8
        .value_kind:     by_value
      - .offset:         64
        .size:           8
        .value_kind:     by_value
      - .actual_access:  read_only
        .address_space:  global
        .offset:         72
        .size:           8
        .value_kind:     global_buffer
      - .offset:         80
        .size:           4
        .value_kind:     by_value
      - .offset:         88
        .size:           4
        .value_kind:     hidden_block_count_x
      - .offset:         92
        .size:           4
        .value_kind:     hidden_block_count_y
      - .offset:         96
        .size:           4
        .value_kind:     hidden_block_count_z
      - .offset:         100
        .size:           2
        .value_kind:     hidden_group_size_x
      - .offset:         102
        .size:           2
        .value_kind:     hidden_group_size_y
      - .offset:         104
        .size:           2
        .value_kind:     hidden_group_size_z
      - .offset:         106
        .size:           2
        .value_kind:     hidden_remainder_x
      - .offset:         108
        .size:           2
        .value_kind:     hidden_remainder_y
      - .offset:         110
        .size:           2
        .value_kind:     hidden_remainder_z
      - .offset:         128
        .size:           8
        .value_kind:     hidden_global_offset_x
      - .offset:         136
        .size:           8
        .value_kind:     hidden_global_offset_y
      - .offset:         144
        .size:           8
        .value_kind:     hidden_global_offset_z
      - .offset:         152
        .size:           2
        .value_kind:     hidden_grid_dims
    .group_segment_fixed_size: 0
    .kernarg_segment_align: 8
    .kernarg_segment_size: 344
    .language:       OpenCL C
    .language_version:
      - 2
      - 0
    .max_flat_workgroup_size: 64
    .name:           _ZL36rocblas_hemvn_kernel_lower_block_sumILi64ElPKdPddEviT1_lS3_lT2_lT0_lPT3_i
    .private_segment_fixed_size: 0
    .sgpr_count:     26
    .sgpr_spill_count: 0
    .symbol:         _ZL36rocblas_hemvn_kernel_lower_block_sumILi64ElPKdPddEviT1_lS3_lT2_lT0_lPT3_i.kd
    .uniform_work_group_size: 1
    .uses_dynamic_stack: false
    .vgpr_count:     10
    .vgpr_spill_count: 0
    .wavefront_size: 64
  - .agpr_count:     0
    .args:
      - .offset:         0
        .size:           4
        .value_kind:     by_value
      - .address_space:  global
        .offset:         8
        .size:           8
        .value_kind:     global_buffer
      - .offset:         16
        .size:           8
        .value_kind:     by_value
      - .address_space:  global
        .offset:         24
        .size:           8
        .value_kind:     global_buffer
      - .offset:         32
        .size:           8
        .value_kind:     by_value
      - .offset:         40
        .size:           4
        .value_kind:     by_value
      - .offset:         48
        .size:           8
        .value_kind:     by_value
      - .address_space:  global
        .offset:         56
        .size:           8
        .value_kind:     global_buffer
      - .offset:         64
        .size:           8
        .value_kind:     by_value
      - .offset:         72
        .size:           4
        .value_kind:     by_value
      - .offset:         80
        .size:           8
        .value_kind:     by_value
      - .address_space:  global
        .offset:         88
        .size:           8
        .value_kind:     global_buffer
      - .offset:         96
        .size:           8
        .value_kind:     by_value
      - .address_space:  global
        .offset:         104
        .size:           8
        .value_kind:     global_buffer
      - .offset:         112
        .size:           4
        .value_kind:     by_value
      - .offset:         120
        .size:           4
        .value_kind:     hidden_block_count_x
      - .offset:         124
        .size:           4
        .value_kind:     hidden_block_count_y
      - .offset:         128
        .size:           4
        .value_kind:     hidden_block_count_z
      - .offset:         132
        .size:           2
        .value_kind:     hidden_group_size_x
      - .offset:         134
        .size:           2
        .value_kind:     hidden_group_size_y
      - .offset:         136
        .size:           2
        .value_kind:     hidden_group_size_z
      - .offset:         138
        .size:           2
        .value_kind:     hidden_remainder_x
      - .offset:         140
        .size:           2
        .value_kind:     hidden_remainder_y
      - .offset:         142
        .size:           2
        .value_kind:     hidden_remainder_z
      - .offset:         160
        .size:           8
        .value_kind:     hidden_global_offset_x
      - .offset:         168
        .size:           8
        .value_kind:     hidden_global_offset_y
      - .offset:         176
        .size:           8
        .value_kind:     hidden_global_offset_z
      - .offset:         184
        .size:           2
        .value_kind:     hidden_grid_dims
    .group_segment_fixed_size: 9600
    .kernarg_segment_align: 8
    .kernarg_segment_size: 376
    .language:       OpenCL C
    .language_version:
      - 2
      - 0
    .max_flat_workgroup_size: 256
    .name:           _ZL26rocblas_hemvn_kernel_lowerILb0ELi64ELi4ELi33ELi32ELi16EiPKdS1_PdEviT6_lT7_lT5_lS4_lS5_lS3_lT8_i
    .private_segment_fixed_size: 0
    .sgpr_count:     50
    .sgpr_spill_count: 0
    .symbol:         _ZL26rocblas_hemvn_kernel_lowerILb0ELi64ELi4ELi33ELi32ELi16EiPKdS1_PdEviT6_lT7_lT5_lS4_lS5_lS3_lT8_i.kd
    .uniform_work_group_size: 1
    .uses_dynamic_stack: false
    .vgpr_count:     122
    .vgpr_spill_count: 0
    .wavefront_size: 64
  - .agpr_count:     0
    .args:
      - .offset:         0
        .size:           4
        .value_kind:     by_value
      - .address_space:  global
        .offset:         8
        .size:           8
        .value_kind:     global_buffer
      - .offset:         16
        .size:           8
        .value_kind:     by_value
      - .address_space:  global
        .offset:         24
        .size:           8
        .value_kind:     global_buffer
      - .offset:         32
        .size:           8
        .value_kind:     by_value
      - .address_space:  global
        .offset:         40
        .size:           8
        .value_kind:     global_buffer
      - .offset:         48
        .size:           8
        .value_kind:     by_value
      - .offset:         56
        .size:           4
        .value_kind:     by_value
      - .offset:         64
        .size:           8
        .value_kind:     by_value
      - .actual_access:  read_only
        .address_space:  global
        .offset:         72
        .size:           8
        .value_kind:     global_buffer
      - .offset:         80
        .size:           4
        .value_kind:     by_value
      - .offset:         88
        .size:           4
        .value_kind:     hidden_block_count_x
      - .offset:         92
        .size:           4
        .value_kind:     hidden_block_count_y
      - .offset:         96
        .size:           4
        .value_kind:     hidden_block_count_z
      - .offset:         100
        .size:           2
        .value_kind:     hidden_group_size_x
      - .offset:         102
        .size:           2
        .value_kind:     hidden_group_size_y
      - .offset:         104
        .size:           2
        .value_kind:     hidden_group_size_z
      - .offset:         106
        .size:           2
        .value_kind:     hidden_remainder_x
      - .offset:         108
        .size:           2
        .value_kind:     hidden_remainder_y
      - .offset:         110
        .size:           2
        .value_kind:     hidden_remainder_z
      - .offset:         128
        .size:           8
        .value_kind:     hidden_global_offset_x
      - .offset:         136
        .size:           8
        .value_kind:     hidden_global_offset_y
      - .offset:         144
        .size:           8
        .value_kind:     hidden_global_offset_z
      - .offset:         152
        .size:           2
        .value_kind:     hidden_grid_dims
    .group_segment_fixed_size: 0
    .kernarg_segment_align: 8
    .kernarg_segment_size: 344
    .language:       OpenCL C
    .language_version:
      - 2
      - 0
    .max_flat_workgroup_size: 64
    .name:           _ZL36rocblas_hemvn_kernel_lower_block_sumILi64EiPKdPddEviT1_lS3_lT2_lT0_lPT3_i
    .private_segment_fixed_size: 0
    .sgpr_count:     25
    .sgpr_spill_count: 0
    .symbol:         _ZL36rocblas_hemvn_kernel_lower_block_sumILi64EiPKdPddEviT1_lS3_lT2_lT0_lPT3_i.kd
    .uniform_work_group_size: 1
    .uses_dynamic_stack: false
    .vgpr_count:     10
    .vgpr_spill_count: 0
    .wavefront_size: 64
  - .agpr_count:     0
    .args:
      - .offset:         0
        .size:           4
        .value_kind:     by_value
      - .offset:         8
        .size:           8
        .value_kind:     by_value
      - .offset:         16
        .size:           8
        .value_kind:     by_value
      - .address_space:  global
        .offset:         24
        .size:           8
        .value_kind:     global_buffer
      - .offset:         32
        .size:           8
        .value_kind:     by_value
      - .offset:         40
        .size:           8
        .value_kind:     by_value
      - .offset:         48
        .size:           8
        .value_kind:     by_value
      - .address_space:  global
        .offset:         56
        .size:           8
        .value_kind:     global_buffer
      - .offset:         64
        .size:           8
        .value_kind:     by_value
      - .offset:         72
        .size:           8
        .value_kind:     by_value
      - .offset:         80
        .size:           8
        .value_kind:     by_value
      - .offset:         88
        .size:           8
        .value_kind:     by_value
      - .offset:         96
        .size:           8
        .value_kind:     by_value
      - .address_space:  global
        .offset:         104
        .size:           8
        .value_kind:     global_buffer
      - .offset:         112
        .size:           4
        .value_kind:     by_value
      - .offset:         120
        .size:           4
        .value_kind:     hidden_block_count_x
      - .offset:         124
        .size:           4
        .value_kind:     hidden_block_count_y
      - .offset:         128
        .size:           4
        .value_kind:     hidden_block_count_z
      - .offset:         132
        .size:           2
        .value_kind:     hidden_group_size_x
      - .offset:         134
        .size:           2
        .value_kind:     hidden_group_size_y
      - .offset:         136
        .size:           2
        .value_kind:     hidden_group_size_z
      - .offset:         138
        .size:           2
        .value_kind:     hidden_remainder_x
      - .offset:         140
        .size:           2
        .value_kind:     hidden_remainder_y
      - .offset:         142
        .size:           2
        .value_kind:     hidden_remainder_z
      - .offset:         160
        .size:           8
        .value_kind:     hidden_global_offset_x
      - .offset:         168
        .size:           8
        .value_kind:     hidden_global_offset_y
      - .offset:         176
        .size:           8
        .value_kind:     hidden_global_offset_z
      - .offset:         184
        .size:           2
        .value_kind:     hidden_grid_dims
    .group_segment_fixed_size: 9600
    .kernarg_segment_align: 8
    .kernarg_segment_size: 376
    .language:       OpenCL C
    .language_version:
      - 2
      - 0
    .max_flat_workgroup_size: 256
    .name:           _ZL26rocblas_hemvn_kernel_lowerILb0ELi64ELi4ELi33ELi32ELi16EldPKdPdEviT6_lT7_lT5_lS4_lS5_lS3_lT8_i
    .private_segment_fixed_size: 0
    .sgpr_count:     57
    .sgpr_spill_count: 0
    .symbol:         _ZL26rocblas_hemvn_kernel_lowerILb0ELi64ELi4ELi33ELi32ELi16EldPKdPdEviT6_lT7_lT5_lS4_lS5_lS3_lT8_i.kd
    .uniform_work_group_size: 1
    .uses_dynamic_stack: false
    .vgpr_count:     124
    .vgpr_spill_count: 0
    .wavefront_size: 64
  - .agpr_count:     0
    .args:
      - .offset:         0
        .size:           4
        .value_kind:     by_value
      - .offset:         8
        .size:           8
        .value_kind:     by_value
      - .offset:         16
        .size:           8
        .value_kind:     by_value
      - .offset:         24
        .size:           8
        .value_kind:     by_value
      - .offset:         32
        .size:           8
        .value_kind:     by_value
      - .address_space:  global
        .offset:         40
        .size:           8
        .value_kind:     global_buffer
      - .offset:         48
        .size:           8
        .value_kind:     by_value
      - .offset:         56
        .size:           8
        .value_kind:     by_value
      - .offset:         64
        .size:           8
        .value_kind:     by_value
      - .actual_access:  read_only
        .address_space:  global
        .offset:         72
        .size:           8
        .value_kind:     global_buffer
      - .offset:         80
        .size:           4
        .value_kind:     by_value
      - .offset:         88
        .size:           4
        .value_kind:     hidden_block_count_x
      - .offset:         92
        .size:           4
        .value_kind:     hidden_block_count_y
      - .offset:         96
        .size:           4
        .value_kind:     hidden_block_count_z
      - .offset:         100
        .size:           2
        .value_kind:     hidden_group_size_x
      - .offset:         102
        .size:           2
        .value_kind:     hidden_group_size_y
      - .offset:         104
        .size:           2
        .value_kind:     hidden_group_size_z
      - .offset:         106
        .size:           2
        .value_kind:     hidden_remainder_x
      - .offset:         108
        .size:           2
        .value_kind:     hidden_remainder_y
      - .offset:         110
        .size:           2
        .value_kind:     hidden_remainder_z
      - .offset:         128
        .size:           8
        .value_kind:     hidden_global_offset_x
      - .offset:         136
        .size:           8
        .value_kind:     hidden_global_offset_y
      - .offset:         144
        .size:           8
        .value_kind:     hidden_global_offset_z
      - .offset:         152
        .size:           2
        .value_kind:     hidden_grid_dims
    .group_segment_fixed_size: 0
    .kernarg_segment_align: 8
    .kernarg_segment_size: 344
    .language:       OpenCL C
    .language_version:
      - 2
      - 0
    .max_flat_workgroup_size: 64
    .name:           _ZL36rocblas_hemvn_kernel_lower_block_sumILi64EldPddEviT1_lS1_lT2_lT0_lPT3_i
    .private_segment_fixed_size: 0
    .sgpr_count:     26
    .sgpr_spill_count: 0
    .symbol:         _ZL36rocblas_hemvn_kernel_lower_block_sumILi64EldPddEviT1_lS1_lT2_lT0_lPT3_i.kd
    .uniform_work_group_size: 1
    .uses_dynamic_stack: false
    .vgpr_count:     10
    .vgpr_spill_count: 0
    .wavefront_size: 64
  - .agpr_count:     0
    .args:
      - .offset:         0
        .size:           4
        .value_kind:     by_value
      - .offset:         8
        .size:           8
        .value_kind:     by_value
      - .offset:         16
        .size:           8
        .value_kind:     by_value
      - .address_space:  global
        .offset:         24
        .size:           8
        .value_kind:     global_buffer
      - .offset:         32
        .size:           8
        .value_kind:     by_value
      - .offset:         40
        .size:           4
        .value_kind:     by_value
      - .offset:         48
        .size:           8
        .value_kind:     by_value
      - .address_space:  global
        .offset:         56
        .size:           8
        .value_kind:     global_buffer
      - .offset:         64
        .size:           8
        .value_kind:     by_value
      - .offset:         72
        .size:           4
        .value_kind:     by_value
      - .offset:         80
        .size:           8
        .value_kind:     by_value
      - .offset:         88
        .size:           8
        .value_kind:     by_value
      - .offset:         96
        .size:           8
        .value_kind:     by_value
      - .address_space:  global
        .offset:         104
        .size:           8
        .value_kind:     global_buffer
      - .offset:         112
        .size:           4
        .value_kind:     by_value
      - .offset:         120
        .size:           4
        .value_kind:     hidden_block_count_x
      - .offset:         124
        .size:           4
        .value_kind:     hidden_block_count_y
      - .offset:         128
        .size:           4
        .value_kind:     hidden_block_count_z
      - .offset:         132
        .size:           2
        .value_kind:     hidden_group_size_x
      - .offset:         134
        .size:           2
        .value_kind:     hidden_group_size_y
      - .offset:         136
        .size:           2
        .value_kind:     hidden_group_size_z
      - .offset:         138
        .size:           2
        .value_kind:     hidden_remainder_x
      - .offset:         140
        .size:           2
        .value_kind:     hidden_remainder_y
      - .offset:         142
        .size:           2
        .value_kind:     hidden_remainder_z
      - .offset:         160
        .size:           8
        .value_kind:     hidden_global_offset_x
      - .offset:         168
        .size:           8
        .value_kind:     hidden_global_offset_y
      - .offset:         176
        .size:           8
        .value_kind:     hidden_global_offset_z
      - .offset:         184
        .size:           2
        .value_kind:     hidden_grid_dims
    .group_segment_fixed_size: 9600
    .kernarg_segment_align: 8
    .kernarg_segment_size: 376
    .language:       OpenCL C
    .language_version:
      - 2
      - 0
    .max_flat_workgroup_size: 256
    .name:           _ZL26rocblas_hemvn_kernel_lowerILb0ELi64ELi4ELi33ELi32ELi16EidPKdPdEviT6_lT7_lT5_lS4_lS5_lS3_lT8_i
    .private_segment_fixed_size: 0
    .sgpr_count:     50
    .sgpr_spill_count: 0
    .symbol:         _ZL26rocblas_hemvn_kernel_lowerILb0ELi64ELi4ELi33ELi32ELi16EidPKdPdEviT6_lT7_lT5_lS4_lS5_lS3_lT8_i.kd
    .uniform_work_group_size: 1
    .uses_dynamic_stack: false
    .vgpr_count:     122
    .vgpr_spill_count: 0
    .wavefront_size: 64
  - .agpr_count:     0
    .args:
      - .offset:         0
        .size:           4
        .value_kind:     by_value
      - .offset:         8
        .size:           8
        .value_kind:     by_value
      - .offset:         16
        .size:           8
        .value_kind:     by_value
      - .offset:         24
        .size:           8
        .value_kind:     by_value
      - .offset:         32
        .size:           8
        .value_kind:     by_value
      - .address_space:  global
        .offset:         40
        .size:           8
        .value_kind:     global_buffer
      - .offset:         48
        .size:           8
        .value_kind:     by_value
      - .offset:         56
        .size:           4
        .value_kind:     by_value
      - .offset:         64
        .size:           8
        .value_kind:     by_value
      - .actual_access:  read_only
        .address_space:  global
        .offset:         72
        .size:           8
        .value_kind:     global_buffer
      - .offset:         80
        .size:           4
        .value_kind:     by_value
      - .offset:         88
        .size:           4
        .value_kind:     hidden_block_count_x
      - .offset:         92
        .size:           4
        .value_kind:     hidden_block_count_y
      - .offset:         96
        .size:           4
        .value_kind:     hidden_block_count_z
      - .offset:         100
        .size:           2
        .value_kind:     hidden_group_size_x
      - .offset:         102
        .size:           2
        .value_kind:     hidden_group_size_y
      - .offset:         104
        .size:           2
        .value_kind:     hidden_group_size_z
      - .offset:         106
        .size:           2
        .value_kind:     hidden_remainder_x
      - .offset:         108
        .size:           2
        .value_kind:     hidden_remainder_y
      - .offset:         110
        .size:           2
        .value_kind:     hidden_remainder_z
      - .offset:         128
        .size:           8
        .value_kind:     hidden_global_offset_x
      - .offset:         136
        .size:           8
        .value_kind:     hidden_global_offset_y
      - .offset:         144
        .size:           8
        .value_kind:     hidden_global_offset_z
      - .offset:         152
        .size:           2
        .value_kind:     hidden_grid_dims
    .group_segment_fixed_size: 0
    .kernarg_segment_align: 8
    .kernarg_segment_size: 344
    .language:       OpenCL C
    .language_version:
      - 2
      - 0
    .max_flat_workgroup_size: 64
    .name:           _ZL36rocblas_hemvn_kernel_lower_block_sumILi64EidPddEviT1_lS1_lT2_lT0_lPT3_i
    .private_segment_fixed_size: 0
    .sgpr_count:     25
    .sgpr_spill_count: 0
    .symbol:         _ZL36rocblas_hemvn_kernel_lower_block_sumILi64EidPddEviT1_lS1_lT2_lT0_lPT3_i.kd
    .uniform_work_group_size: 1
    .uses_dynamic_stack: false
    .vgpr_count:     10
    .vgpr_spill_count: 0
    .wavefront_size: 64
  - .agpr_count:     0
    .args:
      - .offset:         0
        .size:           4
        .value_kind:     by_value
      - .address_space:  global
        .offset:         8
        .size:           8
        .value_kind:     global_buffer
      - .offset:         16
        .size:           8
        .value_kind:     by_value
      - .address_space:  global
        .offset:         24
        .size:           8
        .value_kind:     global_buffer
      - .offset:         32
        .size:           8
        .value_kind:     by_value
      - .offset:         40
        .size:           8
        .value_kind:     by_value
      - .offset:         48
        .size:           8
        .value_kind:     by_value
      - .address_space:  global
        .offset:         56
        .size:           8
        .value_kind:     global_buffer
      - .offset:         64
        .size:           8
        .value_kind:     by_value
      - .offset:         72
        .size:           8
        .value_kind:     by_value
      - .offset:         80
        .size:           8
        .value_kind:     by_value
      - .address_space:  global
        .offset:         88
        .size:           8
        .value_kind:     global_buffer
      - .offset:         96
        .size:           8
        .value_kind:     by_value
      - .address_space:  global
        .offset:         104
        .size:           8
        .value_kind:     global_buffer
      - .offset:         112
        .size:           4
        .value_kind:     by_value
      - .offset:         120
        .size:           4
        .value_kind:     hidden_block_count_x
      - .offset:         124
        .size:           4
        .value_kind:     hidden_block_count_y
      - .offset:         128
        .size:           4
        .value_kind:     hidden_block_count_z
      - .offset:         132
        .size:           2
        .value_kind:     hidden_group_size_x
      - .offset:         134
        .size:           2
        .value_kind:     hidden_group_size_y
      - .offset:         136
        .size:           2
        .value_kind:     hidden_group_size_z
      - .offset:         138
        .size:           2
        .value_kind:     hidden_remainder_x
      - .offset:         140
        .size:           2
        .value_kind:     hidden_remainder_y
      - .offset:         142
        .size:           2
        .value_kind:     hidden_remainder_z
      - .offset:         160
        .size:           8
        .value_kind:     hidden_global_offset_x
      - .offset:         168
        .size:           8
        .value_kind:     hidden_global_offset_y
      - .offset:         176
        .size:           8
        .value_kind:     hidden_global_offset_z
      - .offset:         184
        .size:           2
        .value_kind:     hidden_grid_dims
    .group_segment_fixed_size: 9600
    .kernarg_segment_align: 8
    .kernarg_segment_size: 376
    .language:       OpenCL C
    .language_version:
      - 2
      - 0
    .max_flat_workgroup_size: 256
    .name:           _ZL26rocblas_hemvn_kernel_upperILb0ELi64ELi4ELi33ELi32ELi16ElPK19rocblas_complex_numIfES3_PS1_EviT6_lT7_lT5_lS6_lS7_lS5_lT8_i
    .private_segment_fixed_size: 0
    .sgpr_count:     46
    .sgpr_spill_count: 0
    .symbol:         _ZL26rocblas_hemvn_kernel_upperILb0ELi64ELi4ELi33ELi32ELi16ElPK19rocblas_complex_numIfES3_PS1_EviT6_lT7_lT5_lS6_lS7_lS5_lT8_i.kd
    .uniform_work_group_size: 1
    .uses_dynamic_stack: false
    .vgpr_count:     150
    .vgpr_spill_count: 0
    .wavefront_size: 64
  - .agpr_count:     0
    .args:
      - .offset:         0
        .size:           4
        .value_kind:     by_value
      - .address_space:  global
        .offset:         8
        .size:           8
        .value_kind:     global_buffer
      - .offset:         16
        .size:           8
        .value_kind:     by_value
      - .address_space:  global
        .offset:         24
        .size:           8
        .value_kind:     global_buffer
      - .offset:         32
        .size:           8
        .value_kind:     by_value
      - .offset:         40
        .size:           4
        .value_kind:     by_value
      - .offset:         48
        .size:           8
        .value_kind:     by_value
      - .address_space:  global
        .offset:         56
        .size:           8
        .value_kind:     global_buffer
      - .offset:         64
        .size:           8
        .value_kind:     by_value
      - .offset:         72
        .size:           4
        .value_kind:     by_value
      - .offset:         80
        .size:           8
        .value_kind:     by_value
      - .address_space:  global
        .offset:         88
        .size:           8
        .value_kind:     global_buffer
      - .offset:         96
        .size:           8
        .value_kind:     by_value
      - .address_space:  global
        .offset:         104
        .size:           8
        .value_kind:     global_buffer
      - .offset:         112
        .size:           4
        .value_kind:     by_value
      - .offset:         120
        .size:           4
        .value_kind:     hidden_block_count_x
      - .offset:         124
        .size:           4
        .value_kind:     hidden_block_count_y
      - .offset:         128
        .size:           4
        .value_kind:     hidden_block_count_z
      - .offset:         132
        .size:           2
        .value_kind:     hidden_group_size_x
      - .offset:         134
        .size:           2
        .value_kind:     hidden_group_size_y
      - .offset:         136
        .size:           2
        .value_kind:     hidden_group_size_z
      - .offset:         138
        .size:           2
        .value_kind:     hidden_remainder_x
      - .offset:         140
        .size:           2
        .value_kind:     hidden_remainder_y
      - .offset:         142
        .size:           2
        .value_kind:     hidden_remainder_z
      - .offset:         160
        .size:           8
        .value_kind:     hidden_global_offset_x
      - .offset:         168
        .size:           8
        .value_kind:     hidden_global_offset_y
      - .offset:         176
        .size:           8
        .value_kind:     hidden_global_offset_z
      - .offset:         184
        .size:           2
        .value_kind:     hidden_grid_dims
    .group_segment_fixed_size: 9600
    .kernarg_segment_align: 8
    .kernarg_segment_size: 376
    .language:       OpenCL C
    .language_version:
      - 2
      - 0
    .max_flat_workgroup_size: 256
    .name:           _ZL26rocblas_hemvn_kernel_upperILb0ELi64ELi4ELi33ELi32ELi16EiPK19rocblas_complex_numIfES3_PS1_EviT6_lT7_lT5_lS6_lS7_lS5_lT8_i
    .private_segment_fixed_size: 0
    .sgpr_count:     48
    .sgpr_spill_count: 0
    .symbol:         _ZL26rocblas_hemvn_kernel_upperILb0ELi64ELi4ELi33ELi32ELi16EiPK19rocblas_complex_numIfES3_PS1_EviT6_lT7_lT5_lS6_lS7_lS5_lT8_i.kd
    .uniform_work_group_size: 1
    .uses_dynamic_stack: false
    .vgpr_count:     160
    .vgpr_spill_count: 0
    .wavefront_size: 64
  - .agpr_count:     0
    .args:
      - .offset:         0
        .size:           4
        .value_kind:     by_value
      - .offset:         4
        .size:           8
        .value_kind:     by_value
      - .offset:         16
        .size:           8
        .value_kind:     by_value
      - .address_space:  global
        .offset:         24
        .size:           8
        .value_kind:     global_buffer
      - .offset:         32
        .size:           8
        .value_kind:     by_value
      - .offset:         40
        .size:           8
        .value_kind:     by_value
      - .offset:         48
        .size:           8
        .value_kind:     by_value
      - .address_space:  global
        .offset:         56
        .size:           8
        .value_kind:     global_buffer
      - .offset:         64
        .size:           8
        .value_kind:     by_value
      - .offset:         72
        .size:           8
        .value_kind:     by_value
      - .offset:         80
        .size:           8
        .value_kind:     by_value
      - .offset:         88
        .size:           8
        .value_kind:     by_value
      - .offset:         96
        .size:           8
        .value_kind:     by_value
      - .address_space:  global
        .offset:         104
        .size:           8
        .value_kind:     global_buffer
      - .offset:         112
        .size:           4
        .value_kind:     by_value
      - .offset:         120
        .size:           4
        .value_kind:     hidden_block_count_x
      - .offset:         124
        .size:           4
        .value_kind:     hidden_block_count_y
      - .offset:         128
        .size:           4
        .value_kind:     hidden_block_count_z
      - .offset:         132
        .size:           2
        .value_kind:     hidden_group_size_x
      - .offset:         134
        .size:           2
        .value_kind:     hidden_group_size_y
      - .offset:         136
        .size:           2
        .value_kind:     hidden_group_size_z
      - .offset:         138
        .size:           2
        .value_kind:     hidden_remainder_x
      - .offset:         140
        .size:           2
        .value_kind:     hidden_remainder_y
      - .offset:         142
        .size:           2
        .value_kind:     hidden_remainder_z
      - .offset:         160
        .size:           8
        .value_kind:     hidden_global_offset_x
      - .offset:         168
        .size:           8
        .value_kind:     hidden_global_offset_y
      - .offset:         176
        .size:           8
        .value_kind:     hidden_global_offset_z
      - .offset:         184
        .size:           2
        .value_kind:     hidden_grid_dims
    .group_segment_fixed_size: 9600
    .kernarg_segment_align: 8
    .kernarg_segment_size: 376
    .language:       OpenCL C
    .language_version:
      - 2
      - 0
    .max_flat_workgroup_size: 256
    .name:           _ZL26rocblas_hemvn_kernel_upperILb0ELi64ELi4ELi33ELi32ELi16El19rocblas_complex_numIfEPKS1_PS1_EviT6_lT7_lT5_lS6_lS7_lS5_lT8_i
    .private_segment_fixed_size: 0
    .sgpr_count:     46
    .sgpr_spill_count: 0
    .symbol:         _ZL26rocblas_hemvn_kernel_upperILb0ELi64ELi4ELi33ELi32ELi16El19rocblas_complex_numIfEPKS1_PS1_EviT6_lT7_lT5_lS6_lS7_lS5_lT8_i.kd
    .uniform_work_group_size: 1
    .uses_dynamic_stack: false
    .vgpr_count:     150
    .vgpr_spill_count: 0
    .wavefront_size: 64
  - .agpr_count:     0
    .args:
      - .offset:         0
        .size:           4
        .value_kind:     by_value
      - .offset:         4
        .size:           8
        .value_kind:     by_value
      - .offset:         16
        .size:           8
        .value_kind:     by_value
      - .address_space:  global
        .offset:         24
        .size:           8
        .value_kind:     global_buffer
      - .offset:         32
        .size:           8
        .value_kind:     by_value
      - .offset:         40
        .size:           4
        .value_kind:     by_value
      - .offset:         48
        .size:           8
        .value_kind:     by_value
      - .address_space:  global
        .offset:         56
        .size:           8
        .value_kind:     global_buffer
      - .offset:         64
        .size:           8
        .value_kind:     by_value
      - .offset:         72
        .size:           4
        .value_kind:     by_value
      - .offset:         80
        .size:           8
        .value_kind:     by_value
      - .offset:         88
        .size:           8
        .value_kind:     by_value
      - .offset:         96
        .size:           8
        .value_kind:     by_value
      - .address_space:  global
        .offset:         104
        .size:           8
        .value_kind:     global_buffer
      - .offset:         112
        .size:           4
        .value_kind:     by_value
      - .offset:         120
        .size:           4
        .value_kind:     hidden_block_count_x
      - .offset:         124
        .size:           4
        .value_kind:     hidden_block_count_y
      - .offset:         128
        .size:           4
        .value_kind:     hidden_block_count_z
      - .offset:         132
        .size:           2
        .value_kind:     hidden_group_size_x
      - .offset:         134
        .size:           2
        .value_kind:     hidden_group_size_y
      - .offset:         136
        .size:           2
        .value_kind:     hidden_group_size_z
      - .offset:         138
        .size:           2
        .value_kind:     hidden_remainder_x
      - .offset:         140
        .size:           2
        .value_kind:     hidden_remainder_y
      - .offset:         142
        .size:           2
        .value_kind:     hidden_remainder_z
      - .offset:         160
        .size:           8
        .value_kind:     hidden_global_offset_x
      - .offset:         168
        .size:           8
        .value_kind:     hidden_global_offset_y
      - .offset:         176
        .size:           8
        .value_kind:     hidden_global_offset_z
      - .offset:         184
        .size:           2
        .value_kind:     hidden_grid_dims
    .group_segment_fixed_size: 9600
    .kernarg_segment_align: 8
    .kernarg_segment_size: 376
    .language:       OpenCL C
    .language_version:
      - 2
      - 0
    .max_flat_workgroup_size: 256
    .name:           _ZL26rocblas_hemvn_kernel_upperILb0ELi64ELi4ELi33ELi32ELi16Ei19rocblas_complex_numIfEPKS1_PS1_EviT6_lT7_lT5_lS6_lS7_lS5_lT8_i
    .private_segment_fixed_size: 0
    .sgpr_count:     48
    .sgpr_spill_count: 0
    .symbol:         _ZL26rocblas_hemvn_kernel_upperILb0ELi64ELi4ELi33ELi32ELi16Ei19rocblas_complex_numIfEPKS1_PS1_EviT6_lT7_lT5_lS6_lS7_lS5_lT8_i.kd
    .uniform_work_group_size: 1
    .uses_dynamic_stack: false
    .vgpr_count:     160
    .vgpr_spill_count: 0
    .wavefront_size: 64
  - .agpr_count:     0
    .args:
      - .offset:         0
        .size:           4
        .value_kind:     by_value
      - .address_space:  global
        .offset:         8
        .size:           8
        .value_kind:     global_buffer
      - .offset:         16
        .size:           8
        .value_kind:     by_value
      - .address_space:  global
        .offset:         24
        .size:           8
        .value_kind:     global_buffer
      - .offset:         32
        .size:           8
        .value_kind:     by_value
      - .offset:         40
        .size:           8
        .value_kind:     by_value
      - .offset:         48
        .size:           8
        .value_kind:     by_value
      - .address_space:  global
        .offset:         56
        .size:           8
        .value_kind:     global_buffer
      - .offset:         64
        .size:           8
        .value_kind:     by_value
      - .offset:         72
        .size:           8
        .value_kind:     by_value
      - .offset:         80
        .size:           8
        .value_kind:     by_value
      - .address_space:  global
        .offset:         88
        .size:           8
        .value_kind:     global_buffer
      - .offset:         96
        .size:           8
        .value_kind:     by_value
      - .address_space:  global
        .offset:         104
        .size:           8
        .value_kind:     global_buffer
      - .offset:         112
        .size:           4
        .value_kind:     by_value
      - .offset:         120
        .size:           4
        .value_kind:     hidden_block_count_x
      - .offset:         124
        .size:           4
        .value_kind:     hidden_block_count_y
      - .offset:         128
        .size:           4
        .value_kind:     hidden_block_count_z
      - .offset:         132
        .size:           2
        .value_kind:     hidden_group_size_x
      - .offset:         134
        .size:           2
        .value_kind:     hidden_group_size_y
      - .offset:         136
        .size:           2
        .value_kind:     hidden_group_size_z
      - .offset:         138
        .size:           2
        .value_kind:     hidden_remainder_x
      - .offset:         140
        .size:           2
        .value_kind:     hidden_remainder_y
      - .offset:         142
        .size:           2
        .value_kind:     hidden_remainder_z
      - .offset:         160
        .size:           8
        .value_kind:     hidden_global_offset_x
      - .offset:         168
        .size:           8
        .value_kind:     hidden_global_offset_y
      - .offset:         176
        .size:           8
        .value_kind:     hidden_global_offset_z
      - .offset:         184
        .size:           2
        .value_kind:     hidden_grid_dims
    .group_segment_fixed_size: 9600
    .kernarg_segment_align: 8
    .kernarg_segment_size: 376
    .language:       OpenCL C
    .language_version:
      - 2
      - 0
    .max_flat_workgroup_size: 256
    .name:           _ZL26rocblas_hemvn_kernel_lowerILb0ELi64ELi4ELi33ELi32ELi16ElPK19rocblas_complex_numIfES3_PS1_EviT6_lT7_lT5_lS6_lS7_lS5_lT8_i
    .private_segment_fixed_size: 0
    .sgpr_count:     50
    .sgpr_spill_count: 0
    .symbol:         _ZL26rocblas_hemvn_kernel_lowerILb0ELi64ELi4ELi33ELi32ELi16ElPK19rocblas_complex_numIfES3_PS1_EviT6_lT7_lT5_lS6_lS7_lS5_lT8_i.kd
    .uniform_work_group_size: 1
    .uses_dynamic_stack: false
    .vgpr_count:     120
    .vgpr_spill_count: 0
    .wavefront_size: 64
  - .agpr_count:     0
    .args:
      - .offset:         0
        .size:           4
        .value_kind:     by_value
      - .address_space:  global
        .offset:         8
        .size:           8
        .value_kind:     global_buffer
      - .offset:         16
        .size:           8
        .value_kind:     by_value
      - .address_space:  global
        .offset:         24
        .size:           8
        .value_kind:     global_buffer
      - .offset:         32
        .size:           8
        .value_kind:     by_value
      - .offset:         40
        .size:           4
        .value_kind:     by_value
      - .offset:         48
        .size:           8
        .value_kind:     by_value
      - .address_space:  global
        .offset:         56
        .size:           8
        .value_kind:     global_buffer
      - .offset:         64
        .size:           8
        .value_kind:     by_value
      - .offset:         72
        .size:           4
        .value_kind:     by_value
      - .offset:         80
        .size:           8
        .value_kind:     by_value
      - .address_space:  global
        .offset:         88
        .size:           8
        .value_kind:     global_buffer
      - .offset:         96
        .size:           8
        .value_kind:     by_value
      - .address_space:  global
        .offset:         104
        .size:           8
        .value_kind:     global_buffer
      - .offset:         112
        .size:           4
        .value_kind:     by_value
      - .offset:         120
        .size:           4
        .value_kind:     hidden_block_count_x
      - .offset:         124
        .size:           4
        .value_kind:     hidden_block_count_y
      - .offset:         128
        .size:           4
        .value_kind:     hidden_block_count_z
      - .offset:         132
        .size:           2
        .value_kind:     hidden_group_size_x
      - .offset:         134
        .size:           2
        .value_kind:     hidden_group_size_y
      - .offset:         136
        .size:           2
        .value_kind:     hidden_group_size_z
      - .offset:         138
        .size:           2
        .value_kind:     hidden_remainder_x
      - .offset:         140
        .size:           2
        .value_kind:     hidden_remainder_y
      - .offset:         142
        .size:           2
        .value_kind:     hidden_remainder_z
      - .offset:         160
        .size:           8
        .value_kind:     hidden_global_offset_x
      - .offset:         168
        .size:           8
        .value_kind:     hidden_global_offset_y
      - .offset:         176
        .size:           8
        .value_kind:     hidden_global_offset_z
      - .offset:         184
        .size:           2
        .value_kind:     hidden_grid_dims
    .group_segment_fixed_size: 9600
    .kernarg_segment_align: 8
    .kernarg_segment_size: 376
    .language:       OpenCL C
    .language_version:
      - 2
      - 0
    .max_flat_workgroup_size: 256
    .name:           _ZL26rocblas_hemvn_kernel_lowerILb0ELi64ELi4ELi33ELi32ELi16EiPK19rocblas_complex_numIfES3_PS1_EviT6_lT7_lT5_lS6_lS7_lS5_lT8_i
    .private_segment_fixed_size: 0
    .sgpr_count:     50
    .sgpr_spill_count: 0
    .symbol:         _ZL26rocblas_hemvn_kernel_lowerILb0ELi64ELi4ELi33ELi32ELi16EiPK19rocblas_complex_numIfES3_PS1_EviT6_lT7_lT5_lS6_lS7_lS5_lT8_i.kd
    .uniform_work_group_size: 1
    .uses_dynamic_stack: false
    .vgpr_count:     118
    .vgpr_spill_count: 0
    .wavefront_size: 64
  - .agpr_count:     0
    .args:
      - .offset:         0
        .size:           4
        .value_kind:     by_value
      - .offset:         4
        .size:           8
        .value_kind:     by_value
      - .offset:         16
        .size:           8
        .value_kind:     by_value
      - .address_space:  global
        .offset:         24
        .size:           8
        .value_kind:     global_buffer
      - .offset:         32
        .size:           8
        .value_kind:     by_value
      - .offset:         40
        .size:           8
        .value_kind:     by_value
      - .offset:         48
        .size:           8
        .value_kind:     by_value
      - .address_space:  global
        .offset:         56
        .size:           8
        .value_kind:     global_buffer
      - .offset:         64
        .size:           8
        .value_kind:     by_value
      - .offset:         72
        .size:           8
        .value_kind:     by_value
      - .offset:         80
        .size:           8
        .value_kind:     by_value
      - .offset:         88
        .size:           8
        .value_kind:     by_value
      - .offset:         96
        .size:           8
        .value_kind:     by_value
      - .address_space:  global
        .offset:         104
        .size:           8
        .value_kind:     global_buffer
      - .offset:         112
        .size:           4
        .value_kind:     by_value
      - .offset:         120
        .size:           4
        .value_kind:     hidden_block_count_x
      - .offset:         124
        .size:           4
        .value_kind:     hidden_block_count_y
      - .offset:         128
        .size:           4
        .value_kind:     hidden_block_count_z
      - .offset:         132
        .size:           2
        .value_kind:     hidden_group_size_x
      - .offset:         134
        .size:           2
        .value_kind:     hidden_group_size_y
      - .offset:         136
        .size:           2
        .value_kind:     hidden_group_size_z
      - .offset:         138
        .size:           2
        .value_kind:     hidden_remainder_x
      - .offset:         140
        .size:           2
        .value_kind:     hidden_remainder_y
      - .offset:         142
        .size:           2
        .value_kind:     hidden_remainder_z
      - .offset:         160
        .size:           8
        .value_kind:     hidden_global_offset_x
      - .offset:         168
        .size:           8
        .value_kind:     hidden_global_offset_y
      - .offset:         176
        .size:           8
        .value_kind:     hidden_global_offset_z
      - .offset:         184
        .size:           2
        .value_kind:     hidden_grid_dims
    .group_segment_fixed_size: 9600
    .kernarg_segment_align: 8
    .kernarg_segment_size: 376
    .language:       OpenCL C
    .language_version:
      - 2
      - 0
    .max_flat_workgroup_size: 256
    .name:           _ZL26rocblas_hemvn_kernel_lowerILb0ELi64ELi4ELi33ELi32ELi16El19rocblas_complex_numIfEPKS1_PS1_EviT6_lT7_lT5_lS6_lS7_lS5_lT8_i
    .private_segment_fixed_size: 0
    .sgpr_count:     57
    .sgpr_spill_count: 0
    .symbol:         _ZL26rocblas_hemvn_kernel_lowerILb0ELi64ELi4ELi33ELi32ELi16El19rocblas_complex_numIfEPKS1_PS1_EviT6_lT7_lT5_lS6_lS7_lS5_lT8_i.kd
    .uniform_work_group_size: 1
    .uses_dynamic_stack: false
    .vgpr_count:     120
    .vgpr_spill_count: 0
    .wavefront_size: 64
  - .agpr_count:     0
    .args:
      - .offset:         0
        .size:           4
        .value_kind:     by_value
      - .offset:         4
        .size:           8
        .value_kind:     by_value
      - .offset:         16
        .size:           8
        .value_kind:     by_value
      - .address_space:  global
        .offset:         24
        .size:           8
        .value_kind:     global_buffer
      - .offset:         32
        .size:           8
        .value_kind:     by_value
      - .offset:         40
        .size:           4
        .value_kind:     by_value
      - .offset:         48
        .size:           8
        .value_kind:     by_value
      - .address_space:  global
        .offset:         56
        .size:           8
        .value_kind:     global_buffer
      - .offset:         64
        .size:           8
        .value_kind:     by_value
      - .offset:         72
        .size:           4
        .value_kind:     by_value
      - .offset:         80
        .size:           8
        .value_kind:     by_value
      - .offset:         88
        .size:           8
        .value_kind:     by_value
      - .offset:         96
        .size:           8
        .value_kind:     by_value
      - .address_space:  global
        .offset:         104
        .size:           8
        .value_kind:     global_buffer
      - .offset:         112
        .size:           4
        .value_kind:     by_value
      - .offset:         120
        .size:           4
        .value_kind:     hidden_block_count_x
      - .offset:         124
        .size:           4
        .value_kind:     hidden_block_count_y
      - .offset:         128
        .size:           4
        .value_kind:     hidden_block_count_z
      - .offset:         132
        .size:           2
        .value_kind:     hidden_group_size_x
      - .offset:         134
        .size:           2
        .value_kind:     hidden_group_size_y
      - .offset:         136
        .size:           2
        .value_kind:     hidden_group_size_z
      - .offset:         138
        .size:           2
        .value_kind:     hidden_remainder_x
      - .offset:         140
        .size:           2
        .value_kind:     hidden_remainder_y
      - .offset:         142
        .size:           2
        .value_kind:     hidden_remainder_z
      - .offset:         160
        .size:           8
        .value_kind:     hidden_global_offset_x
      - .offset:         168
        .size:           8
        .value_kind:     hidden_global_offset_y
      - .offset:         176
        .size:           8
        .value_kind:     hidden_global_offset_z
      - .offset:         184
        .size:           2
        .value_kind:     hidden_grid_dims
    .group_segment_fixed_size: 9600
    .kernarg_segment_align: 8
    .kernarg_segment_size: 376
    .language:       OpenCL C
    .language_version:
      - 2
      - 0
    .max_flat_workgroup_size: 256
    .name:           _ZL26rocblas_hemvn_kernel_lowerILb0ELi64ELi4ELi33ELi32ELi16Ei19rocblas_complex_numIfEPKS1_PS1_EviT6_lT7_lT5_lS6_lS7_lS5_lT8_i
    .private_segment_fixed_size: 0
    .sgpr_count:     50
    .sgpr_spill_count: 0
    .symbol:         _ZL26rocblas_hemvn_kernel_lowerILb0ELi64ELi4ELi33ELi32ELi16Ei19rocblas_complex_numIfEPKS1_PS1_EviT6_lT7_lT5_lS6_lS7_lS5_lT8_i.kd
    .uniform_work_group_size: 1
    .uses_dynamic_stack: false
    .vgpr_count:     118
    .vgpr_spill_count: 0
    .wavefront_size: 64
  - .agpr_count:     0
    .args:
      - .offset:         0
        .size:           4
        .value_kind:     by_value
      - .address_space:  global
        .offset:         8
        .size:           8
        .value_kind:     global_buffer
      - .offset:         16
        .size:           8
        .value_kind:     by_value
      - .address_space:  global
        .offset:         24
        .size:           8
        .value_kind:     global_buffer
      - .offset:         32
        .size:           8
        .value_kind:     by_value
      - .offset:         40
        .size:           8
        .value_kind:     by_value
      - .offset:         48
        .size:           8
        .value_kind:     by_value
      - .address_space:  global
        .offset:         56
        .size:           8
        .value_kind:     global_buffer
      - .offset:         64
        .size:           8
        .value_kind:     by_value
      - .offset:         72
        .size:           8
        .value_kind:     by_value
      - .offset:         80
        .size:           8
        .value_kind:     by_value
      - .address_space:  global
        .offset:         88
        .size:           8
        .value_kind:     global_buffer
      - .offset:         96
        .size:           8
        .value_kind:     by_value
      - .address_space:  global
        .offset:         104
        .size:           8
        .value_kind:     global_buffer
      - .offset:         112
        .size:           4
        .value_kind:     by_value
      - .offset:         120
        .size:           4
        .value_kind:     hidden_block_count_x
      - .offset:         124
        .size:           4
        .value_kind:     hidden_block_count_y
      - .offset:         128
        .size:           4
        .value_kind:     hidden_block_count_z
      - .offset:         132
        .size:           2
        .value_kind:     hidden_group_size_x
      - .offset:         134
        .size:           2
        .value_kind:     hidden_group_size_y
      - .offset:         136
        .size:           2
        .value_kind:     hidden_group_size_z
      - .offset:         138
        .size:           2
        .value_kind:     hidden_remainder_x
      - .offset:         140
        .size:           2
        .value_kind:     hidden_remainder_y
      - .offset:         142
        .size:           2
        .value_kind:     hidden_remainder_z
      - .offset:         160
        .size:           8
        .value_kind:     hidden_global_offset_x
      - .offset:         168
        .size:           8
        .value_kind:     hidden_global_offset_y
      - .offset:         176
        .size:           8
        .value_kind:     hidden_global_offset_z
      - .offset:         184
        .size:           2
        .value_kind:     hidden_grid_dims
    .group_segment_fixed_size: 19200
    .kernarg_segment_align: 8
    .kernarg_segment_size: 376
    .language:       OpenCL C
    .language_version:
      - 2
      - 0
    .max_flat_workgroup_size: 256
    .name:           _ZL26rocblas_hemvn_kernel_upperILb0ELi64ELi4ELi33ELi32ELi16ElPK19rocblas_complex_numIdES3_PS1_EviT6_lT7_lT5_lS6_lS7_lS5_lT8_i
    .private_segment_fixed_size: 0
    .sgpr_count:     46
    .sgpr_spill_count: 0
    .symbol:         _ZL26rocblas_hemvn_kernel_upperILb0ELi64ELi4ELi33ELi32ELi16ElPK19rocblas_complex_numIdES3_PS1_EviT6_lT7_lT5_lS6_lS7_lS5_lT8_i.kd
    .uniform_work_group_size: 1
    .uses_dynamic_stack: false
    .vgpr_count:     230
    .vgpr_spill_count: 0
    .wavefront_size: 64
  - .agpr_count:     0
    .args:
      - .offset:         0
        .size:           4
        .value_kind:     by_value
      - .address_space:  global
        .offset:         8
        .size:           8
        .value_kind:     global_buffer
      - .offset:         16
        .size:           8
        .value_kind:     by_value
      - .address_space:  global
        .offset:         24
        .size:           8
        .value_kind:     global_buffer
      - .offset:         32
        .size:           8
        .value_kind:     by_value
      - .offset:         40
        .size:           4
        .value_kind:     by_value
      - .offset:         48
        .size:           8
        .value_kind:     by_value
      - .address_space:  global
        .offset:         56
        .size:           8
        .value_kind:     global_buffer
      - .offset:         64
        .size:           8
        .value_kind:     by_value
      - .offset:         72
        .size:           4
        .value_kind:     by_value
      - .offset:         80
        .size:           8
        .value_kind:     by_value
      - .address_space:  global
        .offset:         88
        .size:           8
        .value_kind:     global_buffer
      - .offset:         96
        .size:           8
        .value_kind:     by_value
      - .address_space:  global
        .offset:         104
        .size:           8
        .value_kind:     global_buffer
      - .offset:         112
        .size:           4
        .value_kind:     by_value
      - .offset:         120
        .size:           4
        .value_kind:     hidden_block_count_x
      - .offset:         124
        .size:           4
        .value_kind:     hidden_block_count_y
      - .offset:         128
        .size:           4
        .value_kind:     hidden_block_count_z
      - .offset:         132
        .size:           2
        .value_kind:     hidden_group_size_x
      - .offset:         134
        .size:           2
        .value_kind:     hidden_group_size_y
      - .offset:         136
        .size:           2
        .value_kind:     hidden_group_size_z
      - .offset:         138
        .size:           2
        .value_kind:     hidden_remainder_x
      - .offset:         140
        .size:           2
        .value_kind:     hidden_remainder_y
      - .offset:         142
        .size:           2
        .value_kind:     hidden_remainder_z
      - .offset:         160
        .size:           8
        .value_kind:     hidden_global_offset_x
      - .offset:         168
        .size:           8
        .value_kind:     hidden_global_offset_y
      - .offset:         176
        .size:           8
        .value_kind:     hidden_global_offset_z
      - .offset:         184
        .size:           2
        .value_kind:     hidden_grid_dims
    .group_segment_fixed_size: 19200
    .kernarg_segment_align: 8
    .kernarg_segment_size: 376
    .language:       OpenCL C
    .language_version:
      - 2
      - 0
    .max_flat_workgroup_size: 256
    .name:           _ZL26rocblas_hemvn_kernel_upperILb0ELi64ELi4ELi33ELi32ELi16EiPK19rocblas_complex_numIdES3_PS1_EviT6_lT7_lT5_lS6_lS7_lS5_lT8_i
    .private_segment_fixed_size: 0
    .sgpr_count:     48
    .sgpr_spill_count: 0
    .symbol:         _ZL26rocblas_hemvn_kernel_upperILb0ELi64ELi4ELi33ELi32ELi16EiPK19rocblas_complex_numIdES3_PS1_EviT6_lT7_lT5_lS6_lS7_lS5_lT8_i.kd
    .uniform_work_group_size: 1
    .uses_dynamic_stack: false
    .vgpr_count:     240
    .vgpr_spill_count: 0
    .wavefront_size: 64
  - .agpr_count:     0
    .args:
      - .offset:         0
        .size:           4
        .value_kind:     by_value
      - .offset:         8
        .size:           16
        .value_kind:     by_value
      - .offset:         24
        .size:           8
        .value_kind:     by_value
      - .address_space:  global
        .offset:         32
        .size:           8
        .value_kind:     global_buffer
      - .offset:         40
        .size:           8
        .value_kind:     by_value
      - .offset:         48
        .size:           8
        .value_kind:     by_value
      - .offset:         56
        .size:           8
        .value_kind:     by_value
      - .address_space:  global
        .offset:         64
        .size:           8
        .value_kind:     global_buffer
      - .offset:         72
        .size:           8
        .value_kind:     by_value
      - .offset:         80
        .size:           8
        .value_kind:     by_value
      - .offset:         88
        .size:           8
        .value_kind:     by_value
      - .offset:         96
        .size:           16
        .value_kind:     by_value
      - .offset:         112
        .size:           8
        .value_kind:     by_value
      - .address_space:  global
        .offset:         120
        .size:           8
        .value_kind:     global_buffer
      - .offset:         128
        .size:           4
        .value_kind:     by_value
      - .offset:         136
        .size:           4
        .value_kind:     hidden_block_count_x
      - .offset:         140
        .size:           4
        .value_kind:     hidden_block_count_y
      - .offset:         144
        .size:           4
        .value_kind:     hidden_block_count_z
      - .offset:         148
        .size:           2
        .value_kind:     hidden_group_size_x
      - .offset:         150
        .size:           2
        .value_kind:     hidden_group_size_y
      - .offset:         152
        .size:           2
        .value_kind:     hidden_group_size_z
      - .offset:         154
        .size:           2
        .value_kind:     hidden_remainder_x
      - .offset:         156
        .size:           2
        .value_kind:     hidden_remainder_y
      - .offset:         158
        .size:           2
        .value_kind:     hidden_remainder_z
      - .offset:         176
        .size:           8
        .value_kind:     hidden_global_offset_x
      - .offset:         184
        .size:           8
        .value_kind:     hidden_global_offset_y
      - .offset:         192
        .size:           8
        .value_kind:     hidden_global_offset_z
      - .offset:         200
        .size:           2
        .value_kind:     hidden_grid_dims
    .group_segment_fixed_size: 19200
    .kernarg_segment_align: 8
    .kernarg_segment_size: 392
    .language:       OpenCL C
    .language_version:
      - 2
      - 0
    .max_flat_workgroup_size: 256
    .name:           _ZL26rocblas_hemvn_kernel_upperILb0ELi64ELi4ELi33ELi32ELi16El19rocblas_complex_numIdEPKS1_PS1_EviT6_lT7_lT5_lS6_lS7_lS5_lT8_i
    .private_segment_fixed_size: 0
    .sgpr_count:     46
    .sgpr_spill_count: 0
    .symbol:         _ZL26rocblas_hemvn_kernel_upperILb0ELi64ELi4ELi33ELi32ELi16El19rocblas_complex_numIdEPKS1_PS1_EviT6_lT7_lT5_lS6_lS7_lS5_lT8_i.kd
    .uniform_work_group_size: 1
    .uses_dynamic_stack: false
    .vgpr_count:     230
    .vgpr_spill_count: 0
    .wavefront_size: 64
  - .agpr_count:     0
    .args:
      - .offset:         0
        .size:           4
        .value_kind:     by_value
      - .offset:         8
        .size:           16
        .value_kind:     by_value
      - .offset:         24
        .size:           8
        .value_kind:     by_value
      - .address_space:  global
        .offset:         32
        .size:           8
        .value_kind:     global_buffer
      - .offset:         40
        .size:           8
        .value_kind:     by_value
      - .offset:         48
        .size:           4
        .value_kind:     by_value
      - .offset:         56
        .size:           8
        .value_kind:     by_value
      - .address_space:  global
        .offset:         64
        .size:           8
        .value_kind:     global_buffer
      - .offset:         72
        .size:           8
        .value_kind:     by_value
      - .offset:         80
        .size:           4
        .value_kind:     by_value
      - .offset:         88
        .size:           8
        .value_kind:     by_value
      - .offset:         96
        .size:           16
        .value_kind:     by_value
      - .offset:         112
        .size:           8
        .value_kind:     by_value
      - .address_space:  global
        .offset:         120
        .size:           8
        .value_kind:     global_buffer
      - .offset:         128
        .size:           4
        .value_kind:     by_value
      - .offset:         136
        .size:           4
        .value_kind:     hidden_block_count_x
      - .offset:         140
        .size:           4
        .value_kind:     hidden_block_count_y
      - .offset:         144
        .size:           4
        .value_kind:     hidden_block_count_z
      - .offset:         148
        .size:           2
        .value_kind:     hidden_group_size_x
      - .offset:         150
        .size:           2
        .value_kind:     hidden_group_size_y
      - .offset:         152
        .size:           2
        .value_kind:     hidden_group_size_z
      - .offset:         154
        .size:           2
        .value_kind:     hidden_remainder_x
      - .offset:         156
        .size:           2
        .value_kind:     hidden_remainder_y
      - .offset:         158
        .size:           2
        .value_kind:     hidden_remainder_z
      - .offset:         176
        .size:           8
        .value_kind:     hidden_global_offset_x
      - .offset:         184
        .size:           8
        .value_kind:     hidden_global_offset_y
      - .offset:         192
        .size:           8
        .value_kind:     hidden_global_offset_z
      - .offset:         200
        .size:           2
        .value_kind:     hidden_grid_dims
    .group_segment_fixed_size: 19200
    .kernarg_segment_align: 8
    .kernarg_segment_size: 392
    .language:       OpenCL C
    .language_version:
      - 2
      - 0
    .max_flat_workgroup_size: 256
    .name:           _ZL26rocblas_hemvn_kernel_upperILb0ELi64ELi4ELi33ELi32ELi16Ei19rocblas_complex_numIdEPKS1_PS1_EviT6_lT7_lT5_lS6_lS7_lS5_lT8_i
    .private_segment_fixed_size: 0
    .sgpr_count:     48
    .sgpr_spill_count: 0
    .symbol:         _ZL26rocblas_hemvn_kernel_upperILb0ELi64ELi4ELi33ELi32ELi16Ei19rocblas_complex_numIdEPKS1_PS1_EviT6_lT7_lT5_lS6_lS7_lS5_lT8_i.kd
    .uniform_work_group_size: 1
    .uses_dynamic_stack: false
    .vgpr_count:     240
    .vgpr_spill_count: 0
    .wavefront_size: 64
  - .agpr_count:     0
    .args:
      - .offset:         0
        .size:           4
        .value_kind:     by_value
      - .address_space:  global
        .offset:         8
        .size:           8
        .value_kind:     global_buffer
      - .offset:         16
        .size:           8
        .value_kind:     by_value
      - .address_space:  global
        .offset:         24
        .size:           8
        .value_kind:     global_buffer
      - .offset:         32
        .size:           8
        .value_kind:     by_value
      - .offset:         40
        .size:           8
        .value_kind:     by_value
      - .offset:         48
        .size:           8
        .value_kind:     by_value
      - .address_space:  global
        .offset:         56
        .size:           8
        .value_kind:     global_buffer
      - .offset:         64
        .size:           8
        .value_kind:     by_value
      - .offset:         72
        .size:           8
        .value_kind:     by_value
      - .offset:         80
        .size:           8
        .value_kind:     by_value
      - .address_space:  global
        .offset:         88
        .size:           8
        .value_kind:     global_buffer
      - .offset:         96
        .size:           8
        .value_kind:     by_value
      - .address_space:  global
        .offset:         104
        .size:           8
        .value_kind:     global_buffer
      - .offset:         112
        .size:           4
        .value_kind:     by_value
      - .offset:         120
        .size:           4
        .value_kind:     hidden_block_count_x
      - .offset:         124
        .size:           4
        .value_kind:     hidden_block_count_y
      - .offset:         128
        .size:           4
        .value_kind:     hidden_block_count_z
      - .offset:         132
        .size:           2
        .value_kind:     hidden_group_size_x
      - .offset:         134
        .size:           2
        .value_kind:     hidden_group_size_y
      - .offset:         136
        .size:           2
        .value_kind:     hidden_group_size_z
      - .offset:         138
        .size:           2
        .value_kind:     hidden_remainder_x
      - .offset:         140
        .size:           2
        .value_kind:     hidden_remainder_y
      - .offset:         142
        .size:           2
        .value_kind:     hidden_remainder_z
      - .offset:         160
        .size:           8
        .value_kind:     hidden_global_offset_x
      - .offset:         168
        .size:           8
        .value_kind:     hidden_global_offset_y
      - .offset:         176
        .size:           8
        .value_kind:     hidden_global_offset_z
      - .offset:         184
        .size:           2
        .value_kind:     hidden_grid_dims
    .group_segment_fixed_size: 19200
    .kernarg_segment_align: 8
    .kernarg_segment_size: 376
    .language:       OpenCL C
    .language_version:
      - 2
      - 0
    .max_flat_workgroup_size: 256
    .name:           _ZL26rocblas_hemvn_kernel_lowerILb0ELi64ELi4ELi33ELi32ELi16ElPK19rocblas_complex_numIdES3_PS1_EviT6_lT7_lT5_lS6_lS7_lS5_lT8_i
    .private_segment_fixed_size: 0
    .sgpr_count:     48
    .sgpr_spill_count: 0
    .symbol:         _ZL26rocblas_hemvn_kernel_lowerILb0ELi64ELi4ELi33ELi32ELi16ElPK19rocblas_complex_numIdES3_PS1_EviT6_lT7_lT5_lS6_lS7_lS5_lT8_i.kd
    .uniform_work_group_size: 1
    .uses_dynamic_stack: false
    .vgpr_count:     190
    .vgpr_spill_count: 0
    .wavefront_size: 64
  - .agpr_count:     0
    .args:
      - .offset:         0
        .size:           4
        .value_kind:     by_value
      - .address_space:  global
        .offset:         8
        .size:           8
        .value_kind:     global_buffer
      - .offset:         16
        .size:           8
        .value_kind:     by_value
      - .address_space:  global
        .offset:         24
        .size:           8
        .value_kind:     global_buffer
      - .offset:         32
        .size:           8
        .value_kind:     by_value
      - .offset:         40
        .size:           4
        .value_kind:     by_value
      - .offset:         48
        .size:           8
        .value_kind:     by_value
      - .address_space:  global
        .offset:         56
        .size:           8
        .value_kind:     global_buffer
      - .offset:         64
        .size:           8
        .value_kind:     by_value
      - .offset:         72
        .size:           4
        .value_kind:     by_value
      - .offset:         80
        .size:           8
        .value_kind:     by_value
      - .address_space:  global
        .offset:         88
        .size:           8
        .value_kind:     global_buffer
      - .offset:         96
        .size:           8
        .value_kind:     by_value
      - .address_space:  global
        .offset:         104
        .size:           8
        .value_kind:     global_buffer
      - .offset:         112
        .size:           4
        .value_kind:     by_value
      - .offset:         120
        .size:           4
        .value_kind:     hidden_block_count_x
      - .offset:         124
        .size:           4
        .value_kind:     hidden_block_count_y
      - .offset:         128
        .size:           4
        .value_kind:     hidden_block_count_z
      - .offset:         132
        .size:           2
        .value_kind:     hidden_group_size_x
      - .offset:         134
        .size:           2
        .value_kind:     hidden_group_size_y
      - .offset:         136
        .size:           2
        .value_kind:     hidden_group_size_z
      - .offset:         138
        .size:           2
        .value_kind:     hidden_remainder_x
      - .offset:         140
        .size:           2
        .value_kind:     hidden_remainder_y
      - .offset:         142
        .size:           2
        .value_kind:     hidden_remainder_z
      - .offset:         160
        .size:           8
        .value_kind:     hidden_global_offset_x
      - .offset:         168
        .size:           8
        .value_kind:     hidden_global_offset_y
      - .offset:         176
        .size:           8
        .value_kind:     hidden_global_offset_z
      - .offset:         184
        .size:           2
        .value_kind:     hidden_grid_dims
    .group_segment_fixed_size: 19200
    .kernarg_segment_align: 8
    .kernarg_segment_size: 376
    .language:       OpenCL C
    .language_version:
      - 2
      - 0
    .max_flat_workgroup_size: 256
    .name:           _ZL26rocblas_hemvn_kernel_lowerILb0ELi64ELi4ELi33ELi32ELi16EiPK19rocblas_complex_numIdES3_PS1_EviT6_lT7_lT5_lS6_lS7_lS5_lT8_i
    .private_segment_fixed_size: 0
    .sgpr_count:     50
    .sgpr_spill_count: 0
    .symbol:         _ZL26rocblas_hemvn_kernel_lowerILb0ELi64ELi4ELi33ELi32ELi16EiPK19rocblas_complex_numIdES3_PS1_EviT6_lT7_lT5_lS6_lS7_lS5_lT8_i.kd
    .uniform_work_group_size: 1
    .uses_dynamic_stack: false
    .vgpr_count:     188
    .vgpr_spill_count: 0
    .wavefront_size: 64
  - .agpr_count:     0
    .args:
      - .offset:         0
        .size:           4
        .value_kind:     by_value
      - .offset:         8
        .size:           16
        .value_kind:     by_value
      - .offset:         24
        .size:           8
        .value_kind:     by_value
      - .address_space:  global
        .offset:         32
        .size:           8
        .value_kind:     global_buffer
      - .offset:         40
        .size:           8
        .value_kind:     by_value
      - .offset:         48
        .size:           8
        .value_kind:     by_value
      - .offset:         56
        .size:           8
        .value_kind:     by_value
      - .address_space:  global
        .offset:         64
        .size:           8
        .value_kind:     global_buffer
      - .offset:         72
        .size:           8
        .value_kind:     by_value
      - .offset:         80
        .size:           8
        .value_kind:     by_value
      - .offset:         88
        .size:           8
        .value_kind:     by_value
      - .offset:         96
        .size:           16
        .value_kind:     by_value
      - .offset:         112
        .size:           8
        .value_kind:     by_value
      - .address_space:  global
        .offset:         120
        .size:           8
        .value_kind:     global_buffer
      - .offset:         128
        .size:           4
        .value_kind:     by_value
      - .offset:         136
        .size:           4
        .value_kind:     hidden_block_count_x
      - .offset:         140
        .size:           4
        .value_kind:     hidden_block_count_y
      - .offset:         144
        .size:           4
        .value_kind:     hidden_block_count_z
      - .offset:         148
        .size:           2
        .value_kind:     hidden_group_size_x
      - .offset:         150
        .size:           2
        .value_kind:     hidden_group_size_y
      - .offset:         152
        .size:           2
        .value_kind:     hidden_group_size_z
      - .offset:         154
        .size:           2
        .value_kind:     hidden_remainder_x
      - .offset:         156
        .size:           2
        .value_kind:     hidden_remainder_y
      - .offset:         158
        .size:           2
        .value_kind:     hidden_remainder_z
      - .offset:         176
        .size:           8
        .value_kind:     hidden_global_offset_x
      - .offset:         184
        .size:           8
        .value_kind:     hidden_global_offset_y
      - .offset:         192
        .size:           8
        .value_kind:     hidden_global_offset_z
      - .offset:         200
        .size:           2
        .value_kind:     hidden_grid_dims
    .group_segment_fixed_size: 19200
    .kernarg_segment_align: 8
    .kernarg_segment_size: 392
    .language:       OpenCL C
    .language_version:
      - 2
      - 0
    .max_flat_workgroup_size: 256
    .name:           _ZL26rocblas_hemvn_kernel_lowerILb0ELi64ELi4ELi33ELi32ELi16El19rocblas_complex_numIdEPKS1_PS1_EviT6_lT7_lT5_lS6_lS7_lS5_lT8_i
    .private_segment_fixed_size: 0
    .sgpr_count:     57
    .sgpr_spill_count: 0
    .symbol:         _ZL26rocblas_hemvn_kernel_lowerILb0ELi64ELi4ELi33ELi32ELi16El19rocblas_complex_numIdEPKS1_PS1_EviT6_lT7_lT5_lS6_lS7_lS5_lT8_i.kd
    .uniform_work_group_size: 1
    .uses_dynamic_stack: false
    .vgpr_count:     190
    .vgpr_spill_count: 0
    .wavefront_size: 64
  - .agpr_count:     0
    .args:
      - .offset:         0
        .size:           4
        .value_kind:     by_value
      - .offset:         8
        .size:           16
        .value_kind:     by_value
      - .offset:         24
        .size:           8
        .value_kind:     by_value
      - .address_space:  global
        .offset:         32
        .size:           8
        .value_kind:     global_buffer
      - .offset:         40
        .size:           8
        .value_kind:     by_value
      - .offset:         48
        .size:           4
        .value_kind:     by_value
      - .offset:         56
        .size:           8
        .value_kind:     by_value
      - .address_space:  global
        .offset:         64
        .size:           8
        .value_kind:     global_buffer
      - .offset:         72
        .size:           8
        .value_kind:     by_value
      - .offset:         80
        .size:           4
        .value_kind:     by_value
      - .offset:         88
        .size:           8
        .value_kind:     by_value
      - .offset:         96
        .size:           16
        .value_kind:     by_value
      - .offset:         112
        .size:           8
        .value_kind:     by_value
      - .address_space:  global
        .offset:         120
        .size:           8
        .value_kind:     global_buffer
      - .offset:         128
        .size:           4
        .value_kind:     by_value
      - .offset:         136
        .size:           4
        .value_kind:     hidden_block_count_x
      - .offset:         140
        .size:           4
        .value_kind:     hidden_block_count_y
      - .offset:         144
        .size:           4
        .value_kind:     hidden_block_count_z
      - .offset:         148
        .size:           2
        .value_kind:     hidden_group_size_x
      - .offset:         150
        .size:           2
        .value_kind:     hidden_group_size_y
      - .offset:         152
        .size:           2
        .value_kind:     hidden_group_size_z
      - .offset:         154
        .size:           2
        .value_kind:     hidden_remainder_x
      - .offset:         156
        .size:           2
        .value_kind:     hidden_remainder_y
      - .offset:         158
        .size:           2
        .value_kind:     hidden_remainder_z
      - .offset:         176
        .size:           8
        .value_kind:     hidden_global_offset_x
      - .offset:         184
        .size:           8
        .value_kind:     hidden_global_offset_y
      - .offset:         192
        .size:           8
        .value_kind:     hidden_global_offset_z
      - .offset:         200
        .size:           2
        .value_kind:     hidden_grid_dims
    .group_segment_fixed_size: 19200
    .kernarg_segment_align: 8
    .kernarg_segment_size: 392
    .language:       OpenCL C
    .language_version:
      - 2
      - 0
    .max_flat_workgroup_size: 256
    .name:           _ZL26rocblas_hemvn_kernel_lowerILb0ELi64ELi4ELi33ELi32ELi16Ei19rocblas_complex_numIdEPKS1_PS1_EviT6_lT7_lT5_lS6_lS7_lS5_lT8_i
    .private_segment_fixed_size: 0
    .sgpr_count:     50
    .sgpr_spill_count: 0
    .symbol:         _ZL26rocblas_hemvn_kernel_lowerILb0ELi64ELi4ELi33ELi32ELi16Ei19rocblas_complex_numIdEPKS1_PS1_EviT6_lT7_lT5_lS6_lS7_lS5_lT8_i.kd
    .uniform_work_group_size: 1
    .uses_dynamic_stack: false
    .vgpr_count:     188
    .vgpr_spill_count: 0
    .wavefront_size: 64
  - .agpr_count:     0
    .args:
      - .offset:         0
        .size:           1
        .value_kind:     by_value
      - .offset:         4
        .size:           4
        .value_kind:     by_value
      - .offset:         8
        .size:           8
        .value_kind:     by_value
      - .offset:         16
        .size:           8
        .value_kind:     by_value
      - .address_space:  global
        .offset:         24
        .size:           8
        .value_kind:     global_buffer
      - .offset:         32
        .size:           8
        .value_kind:     by_value
      - .offset:         40
        .size:           8
        .value_kind:     by_value
      - .offset:         48
        .size:           8
        .value_kind:     by_value
      - .address_space:  global
        .offset:         56
        .size:           8
        .value_kind:     global_buffer
      - .offset:         64
        .size:           8
        .value_kind:     by_value
      - .offset:         72
        .size:           8
        .value_kind:     by_value
      - .offset:         80
        .size:           8
        .value_kind:     by_value
      - .offset:         88
        .size:           8
        .value_kind:     by_value
      - .offset:         96
        .size:           8
        .value_kind:     by_value
      - .actual_access:  read_only
        .address_space:  global
        .offset:         104
        .size:           8
        .value_kind:     global_buffer
      - .offset:         112
        .size:           8
        .value_kind:     by_value
      - .offset:         120
        .size:           8
        .value_kind:     by_value
      - .offset:         128
        .size:           8
        .value_kind:     by_value
      - .offset:         136
        .size:           4
        .value_kind:     by_value
    .group_segment_fixed_size: 5248
    .kernarg_segment_align: 8
    .kernarg_segment_size: 140
    .language:       OpenCL C
    .language_version:
      - 2
      - 0
    .max_flat_workgroup_size: 128
    .name:           _ZL50rocblas_symv_kernel_upper_double_buffered_diagonalILi32ELi4E24rocblas_internal_val_ptrIfEPKPKfPKPfEvbiT1_lT2_lllSA_lllS9_lT3_llli
    .private_segment_fixed_size: 0
    .sgpr_count:     33
    .sgpr_spill_count: 0
    .symbol:         _ZL50rocblas_symv_kernel_upper_double_buffered_diagonalILi32ELi4E24rocblas_internal_val_ptrIfEPKPKfPKPfEvbiT1_lT2_lllSA_lllS9_lT3_llli.kd
    .uniform_work_group_size: 1
    .uses_dynamic_stack: false
    .vgpr_count:     18
    .vgpr_spill_count: 0
    .wavefront_size: 64
  - .agpr_count:     0
    .args:
      - .offset:         0
        .size:           1
        .value_kind:     by_value
      - .offset:         4
        .size:           4
        .value_kind:     by_value
      - .offset:         8
        .size:           8
        .value_kind:     by_value
      - .offset:         16
        .size:           8
        .value_kind:     by_value
      - .address_space:  global
        .offset:         24
        .size:           8
        .value_kind:     global_buffer
      - .offset:         32
        .size:           8
        .value_kind:     by_value
      - .offset:         40
        .size:           8
        .value_kind:     by_value
      - .offset:         48
        .size:           8
        .value_kind:     by_value
      - .address_space:  global
        .offset:         56
        .size:           8
        .value_kind:     global_buffer
      - .offset:         64
        .size:           8
        .value_kind:     by_value
      - .offset:         72
        .size:           8
        .value_kind:     by_value
      - .offset:         80
        .size:           8
        .value_kind:     by_value
      - .actual_access:  read_only
        .address_space:  global
        .offset:         88
        .size:           8
        .value_kind:     global_buffer
      - .offset:         96
        .size:           8
        .value_kind:     by_value
      - .offset:         104
        .size:           8
        .value_kind:     by_value
      - .offset:         112
        .size:           8
        .value_kind:     by_value
      - .offset:         120
        .size:           4
        .value_kind:     by_value
      - .offset:         128
        .size:           4
        .value_kind:     hidden_block_count_x
      - .offset:         132
        .size:           4
        .value_kind:     hidden_block_count_y
      - .offset:         136
        .size:           4
        .value_kind:     hidden_block_count_z
      - .offset:         140
        .size:           2
        .value_kind:     hidden_group_size_x
      - .offset:         142
        .size:           2
        .value_kind:     hidden_group_size_y
      - .offset:         144
        .size:           2
        .value_kind:     hidden_group_size_z
      - .offset:         146
        .size:           2
        .value_kind:     hidden_remainder_x
      - .offset:         148
        .size:           2
        .value_kind:     hidden_remainder_y
      - .offset:         150
        .size:           2
        .value_kind:     hidden_remainder_z
      - .offset:         168
        .size:           8
        .value_kind:     hidden_global_offset_x
      - .offset:         176
        .size:           8
        .value_kind:     hidden_global_offset_y
      - .offset:         184
        .size:           8
        .value_kind:     hidden_global_offset_z
      - .offset:         192
        .size:           2
        .value_kind:     hidden_grid_dims
    .group_segment_fixed_size: 3200
    .kernarg_segment_align: 8
    .kernarg_segment_size: 384
    .language:       OpenCL C
    .language_version:
      - 2
      - 0
    .max_flat_workgroup_size: 128
    .name:           _ZL54rocblas_symv_kernel_upper_double_buffered_non_diagonalILi32ELi4ELi4E24rocblas_internal_val_ptrIfEPKPKfPKPfEvbiT2_lT3_lllSA_lllT4_llli
    .private_segment_fixed_size: 0
    .sgpr_count:     34
    .sgpr_spill_count: 0
    .symbol:         _ZL54rocblas_symv_kernel_upper_double_buffered_non_diagonalILi32ELi4ELi4E24rocblas_internal_val_ptrIfEPKPKfPKPfEvbiT2_lT3_lllSA_lllT4_llli.kd
    .uniform_work_group_size: 1
    .uses_dynamic_stack: false
    .vgpr_count:     49
    .vgpr_spill_count: 0
    .wavefront_size: 64
  - .agpr_count:     0
    .args:
      - .offset:         0
        .size:           1
        .value_kind:     by_value
      - .offset:         4
        .size:           4
        .value_kind:     by_value
      - .offset:         8
        .size:           8
        .value_kind:     by_value
      - .offset:         16
        .size:           8
        .value_kind:     by_value
      - .address_space:  global
        .offset:         24
        .size:           8
        .value_kind:     global_buffer
      - .offset:         32
        .size:           8
        .value_kind:     by_value
      - .offset:         40
        .size:           8
        .value_kind:     by_value
      - .offset:         48
        .size:           8
        .value_kind:     by_value
      - .address_space:  global
        .offset:         56
        .size:           8
        .value_kind:     global_buffer
      - .offset:         64
        .size:           8
        .value_kind:     by_value
      - .offset:         72
        .size:           8
        .value_kind:     by_value
      - .offset:         80
        .size:           8
        .value_kind:     by_value
      - .offset:         88
        .size:           8
        .value_kind:     by_value
      - .offset:         96
        .size:           8
        .value_kind:     by_value
      - .actual_access:  read_only
        .address_space:  global
        .offset:         104
        .size:           8
        .value_kind:     global_buffer
      - .offset:         112
        .size:           8
        .value_kind:     by_value
      - .offset:         120
        .size:           8
        .value_kind:     by_value
      - .offset:         128
        .size:           8
        .value_kind:     by_value
      - .offset:         136
        .size:           4
        .value_kind:     by_value
      - .offset:         140
        .size:           4
        .value_kind:     by_value
      - .offset:         144
        .size:           4
        .value_kind:     hidden_block_count_x
      - .offset:         148
        .size:           4
        .value_kind:     hidden_block_count_y
      - .offset:         152
        .size:           4
        .value_kind:     hidden_block_count_z
      - .offset:         156
        .size:           2
        .value_kind:     hidden_group_size_x
      - .offset:         158
        .size:           2
        .value_kind:     hidden_group_size_y
      - .offset:         160
        .size:           2
        .value_kind:     hidden_group_size_z
      - .offset:         162
        .size:           2
        .value_kind:     hidden_remainder_x
      - .offset:         164
        .size:           2
        .value_kind:     hidden_remainder_y
      - .offset:         166
        .size:           2
        .value_kind:     hidden_remainder_z
      - .offset:         184
        .size:           8
        .value_kind:     hidden_global_offset_x
      - .offset:         192
        .size:           8
        .value_kind:     hidden_global_offset_y
      - .offset:         200
        .size:           8
        .value_kind:     hidden_global_offset_z
      - .offset:         208
        .size:           2
        .value_kind:     hidden_grid_dims
    .group_segment_fixed_size: 6272
    .kernarg_segment_align: 8
    .kernarg_segment_size: 400
    .language:       OpenCL C
    .language_version:
      - 2
      - 0
    .max_flat_workgroup_size: 256
    .name:           _ZL58rocblas_symv_kernel_upper_double_buffered_diagonal_genericILi32ELi8E24rocblas_internal_val_ptrIfEPKPKfPKPfEvbiT1_lT2_lllSA_lllS9_lT3_lllii
    .private_segment_fixed_size: 0
    .sgpr_count:     40
    .sgpr_spill_count: 0
    .symbol:         _ZL58rocblas_symv_kernel_upper_double_buffered_diagonal_genericILi32ELi8E24rocblas_internal_val_ptrIfEPKPKfPKPfEvbiT1_lT2_lllSA_lllS9_lT3_lllii.kd
    .uniform_work_group_size: 1
    .uses_dynamic_stack: false
    .vgpr_count:     18
    .vgpr_spill_count: 0
    .wavefront_size: 64
  - .agpr_count:     0
    .args:
      - .offset:         0
        .size:           1
        .value_kind:     by_value
      - .offset:         4
        .size:           4
        .value_kind:     by_value
      - .offset:         8
        .size:           8
        .value_kind:     by_value
      - .offset:         16
        .size:           8
        .value_kind:     by_value
      - .address_space:  global
        .offset:         24
        .size:           8
        .value_kind:     global_buffer
      - .offset:         32
        .size:           8
        .value_kind:     by_value
      - .offset:         40
        .size:           8
        .value_kind:     by_value
      - .offset:         48
        .size:           8
        .value_kind:     by_value
      - .address_space:  global
        .offset:         56
        .size:           8
        .value_kind:     global_buffer
      - .offset:         64
        .size:           8
        .value_kind:     by_value
      - .offset:         72
        .size:           8
        .value_kind:     by_value
      - .offset:         80
        .size:           8
        .value_kind:     by_value
      - .actual_access:  read_only
        .address_space:  global
        .offset:         88
        .size:           8
        .value_kind:     global_buffer
      - .offset:         96
        .size:           8
        .value_kind:     by_value
      - .offset:         104
        .size:           8
        .value_kind:     by_value
      - .offset:         112
        .size:           8
        .value_kind:     by_value
      - .offset:         120
        .size:           4
        .value_kind:     by_value
      - .offset:         124
        .size:           4
        .value_kind:     by_value
      - .offset:         128
        .size:           4
        .value_kind:     hidden_block_count_x
      - .offset:         132
        .size:           4
        .value_kind:     hidden_block_count_y
      - .offset:         136
        .size:           4
        .value_kind:     hidden_block_count_z
      - .offset:         140
        .size:           2
        .value_kind:     hidden_group_size_x
      - .offset:         142
        .size:           2
        .value_kind:     hidden_group_size_y
      - .offset:         144
        .size:           2
        .value_kind:     hidden_group_size_z
      - .offset:         146
        .size:           2
        .value_kind:     hidden_remainder_x
      - .offset:         148
        .size:           2
        .value_kind:     hidden_remainder_y
      - .offset:         150
        .size:           2
        .value_kind:     hidden_remainder_z
      - .offset:         168
        .size:           8
        .value_kind:     hidden_global_offset_x
      - .offset:         176
        .size:           8
        .value_kind:     hidden_global_offset_y
      - .offset:         184
        .size:           8
        .value_kind:     hidden_global_offset_z
      - .offset:         192
        .size:           2
        .value_kind:     hidden_grid_dims
    .group_segment_fixed_size: 4224
    .kernarg_segment_align: 8
    .kernarg_segment_size: 384
    .language:       OpenCL C
    .language_version:
      - 2
      - 0
    .max_flat_workgroup_size: 256
    .name:           _ZL62rocblas_symv_kernel_upper_double_buffered_non_diagonal_genericILi32ELi8ELi2ELi0E24rocblas_internal_val_ptrIfEPKPKfPKPfEvbiT3_lT4_lllSA_lllT5_lllii
    .private_segment_fixed_size: 0
    .sgpr_count:     40
    .sgpr_spill_count: 0
    .symbol:         _ZL62rocblas_symv_kernel_upper_double_buffered_non_diagonal_genericILi32ELi8ELi2ELi0E24rocblas_internal_val_ptrIfEPKPKfPKPfEvbiT3_lT4_lllSA_lllT5_lllii.kd
    .uniform_work_group_size: 1
    .uses_dynamic_stack: false
    .vgpr_count:     41
    .vgpr_spill_count: 0
    .wavefront_size: 64
  - .agpr_count:     0
    .args:
      - .offset:         0
        .size:           1
        .value_kind:     by_value
      - .offset:         4
        .size:           4
        .value_kind:     by_value
      - .offset:         8
        .size:           8
        .value_kind:     by_value
      - .offset:         16
        .size:           8
        .value_kind:     by_value
      - .address_space:  global
        .offset:         24
        .size:           8
        .value_kind:     global_buffer
      - .offset:         32
        .size:           8
        .value_kind:     by_value
      - .offset:         40
        .size:           8
        .value_kind:     by_value
      - .offset:         48
        .size:           8
        .value_kind:     by_value
      - .address_space:  global
        .offset:         56
        .size:           8
        .value_kind:     global_buffer
      - .offset:         64
        .size:           8
        .value_kind:     by_value
      - .offset:         72
        .size:           8
        .value_kind:     by_value
      - .offset:         80
        .size:           8
        .value_kind:     by_value
      - .actual_access:  read_only
        .address_space:  global
        .offset:         88
        .size:           8
        .value_kind:     global_buffer
      - .offset:         96
        .size:           8
        .value_kind:     by_value
      - .offset:         104
        .size:           8
        .value_kind:     by_value
      - .offset:         112
        .size:           8
        .value_kind:     by_value
      - .offset:         120
        .size:           4
        .value_kind:     by_value
      - .offset:         124
        .size:           4
        .value_kind:     by_value
      - .offset:         128
        .size:           4
        .value_kind:     hidden_block_count_x
      - .offset:         132
        .size:           4
        .value_kind:     hidden_block_count_y
      - .offset:         136
        .size:           4
        .value_kind:     hidden_block_count_z
      - .offset:         140
        .size:           2
        .value_kind:     hidden_group_size_x
      - .offset:         142
        .size:           2
        .value_kind:     hidden_group_size_y
      - .offset:         144
        .size:           2
        .value_kind:     hidden_group_size_z
      - .offset:         146
        .size:           2
        .value_kind:     hidden_remainder_x
      - .offset:         148
        .size:           2
        .value_kind:     hidden_remainder_y
      - .offset:         150
        .size:           2
        .value_kind:     hidden_remainder_z
      - .offset:         168
        .size:           8
        .value_kind:     hidden_global_offset_x
      - .offset:         176
        .size:           8
        .value_kind:     hidden_global_offset_y
      - .offset:         184
        .size:           8
        .value_kind:     hidden_global_offset_z
      - .offset:         192
        .size:           2
        .value_kind:     hidden_grid_dims
    .group_segment_fixed_size: 4224
    .kernarg_segment_align: 8
    .kernarg_segment_size: 384
    .language:       OpenCL C
    .language_version:
      - 2
      - 0
    .max_flat_workgroup_size: 256
    .name:           _ZL62rocblas_symv_kernel_upper_double_buffered_non_diagonal_genericILi32ELi8ELi2ELi1E24rocblas_internal_val_ptrIfEPKPKfPKPfEvbiT3_lT4_lllSA_lllT5_lllii
    .private_segment_fixed_size: 0
    .sgpr_count:     40
    .sgpr_spill_count: 0
    .symbol:         _ZL62rocblas_symv_kernel_upper_double_buffered_non_diagonal_genericILi32ELi8ELi2ELi1E24rocblas_internal_val_ptrIfEPKPKfPKPfEvbiT3_lT4_lllSA_lllT5_lllii.kd
    .uniform_work_group_size: 1
    .uses_dynamic_stack: false
    .vgpr_count:     39
    .vgpr_spill_count: 0
    .wavefront_size: 64
  - .agpr_count:     0
    .args:
      - .offset:         0
        .size:           4
        .value_kind:     by_value
      - .address_space:  global
        .offset:         8
        .size:           8
        .value_kind:     global_buffer
      - .offset:         16
        .size:           8
        .value_kind:     by_value
      - .address_space:  global
        .offset:         24
        .size:           8
        .value_kind:     global_buffer
      - .offset:         32
        .size:           8
        .value_kind:     by_value
      - .offset:         40
        .size:           8
        .value_kind:     by_value
      - .offset:         48
        .size:           8
        .value_kind:     by_value
      - .address_space:  global
        .offset:         56
        .size:           8
        .value_kind:     global_buffer
      - .offset:         64
        .size:           8
        .value_kind:     by_value
      - .offset:         72
        .size:           8
        .value_kind:     by_value
      - .offset:         80
        .size:           8
        .value_kind:     by_value
      - .address_space:  global
        .offset:         88
        .size:           8
        .value_kind:     global_buffer
      - .offset:         96
        .size:           8
        .value_kind:     by_value
      - .address_space:  global
        .offset:         104
        .size:           8
        .value_kind:     global_buffer
      - .offset:         112
        .size:           4
        .value_kind:     by_value
      - .offset:         120
        .size:           4
        .value_kind:     hidden_block_count_x
      - .offset:         124
        .size:           4
        .value_kind:     hidden_block_count_y
      - .offset:         128
        .size:           4
        .value_kind:     hidden_block_count_z
      - .offset:         132
        .size:           2
        .value_kind:     hidden_group_size_x
      - .offset:         134
        .size:           2
        .value_kind:     hidden_group_size_y
      - .offset:         136
        .size:           2
        .value_kind:     hidden_group_size_z
      - .offset:         138
        .size:           2
        .value_kind:     hidden_remainder_x
      - .offset:         140
        .size:           2
        .value_kind:     hidden_remainder_y
      - .offset:         142
        .size:           2
        .value_kind:     hidden_remainder_z
      - .offset:         160
        .size:           8
        .value_kind:     hidden_global_offset_x
      - .offset:         168
        .size:           8
        .value_kind:     hidden_global_offset_y
      - .offset:         176
        .size:           8
        .value_kind:     hidden_global_offset_z
      - .offset:         184
        .size:           2
        .value_kind:     hidden_grid_dims
    .group_segment_fixed_size: 4800
    .kernarg_segment_align: 8
    .kernarg_segment_size: 376
    .language:       OpenCL C
    .language_version:
      - 2
      - 0
    .max_flat_workgroup_size: 256
    .name:           _ZL26rocblas_hemvn_kernel_upperILb0ELi64ELi4ELi33ELi32ELi16ElPKfPKS1_PfEviT6_lT7_lT5_lS6_lS7_lS5_lT8_i
    .private_segment_fixed_size: 0
    .sgpr_count:     48
    .sgpr_spill_count: 0
    .symbol:         _ZL26rocblas_hemvn_kernel_upperILb0ELi64ELi4ELi33ELi32ELi16ElPKfPKS1_PfEviT6_lT7_lT5_lS6_lS7_lS5_lT8_i.kd
    .uniform_work_group_size: 1
    .uses_dynamic_stack: false
    .vgpr_count:     110
    .vgpr_spill_count: 0
    .wavefront_size: 64
  - .agpr_count:     0
    .args:
      - .offset:         0
        .size:           4
        .value_kind:     by_value
      - .address_space:  global
        .offset:         8
        .size:           8
        .value_kind:     global_buffer
      - .offset:         16
        .size:           8
        .value_kind:     by_value
      - .address_space:  global
        .offset:         24
        .size:           8
        .value_kind:     global_buffer
      - .offset:         32
        .size:           8
        .value_kind:     by_value
      - .actual_access:  read_only
        .address_space:  global
        .offset:         40
        .size:           8
        .value_kind:     global_buffer
      - .offset:         48
        .size:           8
        .value_kind:     by_value
      - .offset:         56
        .size:           8
        .value_kind:     by_value
      - .offset:         64
        .size:           8
        .value_kind:     by_value
      - .address_space:  global
        .offset:         72
        .size:           8
        .value_kind:     global_buffer
      - .offset:         80
        .size:           4
        .value_kind:     by_value
      - .offset:         88
        .size:           4
        .value_kind:     hidden_block_count_x
      - .offset:         92
        .size:           4
        .value_kind:     hidden_block_count_y
      - .offset:         96
        .size:           4
        .value_kind:     hidden_block_count_z
      - .offset:         100
        .size:           2
        .value_kind:     hidden_group_size_x
      - .offset:         102
        .size:           2
        .value_kind:     hidden_group_size_y
      - .offset:         104
        .size:           2
        .value_kind:     hidden_group_size_z
      - .offset:         106
        .size:           2
        .value_kind:     hidden_remainder_x
      - .offset:         108
        .size:           2
        .value_kind:     hidden_remainder_y
      - .offset:         110
        .size:           2
        .value_kind:     hidden_remainder_z
      - .offset:         128
        .size:           8
        .value_kind:     hidden_global_offset_x
      - .offset:         136
        .size:           8
        .value_kind:     hidden_global_offset_y
      - .offset:         144
        .size:           8
        .value_kind:     hidden_global_offset_z
      - .offset:         152
        .size:           2
        .value_kind:     hidden_grid_dims
    .group_segment_fixed_size: 0
    .kernarg_segment_align: 8
    .kernarg_segment_size: 344
    .language:       OpenCL C
    .language_version:
      - 2
      - 0
    .max_flat_workgroup_size: 64
    .name:           _ZL36rocblas_hemvn_kernel_upper_block_sumILi64ElPKfPKPffEviT1_lS5_lT2_lT0_lPT3_i
    .private_segment_fixed_size: 0
    .sgpr_count:     24
    .sgpr_spill_count: 0
    .symbol:         _ZL36rocblas_hemvn_kernel_upper_block_sumILi64ElPKfPKPffEviT1_lS5_lT2_lT0_lPT3_i.kd
    .uniform_work_group_size: 1
    .uses_dynamic_stack: false
    .vgpr_count:     7
    .vgpr_spill_count: 0
    .wavefront_size: 64
  - .agpr_count:     0
    .args:
      - .offset:         0
        .size:           4
        .value_kind:     by_value
      - .address_space:  global
        .offset:         8
        .size:           8
        .value_kind:     global_buffer
      - .offset:         16
        .size:           8
        .value_kind:     by_value
      - .address_space:  global
        .offset:         24
        .size:           8
        .value_kind:     global_buffer
      - .offset:         32
        .size:           8
        .value_kind:     by_value
      - .offset:         40
        .size:           4
        .value_kind:     by_value
      - .offset:         48
        .size:           8
        .value_kind:     by_value
      - .address_space:  global
        .offset:         56
        .size:           8
        .value_kind:     global_buffer
      - .offset:         64
        .size:           8
        .value_kind:     by_value
      - .offset:         72
        .size:           4
        .value_kind:     by_value
      - .offset:         80
        .size:           8
        .value_kind:     by_value
      - .address_space:  global
        .offset:         88
        .size:           8
        .value_kind:     global_buffer
      - .offset:         96
        .size:           8
        .value_kind:     by_value
      - .address_space:  global
        .offset:         104
        .size:           8
        .value_kind:     global_buffer
      - .offset:         112
        .size:           4
        .value_kind:     by_value
      - .offset:         120
        .size:           4
        .value_kind:     hidden_block_count_x
      - .offset:         124
        .size:           4
        .value_kind:     hidden_block_count_y
      - .offset:         128
        .size:           4
        .value_kind:     hidden_block_count_z
      - .offset:         132
        .size:           2
        .value_kind:     hidden_group_size_x
      - .offset:         134
        .size:           2
        .value_kind:     hidden_group_size_y
      - .offset:         136
        .size:           2
        .value_kind:     hidden_group_size_z
      - .offset:         138
        .size:           2
        .value_kind:     hidden_remainder_x
      - .offset:         140
        .size:           2
        .value_kind:     hidden_remainder_y
      - .offset:         142
        .size:           2
        .value_kind:     hidden_remainder_z
      - .offset:         160
        .size:           8
        .value_kind:     hidden_global_offset_x
      - .offset:         168
        .size:           8
        .value_kind:     hidden_global_offset_y
      - .offset:         176
        .size:           8
        .value_kind:     hidden_global_offset_z
      - .offset:         184
        .size:           2
        .value_kind:     hidden_grid_dims
    .group_segment_fixed_size: 4800
    .kernarg_segment_align: 8
    .kernarg_segment_size: 376
    .language:       OpenCL C
    .language_version:
      - 2
      - 0
    .max_flat_workgroup_size: 256
    .name:           _ZL26rocblas_hemvn_kernel_upperILb0ELi64ELi4ELi33ELi32ELi16EiPKfPKS1_PfEviT6_lT7_lT5_lS6_lS7_lS5_lT8_i
    .private_segment_fixed_size: 0
    .sgpr_count:     55
    .sgpr_spill_count: 0
    .symbol:         _ZL26rocblas_hemvn_kernel_upperILb0ELi64ELi4ELi33ELi32ELi16EiPKfPKS1_PfEviT6_lT7_lT5_lS6_lS7_lS5_lT8_i.kd
    .uniform_work_group_size: 1
    .uses_dynamic_stack: false
    .vgpr_count:     130
    .vgpr_spill_count: 0
    .wavefront_size: 64
  - .agpr_count:     0
    .args:
      - .offset:         0
        .size:           4
        .value_kind:     by_value
      - .address_space:  global
        .offset:         8
        .size:           8
        .value_kind:     global_buffer
      - .offset:         16
        .size:           8
        .value_kind:     by_value
      - .address_space:  global
        .offset:         24
        .size:           8
        .value_kind:     global_buffer
      - .offset:         32
        .size:           8
        .value_kind:     by_value
      - .actual_access:  read_only
        .address_space:  global
        .offset:         40
        .size:           8
        .value_kind:     global_buffer
      - .offset:         48
        .size:           8
        .value_kind:     by_value
      - .offset:         56
        .size:           4
        .value_kind:     by_value
      - .offset:         64
        .size:           8
        .value_kind:     by_value
      - .address_space:  global
        .offset:         72
        .size:           8
        .value_kind:     global_buffer
      - .offset:         80
        .size:           4
        .value_kind:     by_value
      - .offset:         88
        .size:           4
        .value_kind:     hidden_block_count_x
      - .offset:         92
        .size:           4
        .value_kind:     hidden_block_count_y
      - .offset:         96
        .size:           4
        .value_kind:     hidden_block_count_z
      - .offset:         100
        .size:           2
        .value_kind:     hidden_group_size_x
      - .offset:         102
        .size:           2
        .value_kind:     hidden_group_size_y
      - .offset:         104
        .size:           2
        .value_kind:     hidden_group_size_z
      - .offset:         106
        .size:           2
        .value_kind:     hidden_remainder_x
      - .offset:         108
        .size:           2
        .value_kind:     hidden_remainder_y
      - .offset:         110
        .size:           2
        .value_kind:     hidden_remainder_z
      - .offset:         128
        .size:           8
        .value_kind:     hidden_global_offset_x
      - .offset:         136
        .size:           8
        .value_kind:     hidden_global_offset_y
      - .offset:         144
        .size:           8
        .value_kind:     hidden_global_offset_z
      - .offset:         152
        .size:           2
        .value_kind:     hidden_grid_dims
    .group_segment_fixed_size: 0
    .kernarg_segment_align: 8
    .kernarg_segment_size: 344
    .language:       OpenCL C
    .language_version:
      - 2
      - 0
    .max_flat_workgroup_size: 64
    .name:           _ZL36rocblas_hemvn_kernel_upper_block_sumILi64EiPKfPKPffEviT1_lS5_lT2_lT0_lPT3_i
    .private_segment_fixed_size: 0
    .sgpr_count:     24
    .sgpr_spill_count: 0
    .symbol:         _ZL36rocblas_hemvn_kernel_upper_block_sumILi64EiPKfPKPffEviT1_lS5_lT2_lT0_lPT3_i.kd
    .uniform_work_group_size: 1
    .uses_dynamic_stack: false
    .vgpr_count:     6
    .vgpr_spill_count: 0
    .wavefront_size: 64
  - .agpr_count:     0
    .args:
      - .offset:         0
        .size:           4
        .value_kind:     by_value
      - .offset:         4
        .size:           4
        .value_kind:     by_value
      - .offset:         8
        .size:           8
        .value_kind:     by_value
      - .address_space:  global
        .offset:         16
        .size:           8
        .value_kind:     global_buffer
      - .offset:         24
        .size:           8
        .value_kind:     by_value
      - .offset:         32
        .size:           8
        .value_kind:     by_value
      - .offset:         40
        .size:           8
        .value_kind:     by_value
      - .address_space:  global
        .offset:         48
        .size:           8
        .value_kind:     global_buffer
      - .offset:         56
        .size:           8
        .value_kind:     by_value
      - .offset:         64
        .size:           8
        .value_kind:     by_value
      - .offset:         72
        .size:           8
        .value_kind:     by_value
      - .offset:         80
        .size:           4
        .value_kind:     by_value
      - .offset:         88
        .size:           8
        .value_kind:     by_value
      - .address_space:  global
        .offset:         96
        .size:           8
        .value_kind:     global_buffer
      - .offset:         104
        .size:           4
        .value_kind:     by_value
      - .offset:         112
        .size:           4
        .value_kind:     hidden_block_count_x
      - .offset:         116
        .size:           4
        .value_kind:     hidden_block_count_y
      - .offset:         120
        .size:           4
        .value_kind:     hidden_block_count_z
      - .offset:         124
        .size:           2
        .value_kind:     hidden_group_size_x
      - .offset:         126
        .size:           2
        .value_kind:     hidden_group_size_y
      - .offset:         128
        .size:           2
        .value_kind:     hidden_group_size_z
      - .offset:         130
        .size:           2
        .value_kind:     hidden_remainder_x
      - .offset:         132
        .size:           2
        .value_kind:     hidden_remainder_y
      - .offset:         134
        .size:           2
        .value_kind:     hidden_remainder_z
      - .offset:         152
        .size:           8
        .value_kind:     hidden_global_offset_x
      - .offset:         160
        .size:           8
        .value_kind:     hidden_global_offset_y
      - .offset:         168
        .size:           8
        .value_kind:     hidden_global_offset_z
      - .offset:         176
        .size:           2
        .value_kind:     hidden_grid_dims
    .group_segment_fixed_size: 4800
    .kernarg_segment_align: 8
    .kernarg_segment_size: 368
    .language:       OpenCL C
    .language_version:
      - 2
      - 0
    .max_flat_workgroup_size: 256
    .name:           _ZL26rocblas_hemvn_kernel_upperILb0ELi64ELi4ELi33ELi32ELi16ElfPKPKfPfEviT6_lT7_lT5_lS6_lS7_lS5_lT8_i
    .private_segment_fixed_size: 0
    .sgpr_count:     48
    .sgpr_spill_count: 0
    .symbol:         _ZL26rocblas_hemvn_kernel_upperILb0ELi64ELi4ELi33ELi32ELi16ElfPKPKfPfEviT6_lT7_lT5_lS6_lS7_lS5_lT8_i.kd
    .uniform_work_group_size: 1
    .uses_dynamic_stack: false
    .vgpr_count:     110
    .vgpr_spill_count: 0
    .wavefront_size: 64
  - .agpr_count:     0
    .args:
      - .offset:         0
        .size:           4
        .value_kind:     by_value
      - .offset:         4
        .size:           4
        .value_kind:     by_value
      - .offset:         8
        .size:           8
        .value_kind:     by_value
      - .offset:         16
        .size:           4
        .value_kind:     by_value
      - .offset:         24
        .size:           8
        .value_kind:     by_value
      - .actual_access:  read_only
        .address_space:  global
        .offset:         32
        .size:           8
        .value_kind:     global_buffer
      - .offset:         40
        .size:           8
        .value_kind:     by_value
      - .offset:         48
        .size:           8
        .value_kind:     by_value
      - .offset:         56
        .size:           8
        .value_kind:     by_value
      - .address_space:  global
        .offset:         64
        .size:           8
        .value_kind:     global_buffer
      - .offset:         72
        .size:           4
        .value_kind:     by_value
      - .offset:         80
        .size:           4
        .value_kind:     hidden_block_count_x
      - .offset:         84
        .size:           4
        .value_kind:     hidden_block_count_y
      - .offset:         88
        .size:           4
        .value_kind:     hidden_block_count_z
      - .offset:         92
        .size:           2
        .value_kind:     hidden_group_size_x
      - .offset:         94
        .size:           2
        .value_kind:     hidden_group_size_y
      - .offset:         96
        .size:           2
        .value_kind:     hidden_group_size_z
      - .offset:         98
        .size:           2
        .value_kind:     hidden_remainder_x
      - .offset:         100
        .size:           2
        .value_kind:     hidden_remainder_y
      - .offset:         102
        .size:           2
        .value_kind:     hidden_remainder_z
      - .offset:         120
        .size:           8
        .value_kind:     hidden_global_offset_x
      - .offset:         128
        .size:           8
        .value_kind:     hidden_global_offset_y
      - .offset:         136
        .size:           8
        .value_kind:     hidden_global_offset_z
      - .offset:         144
        .size:           2
        .value_kind:     hidden_grid_dims
    .group_segment_fixed_size: 0
    .kernarg_segment_align: 8
    .kernarg_segment_size: 336
    .language:       OpenCL C
    .language_version:
      - 2
      - 0
    .max_flat_workgroup_size: 64
    .name:           _ZL36rocblas_hemvn_kernel_upper_block_sumILi64ElfPKPffEviT1_lS3_lT2_lT0_lPT3_i
    .private_segment_fixed_size: 0
    .sgpr_count:     24
    .sgpr_spill_count: 0
    .symbol:         _ZL36rocblas_hemvn_kernel_upper_block_sumILi64ElfPKPffEviT1_lS3_lT2_lT0_lPT3_i.kd
    .uniform_work_group_size: 1
    .uses_dynamic_stack: false
    .vgpr_count:     7
    .vgpr_spill_count: 0
    .wavefront_size: 64
  - .agpr_count:     0
    .args:
      - .offset:         0
        .size:           4
        .value_kind:     by_value
      - .offset:         4
        .size:           4
        .value_kind:     by_value
      - .offset:         8
        .size:           8
        .value_kind:     by_value
      - .address_space:  global
        .offset:         16
        .size:           8
        .value_kind:     global_buffer
      - .offset:         24
        .size:           8
        .value_kind:     by_value
      - .offset:         32
        .size:           4
        .value_kind:     by_value
      - .offset:         40
        .size:           8
        .value_kind:     by_value
      - .address_space:  global
        .offset:         48
        .size:           8
        .value_kind:     global_buffer
      - .offset:         56
        .size:           8
        .value_kind:     by_value
      - .offset:         64
        .size:           4
        .value_kind:     by_value
      - .offset:         72
        .size:           8
        .value_kind:     by_value
      - .offset:         80
        .size:           4
        .value_kind:     by_value
      - .offset:         88
        .size:           8
        .value_kind:     by_value
      - .address_space:  global
        .offset:         96
        .size:           8
        .value_kind:     global_buffer
      - .offset:         104
        .size:           4
        .value_kind:     by_value
      - .offset:         112
        .size:           4
        .value_kind:     hidden_block_count_x
      - .offset:         116
        .size:           4
        .value_kind:     hidden_block_count_y
      - .offset:         120
        .size:           4
        .value_kind:     hidden_block_count_z
      - .offset:         124
        .size:           2
        .value_kind:     hidden_group_size_x
      - .offset:         126
        .size:           2
        .value_kind:     hidden_group_size_y
      - .offset:         128
        .size:           2
        .value_kind:     hidden_group_size_z
      - .offset:         130
        .size:           2
        .value_kind:     hidden_remainder_x
      - .offset:         132
        .size:           2
        .value_kind:     hidden_remainder_y
      - .offset:         134
        .size:           2
        .value_kind:     hidden_remainder_z
      - .offset:         152
        .size:           8
        .value_kind:     hidden_global_offset_x
      - .offset:         160
        .size:           8
        .value_kind:     hidden_global_offset_y
      - .offset:         168
        .size:           8
        .value_kind:     hidden_global_offset_z
      - .offset:         176
        .size:           2
        .value_kind:     hidden_grid_dims
    .group_segment_fixed_size: 4800
    .kernarg_segment_align: 8
    .kernarg_segment_size: 368
    .language:       OpenCL C
    .language_version:
      - 2
      - 0
    .max_flat_workgroup_size: 256
    .name:           _ZL26rocblas_hemvn_kernel_upperILb0ELi64ELi4ELi33ELi32ELi16EifPKPKfPfEviT6_lT7_lT5_lS6_lS7_lS5_lT8_i
    .private_segment_fixed_size: 0
    .sgpr_count:     55
    .sgpr_spill_count: 0
    .symbol:         _ZL26rocblas_hemvn_kernel_upperILb0ELi64ELi4ELi33ELi32ELi16EifPKPKfPfEviT6_lT7_lT5_lS6_lS7_lS5_lT8_i.kd
    .uniform_work_group_size: 1
    .uses_dynamic_stack: false
    .vgpr_count:     130
    .vgpr_spill_count: 0
    .wavefront_size: 64
  - .agpr_count:     0
    .args:
      - .offset:         0
        .size:           4
        .value_kind:     by_value
      - .offset:         4
        .size:           4
        .value_kind:     by_value
      - .offset:         8
        .size:           8
        .value_kind:     by_value
      - .offset:         16
        .size:           4
        .value_kind:     by_value
      - .offset:         24
        .size:           8
        .value_kind:     by_value
      - .actual_access:  read_only
        .address_space:  global
        .offset:         32
        .size:           8
        .value_kind:     global_buffer
      - .offset:         40
        .size:           8
        .value_kind:     by_value
      - .offset:         48
        .size:           4
        .value_kind:     by_value
      - .offset:         56
        .size:           8
        .value_kind:     by_value
      - .address_space:  global
        .offset:         64
        .size:           8
        .value_kind:     global_buffer
      - .offset:         72
        .size:           4
        .value_kind:     by_value
      - .offset:         80
        .size:           4
        .value_kind:     hidden_block_count_x
      - .offset:         84
        .size:           4
        .value_kind:     hidden_block_count_y
      - .offset:         88
        .size:           4
        .value_kind:     hidden_block_count_z
      - .offset:         92
        .size:           2
        .value_kind:     hidden_group_size_x
      - .offset:         94
        .size:           2
        .value_kind:     hidden_group_size_y
      - .offset:         96
        .size:           2
        .value_kind:     hidden_group_size_z
      - .offset:         98
        .size:           2
        .value_kind:     hidden_remainder_x
      - .offset:         100
        .size:           2
        .value_kind:     hidden_remainder_y
      - .offset:         102
        .size:           2
        .value_kind:     hidden_remainder_z
      - .offset:         120
        .size:           8
        .value_kind:     hidden_global_offset_x
      - .offset:         128
        .size:           8
        .value_kind:     hidden_global_offset_y
      - .offset:         136
        .size:           8
        .value_kind:     hidden_global_offset_z
      - .offset:         144
        .size:           2
        .value_kind:     hidden_grid_dims
    .group_segment_fixed_size: 0
    .kernarg_segment_align: 8
    .kernarg_segment_size: 336
    .language:       OpenCL C
    .language_version:
      - 2
      - 0
    .max_flat_workgroup_size: 64
    .name:           _ZL36rocblas_hemvn_kernel_upper_block_sumILi64EifPKPffEviT1_lS3_lT2_lT0_lPT3_i
    .private_segment_fixed_size: 0
    .sgpr_count:     23
    .sgpr_spill_count: 0
    .symbol:         _ZL36rocblas_hemvn_kernel_upper_block_sumILi64EifPKPffEviT1_lS3_lT2_lT0_lPT3_i.kd
    .uniform_work_group_size: 1
    .uses_dynamic_stack: false
    .vgpr_count:     6
    .vgpr_spill_count: 0
    .wavefront_size: 64
  - .agpr_count:     0
    .args:
      - .offset:         0
        .size:           1
        .value_kind:     by_value
      - .offset:         4
        .size:           4
        .value_kind:     by_value
      - .offset:         8
        .size:           8
        .value_kind:     by_value
      - .offset:         16
        .size:           8
        .value_kind:     by_value
      - .address_space:  global
        .offset:         24
        .size:           8
        .value_kind:     global_buffer
      - .offset:         32
        .size:           8
        .value_kind:     by_value
      - .offset:         40
        .size:           8
        .value_kind:     by_value
      - .offset:         48
        .size:           8
        .value_kind:     by_value
      - .address_space:  global
        .offset:         56
        .size:           8
        .value_kind:     global_buffer
      - .offset:         64
        .size:           8
        .value_kind:     by_value
      - .offset:         72
        .size:           8
        .value_kind:     by_value
      - .offset:         80
        .size:           8
        .value_kind:     by_value
      - .offset:         88
        .size:           8
        .value_kind:     by_value
      - .offset:         96
        .size:           8
        .value_kind:     by_value
      - .actual_access:  read_only
        .address_space:  global
        .offset:         104
        .size:           8
        .value_kind:     global_buffer
      - .offset:         112
        .size:           8
        .value_kind:     by_value
      - .offset:         120
        .size:           8
        .value_kind:     by_value
      - .offset:         128
        .size:           8
        .value_kind:     by_value
      - .offset:         136
        .size:           4
        .value_kind:     by_value
    .group_segment_fixed_size: 5248
    .kernarg_segment_align: 8
    .kernarg_segment_size: 140
    .language:       OpenCL C
    .language_version:
      - 2
      - 0
    .max_flat_workgroup_size: 128
    .name:           _ZL50rocblas_symv_kernel_lower_double_buffered_diagonalILi32ELi4E24rocblas_internal_val_ptrIfEPKPKfPKPfEvbiT1_lT2_lllSA_lllS9_lT3_llli
    .private_segment_fixed_size: 0
    .sgpr_count:     33
    .sgpr_spill_count: 0
    .symbol:         _ZL50rocblas_symv_kernel_lower_double_buffered_diagonalILi32ELi4E24rocblas_internal_val_ptrIfEPKPKfPKPfEvbiT1_lT2_lllSA_lllS9_lT3_llli.kd
    .uniform_work_group_size: 1
    .uses_dynamic_stack: false
    .vgpr_count:     22
    .vgpr_spill_count: 0
    .wavefront_size: 64
  - .agpr_count:     0
    .args:
      - .offset:         0
        .size:           1
        .value_kind:     by_value
      - .offset:         4
        .size:           4
        .value_kind:     by_value
      - .offset:         8
        .size:           8
        .value_kind:     by_value
      - .offset:         16
        .size:           8
        .value_kind:     by_value
      - .address_space:  global
        .offset:         24
        .size:           8
        .value_kind:     global_buffer
      - .offset:         32
        .size:           8
        .value_kind:     by_value
      - .offset:         40
        .size:           8
        .value_kind:     by_value
      - .offset:         48
        .size:           8
        .value_kind:     by_value
      - .address_space:  global
        .offset:         56
        .size:           8
        .value_kind:     global_buffer
      - .offset:         64
        .size:           8
        .value_kind:     by_value
      - .offset:         72
        .size:           8
        .value_kind:     by_value
      - .offset:         80
        .size:           8
        .value_kind:     by_value
      - .actual_access:  read_only
        .address_space:  global
        .offset:         88
        .size:           8
        .value_kind:     global_buffer
      - .offset:         96
        .size:           8
        .value_kind:     by_value
      - .offset:         104
        .size:           8
        .value_kind:     by_value
      - .offset:         112
        .size:           8
        .value_kind:     by_value
      - .offset:         120
        .size:           4
        .value_kind:     by_value
      - .offset:         128
        .size:           4
        .value_kind:     hidden_block_count_x
      - .offset:         132
        .size:           4
        .value_kind:     hidden_block_count_y
      - .offset:         136
        .size:           4
        .value_kind:     hidden_block_count_z
      - .offset:         140
        .size:           2
        .value_kind:     hidden_group_size_x
      - .offset:         142
        .size:           2
        .value_kind:     hidden_group_size_y
      - .offset:         144
        .size:           2
        .value_kind:     hidden_group_size_z
      - .offset:         146
        .size:           2
        .value_kind:     hidden_remainder_x
      - .offset:         148
        .size:           2
        .value_kind:     hidden_remainder_y
      - .offset:         150
        .size:           2
        .value_kind:     hidden_remainder_z
      - .offset:         168
        .size:           8
        .value_kind:     hidden_global_offset_x
      - .offset:         176
        .size:           8
        .value_kind:     hidden_global_offset_y
      - .offset:         184
        .size:           8
        .value_kind:     hidden_global_offset_z
      - .offset:         192
        .size:           2
        .value_kind:     hidden_grid_dims
    .group_segment_fixed_size: 3200
    .kernarg_segment_align: 8
    .kernarg_segment_size: 384
    .language:       OpenCL C
    .language_version:
      - 2
      - 0
    .max_flat_workgroup_size: 128
    .name:           _ZL54rocblas_symv_kernel_lower_double_buffered_non_diagonalILi32ELi4ELi4E24rocblas_internal_val_ptrIfEPKPKfPKPfEvbiT2_lT3_lllSA_lllT4_llli
    .private_segment_fixed_size: 0
    .sgpr_count:     32
    .sgpr_spill_count: 0
    .symbol:         _ZL54rocblas_symv_kernel_lower_double_buffered_non_diagonalILi32ELi4ELi4E24rocblas_internal_val_ptrIfEPKPKfPKPfEvbiT2_lT3_lllSA_lllT4_llli.kd
    .uniform_work_group_size: 1
    .uses_dynamic_stack: false
    .vgpr_count:     48
    .vgpr_spill_count: 0
    .wavefront_size: 64
  - .agpr_count:     0
    .args:
      - .offset:         0
        .size:           1
        .value_kind:     by_value
      - .offset:         4
        .size:           4
        .value_kind:     by_value
      - .offset:         8
        .size:           8
        .value_kind:     by_value
      - .offset:         16
        .size:           8
        .value_kind:     by_value
      - .address_space:  global
        .offset:         24
        .size:           8
        .value_kind:     global_buffer
      - .offset:         32
        .size:           8
        .value_kind:     by_value
      - .offset:         40
        .size:           8
        .value_kind:     by_value
      - .offset:         48
        .size:           8
        .value_kind:     by_value
      - .address_space:  global
        .offset:         56
        .size:           8
        .value_kind:     global_buffer
      - .offset:         64
        .size:           8
        .value_kind:     by_value
      - .offset:         72
        .size:           8
        .value_kind:     by_value
      - .offset:         80
        .size:           8
        .value_kind:     by_value
      - .offset:         88
        .size:           8
        .value_kind:     by_value
      - .offset:         96
        .size:           8
        .value_kind:     by_value
      - .actual_access:  read_only
        .address_space:  global
        .offset:         104
        .size:           8
        .value_kind:     global_buffer
      - .offset:         112
        .size:           8
        .value_kind:     by_value
      - .offset:         120
        .size:           8
        .value_kind:     by_value
      - .offset:         128
        .size:           8
        .value_kind:     by_value
      - .offset:         136
        .size:           4
        .value_kind:     by_value
      - .offset:         140
        .size:           4
        .value_kind:     by_value
      - .offset:         144
        .size:           4
        .value_kind:     hidden_block_count_x
      - .offset:         148
        .size:           4
        .value_kind:     hidden_block_count_y
      - .offset:         152
        .size:           4
        .value_kind:     hidden_block_count_z
      - .offset:         156
        .size:           2
        .value_kind:     hidden_group_size_x
      - .offset:         158
        .size:           2
        .value_kind:     hidden_group_size_y
      - .offset:         160
        .size:           2
        .value_kind:     hidden_group_size_z
      - .offset:         162
        .size:           2
        .value_kind:     hidden_remainder_x
      - .offset:         164
        .size:           2
        .value_kind:     hidden_remainder_y
      - .offset:         166
        .size:           2
        .value_kind:     hidden_remainder_z
      - .offset:         184
        .size:           8
        .value_kind:     hidden_global_offset_x
      - .offset:         192
        .size:           8
        .value_kind:     hidden_global_offset_y
      - .offset:         200
        .size:           8
        .value_kind:     hidden_global_offset_z
      - .offset:         208
        .size:           2
        .value_kind:     hidden_grid_dims
    .group_segment_fixed_size: 5248
    .kernarg_segment_align: 8
    .kernarg_segment_size: 400
    .language:       OpenCL C
    .language_version:
      - 2
      - 0
    .max_flat_workgroup_size: 128
    .name:           _ZL58rocblas_symv_kernel_lower_double_buffered_diagonal_genericILi32ELi4E24rocblas_internal_val_ptrIfEPKPKfPKPfEvbiT1_lT2_lllSA_lllS9_lT3_lllii
    .private_segment_fixed_size: 0
    .sgpr_count:     40
    .sgpr_spill_count: 0
    .symbol:         _ZL58rocblas_symv_kernel_lower_double_buffered_diagonal_genericILi32ELi4E24rocblas_internal_val_ptrIfEPKPKfPKPfEvbiT1_lT2_lllSA_lllS9_lT3_lllii.kd
    .uniform_work_group_size: 1
    .uses_dynamic_stack: false
    .vgpr_count:     19
    .vgpr_spill_count: 0
    .wavefront_size: 64
  - .agpr_count:     0
    .args:
      - .offset:         0
        .size:           1
        .value_kind:     by_value
      - .offset:         4
        .size:           4
        .value_kind:     by_value
      - .offset:         8
        .size:           8
        .value_kind:     by_value
      - .offset:         16
        .size:           8
        .value_kind:     by_value
      - .address_space:  global
        .offset:         24
        .size:           8
        .value_kind:     global_buffer
      - .offset:         32
        .size:           8
        .value_kind:     by_value
      - .offset:         40
        .size:           8
        .value_kind:     by_value
      - .offset:         48
        .size:           8
        .value_kind:     by_value
      - .address_space:  global
        .offset:         56
        .size:           8
        .value_kind:     global_buffer
      - .offset:         64
        .size:           8
        .value_kind:     by_value
      - .offset:         72
        .size:           8
        .value_kind:     by_value
      - .offset:         80
        .size:           8
        .value_kind:     by_value
      - .actual_access:  read_only
        .address_space:  global
        .offset:         88
        .size:           8
        .value_kind:     global_buffer
      - .offset:         96
        .size:           8
        .value_kind:     by_value
      - .offset:         104
        .size:           8
        .value_kind:     by_value
      - .offset:         112
        .size:           8
        .value_kind:     by_value
      - .offset:         120
        .size:           4
        .value_kind:     by_value
      - .offset:         124
        .size:           4
        .value_kind:     by_value
      - .offset:         128
        .size:           4
        .value_kind:     hidden_block_count_x
      - .offset:         132
        .size:           4
        .value_kind:     hidden_block_count_y
      - .offset:         136
        .size:           4
        .value_kind:     hidden_block_count_z
      - .offset:         140
        .size:           2
        .value_kind:     hidden_group_size_x
      - .offset:         142
        .size:           2
        .value_kind:     hidden_group_size_y
      - .offset:         144
        .size:           2
        .value_kind:     hidden_group_size_z
      - .offset:         146
        .size:           2
        .value_kind:     hidden_remainder_x
      - .offset:         148
        .size:           2
        .value_kind:     hidden_remainder_y
      - .offset:         150
        .size:           2
        .value_kind:     hidden_remainder_z
      - .offset:         168
        .size:           8
        .value_kind:     hidden_global_offset_x
      - .offset:         176
        .size:           8
        .value_kind:     hidden_global_offset_y
      - .offset:         184
        .size:           8
        .value_kind:     hidden_global_offset_z
      - .offset:         192
        .size:           2
        .value_kind:     hidden_grid_dims
    .group_segment_fixed_size: 3200
    .kernarg_segment_align: 8
    .kernarg_segment_size: 384
    .language:       OpenCL C
    .language_version:
      - 2
      - 0
    .max_flat_workgroup_size: 128
    .name:           _ZL62rocblas_symv_kernel_lower_double_buffered_non_diagonal_genericILi32ELi4ELi4E24rocblas_internal_val_ptrIfEPKPKfPKPfEvbiT2_lT3_lllSA_lllT4_lllii
    .private_segment_fixed_size: 0
    .sgpr_count:     41
    .sgpr_spill_count: 0
    .symbol:         _ZL62rocblas_symv_kernel_lower_double_buffered_non_diagonal_genericILi32ELi4ELi4E24rocblas_internal_val_ptrIfEPKPKfPKPfEvbiT2_lT3_lllSA_lllT4_lllii.kd
    .uniform_work_group_size: 1
    .uses_dynamic_stack: false
    .vgpr_count:     52
    .vgpr_spill_count: 0
    .wavefront_size: 64
  - .agpr_count:     0
    .args:
      - .offset:         0
        .size:           4
        .value_kind:     by_value
      - .address_space:  global
        .offset:         8
        .size:           8
        .value_kind:     global_buffer
      - .offset:         16
        .size:           8
        .value_kind:     by_value
      - .address_space:  global
        .offset:         24
        .size:           8
        .value_kind:     global_buffer
      - .offset:         32
        .size:           8
        .value_kind:     by_value
      - .offset:         40
        .size:           8
        .value_kind:     by_value
      - .offset:         48
        .size:           8
        .value_kind:     by_value
      - .address_space:  global
        .offset:         56
        .size:           8
        .value_kind:     global_buffer
      - .offset:         64
        .size:           8
        .value_kind:     by_value
      - .offset:         72
        .size:           8
        .value_kind:     by_value
      - .offset:         80
        .size:           8
        .value_kind:     by_value
      - .address_space:  global
        .offset:         88
        .size:           8
        .value_kind:     global_buffer
      - .offset:         96
        .size:           8
        .value_kind:     by_value
      - .address_space:  global
        .offset:         104
        .size:           8
        .value_kind:     global_buffer
      - .offset:         112
        .size:           4
        .value_kind:     by_value
      - .offset:         120
        .size:           4
        .value_kind:     hidden_block_count_x
      - .offset:         124
        .size:           4
        .value_kind:     hidden_block_count_y
      - .offset:         128
        .size:           4
        .value_kind:     hidden_block_count_z
      - .offset:         132
        .size:           2
        .value_kind:     hidden_group_size_x
      - .offset:         134
        .size:           2
        .value_kind:     hidden_group_size_y
      - .offset:         136
        .size:           2
        .value_kind:     hidden_group_size_z
      - .offset:         138
        .size:           2
        .value_kind:     hidden_remainder_x
      - .offset:         140
        .size:           2
        .value_kind:     hidden_remainder_y
      - .offset:         142
        .size:           2
        .value_kind:     hidden_remainder_z
      - .offset:         160
        .size:           8
        .value_kind:     hidden_global_offset_x
      - .offset:         168
        .size:           8
        .value_kind:     hidden_global_offset_y
      - .offset:         176
        .size:           8
        .value_kind:     hidden_global_offset_z
      - .offset:         184
        .size:           2
        .value_kind:     hidden_grid_dims
    .group_segment_fixed_size: 4800
    .kernarg_segment_align: 8
    .kernarg_segment_size: 376
    .language:       OpenCL C
    .language_version:
      - 2
      - 0
    .max_flat_workgroup_size: 256
    .name:           _ZL26rocblas_hemvn_kernel_lowerILb0ELi64ELi4ELi33ELi32ELi16ElPKfPKS1_PfEviT6_lT7_lT5_lS6_lS7_lS5_lT8_i
    .private_segment_fixed_size: 0
    .sgpr_count:     52
    .sgpr_spill_count: 0
    .symbol:         _ZL26rocblas_hemvn_kernel_lowerILb0ELi64ELi4ELi33ELi32ELi16ElPKfPKS1_PfEviT6_lT7_lT5_lS6_lS7_lS5_lT8_i.kd
    .uniform_work_group_size: 1
    .uses_dynamic_stack: false
    .vgpr_count:     84
    .vgpr_spill_count: 0
    .wavefront_size: 64
  - .agpr_count:     0
    .args:
      - .offset:         0
        .size:           4
        .value_kind:     by_value
      - .address_space:  global
        .offset:         8
        .size:           8
        .value_kind:     global_buffer
      - .offset:         16
        .size:           8
        .value_kind:     by_value
      - .address_space:  global
        .offset:         24
        .size:           8
        .value_kind:     global_buffer
      - .offset:         32
        .size:           8
        .value_kind:     by_value
      - .actual_access:  read_only
        .address_space:  global
        .offset:         40
        .size:           8
        .value_kind:     global_buffer
      - .offset:         48
        .size:           8
        .value_kind:     by_value
      - .offset:         56
        .size:           8
        .value_kind:     by_value
      - .offset:         64
        .size:           8
        .value_kind:     by_value
      - .actual_access:  read_only
        .address_space:  global
        .offset:         72
        .size:           8
        .value_kind:     global_buffer
      - .offset:         80
        .size:           4
        .value_kind:     by_value
      - .offset:         88
        .size:           4
        .value_kind:     hidden_block_count_x
      - .offset:         92
        .size:           4
        .value_kind:     hidden_block_count_y
      - .offset:         96
        .size:           4
        .value_kind:     hidden_block_count_z
      - .offset:         100
        .size:           2
        .value_kind:     hidden_group_size_x
      - .offset:         102
        .size:           2
        .value_kind:     hidden_group_size_y
      - .offset:         104
        .size:           2
        .value_kind:     hidden_group_size_z
      - .offset:         106
        .size:           2
        .value_kind:     hidden_remainder_x
      - .offset:         108
        .size:           2
        .value_kind:     hidden_remainder_y
      - .offset:         110
        .size:           2
        .value_kind:     hidden_remainder_z
      - .offset:         128
        .size:           8
        .value_kind:     hidden_global_offset_x
      - .offset:         136
        .size:           8
        .value_kind:     hidden_global_offset_y
      - .offset:         144
        .size:           8
        .value_kind:     hidden_global_offset_z
      - .offset:         152
        .size:           2
        .value_kind:     hidden_grid_dims
    .group_segment_fixed_size: 0
    .kernarg_segment_align: 8
    .kernarg_segment_size: 344
    .language:       OpenCL C
    .language_version:
      - 2
      - 0
    .max_flat_workgroup_size: 64
    .name:           _ZL36rocblas_hemvn_kernel_lower_block_sumILi64ElPKfPKPffEviT1_lS5_lT2_lT0_lPT3_i
    .private_segment_fixed_size: 0
    .sgpr_count:     24
    .sgpr_spill_count: 0
    .symbol:         _ZL36rocblas_hemvn_kernel_lower_block_sumILi64ElPKfPKPffEviT1_lS5_lT2_lT0_lPT3_i.kd
    .uniform_work_group_size: 1
    .uses_dynamic_stack: false
    .vgpr_count:     7
    .vgpr_spill_count: 0
    .wavefront_size: 64
  - .agpr_count:     0
    .args:
      - .offset:         0
        .size:           4
        .value_kind:     by_value
      - .address_space:  global
        .offset:         8
        .size:           8
        .value_kind:     global_buffer
      - .offset:         16
        .size:           8
        .value_kind:     by_value
      - .address_space:  global
        .offset:         24
        .size:           8
        .value_kind:     global_buffer
      - .offset:         32
        .size:           8
        .value_kind:     by_value
      - .offset:         40
        .size:           4
        .value_kind:     by_value
      - .offset:         48
        .size:           8
        .value_kind:     by_value
      - .address_space:  global
        .offset:         56
        .size:           8
        .value_kind:     global_buffer
      - .offset:         64
        .size:           8
        .value_kind:     by_value
      - .offset:         72
        .size:           4
        .value_kind:     by_value
      - .offset:         80
        .size:           8
        .value_kind:     by_value
      - .address_space:  global
        .offset:         88
        .size:           8
        .value_kind:     global_buffer
      - .offset:         96
        .size:           8
        .value_kind:     by_value
      - .address_space:  global
        .offset:         104
        .size:           8
        .value_kind:     global_buffer
      - .offset:         112
        .size:           4
        .value_kind:     by_value
      - .offset:         120
        .size:           4
        .value_kind:     hidden_block_count_x
      - .offset:         124
        .size:           4
        .value_kind:     hidden_block_count_y
      - .offset:         128
        .size:           4
        .value_kind:     hidden_block_count_z
      - .offset:         132
        .size:           2
        .value_kind:     hidden_group_size_x
      - .offset:         134
        .size:           2
        .value_kind:     hidden_group_size_y
      - .offset:         136
        .size:           2
        .value_kind:     hidden_group_size_z
      - .offset:         138
        .size:           2
        .value_kind:     hidden_remainder_x
      - .offset:         140
        .size:           2
        .value_kind:     hidden_remainder_y
      - .offset:         142
        .size:           2
        .value_kind:     hidden_remainder_z
      - .offset:         160
        .size:           8
        .value_kind:     hidden_global_offset_x
      - .offset:         168
        .size:           8
        .value_kind:     hidden_global_offset_y
      - .offset:         176
        .size:           8
        .value_kind:     hidden_global_offset_z
      - .offset:         184
        .size:           2
        .value_kind:     hidden_grid_dims
    .group_segment_fixed_size: 4800
    .kernarg_segment_align: 8
    .kernarg_segment_size: 376
    .language:       OpenCL C
    .language_version:
      - 2
      - 0
    .max_flat_workgroup_size: 256
    .name:           _ZL26rocblas_hemvn_kernel_lowerILb0ELi64ELi4ELi33ELi32ELi16EiPKfPKS1_PfEviT6_lT7_lT5_lS6_lS7_lS5_lT8_i
    .private_segment_fixed_size: 0
    .sgpr_count:     50
    .sgpr_spill_count: 0
    .symbol:         _ZL26rocblas_hemvn_kernel_lowerILb0ELi64ELi4ELi33ELi32ELi16EiPKfPKS1_PfEviT6_lT7_lT5_lS6_lS7_lS5_lT8_i.kd
    .uniform_work_group_size: 1
    .uses_dynamic_stack: false
    .vgpr_count:     82
    .vgpr_spill_count: 0
    .wavefront_size: 64
  - .agpr_count:     0
    .args:
      - .offset:         0
        .size:           4
        .value_kind:     by_value
      - .address_space:  global
        .offset:         8
        .size:           8
        .value_kind:     global_buffer
      - .offset:         16
        .size:           8
        .value_kind:     by_value
      - .address_space:  global
        .offset:         24
        .size:           8
        .value_kind:     global_buffer
      - .offset:         32
        .size:           8
        .value_kind:     by_value
      - .actual_access:  read_only
        .address_space:  global
        .offset:         40
        .size:           8
        .value_kind:     global_buffer
      - .offset:         48
        .size:           8
        .value_kind:     by_value
      - .offset:         56
        .size:           4
        .value_kind:     by_value
      - .offset:         64
        .size:           8
        .value_kind:     by_value
      - .actual_access:  read_only
        .address_space:  global
        .offset:         72
        .size:           8
        .value_kind:     global_buffer
      - .offset:         80
        .size:           4
        .value_kind:     by_value
      - .offset:         88
        .size:           4
        .value_kind:     hidden_block_count_x
      - .offset:         92
        .size:           4
        .value_kind:     hidden_block_count_y
      - .offset:         96
        .size:           4
        .value_kind:     hidden_block_count_z
      - .offset:         100
        .size:           2
        .value_kind:     hidden_group_size_x
      - .offset:         102
        .size:           2
        .value_kind:     hidden_group_size_y
      - .offset:         104
        .size:           2
        .value_kind:     hidden_group_size_z
      - .offset:         106
        .size:           2
        .value_kind:     hidden_remainder_x
      - .offset:         108
        .size:           2
        .value_kind:     hidden_remainder_y
      - .offset:         110
        .size:           2
        .value_kind:     hidden_remainder_z
      - .offset:         128
        .size:           8
        .value_kind:     hidden_global_offset_x
      - .offset:         136
        .size:           8
        .value_kind:     hidden_global_offset_y
      - .offset:         144
        .size:           8
        .value_kind:     hidden_global_offset_z
      - .offset:         152
        .size:           2
        .value_kind:     hidden_grid_dims
    .group_segment_fixed_size: 0
    .kernarg_segment_align: 8
    .kernarg_segment_size: 344
    .language:       OpenCL C
    .language_version:
      - 2
      - 0
    .max_flat_workgroup_size: 64
    .name:           _ZL36rocblas_hemvn_kernel_lower_block_sumILi64EiPKfPKPffEviT1_lS5_lT2_lT0_lPT3_i
    .private_segment_fixed_size: 0
    .sgpr_count:     24
    .sgpr_spill_count: 0
    .symbol:         _ZL36rocblas_hemvn_kernel_lower_block_sumILi64EiPKfPKPffEviT1_lS5_lT2_lT0_lPT3_i.kd
    .uniform_work_group_size: 1
    .uses_dynamic_stack: false
    .vgpr_count:     6
    .vgpr_spill_count: 0
    .wavefront_size: 64
  - .agpr_count:     0
    .args:
      - .offset:         0
        .size:           4
        .value_kind:     by_value
      - .offset:         4
        .size:           4
        .value_kind:     by_value
      - .offset:         8
        .size:           8
        .value_kind:     by_value
      - .address_space:  global
        .offset:         16
        .size:           8
        .value_kind:     global_buffer
      - .offset:         24
        .size:           8
        .value_kind:     by_value
      - .offset:         32
        .size:           8
        .value_kind:     by_value
      - .offset:         40
        .size:           8
        .value_kind:     by_value
      - .address_space:  global
        .offset:         48
        .size:           8
        .value_kind:     global_buffer
      - .offset:         56
        .size:           8
        .value_kind:     by_value
      - .offset:         64
        .size:           8
        .value_kind:     by_value
      - .offset:         72
        .size:           8
        .value_kind:     by_value
      - .offset:         80
        .size:           4
        .value_kind:     by_value
      - .offset:         88
        .size:           8
        .value_kind:     by_value
      - .address_space:  global
        .offset:         96
        .size:           8
        .value_kind:     global_buffer
      - .offset:         104
        .size:           4
        .value_kind:     by_value
      - .offset:         112
        .size:           4
        .value_kind:     hidden_block_count_x
      - .offset:         116
        .size:           4
        .value_kind:     hidden_block_count_y
      - .offset:         120
        .size:           4
        .value_kind:     hidden_block_count_z
      - .offset:         124
        .size:           2
        .value_kind:     hidden_group_size_x
      - .offset:         126
        .size:           2
        .value_kind:     hidden_group_size_y
      - .offset:         128
        .size:           2
        .value_kind:     hidden_group_size_z
      - .offset:         130
        .size:           2
        .value_kind:     hidden_remainder_x
      - .offset:         132
        .size:           2
        .value_kind:     hidden_remainder_y
      - .offset:         134
        .size:           2
        .value_kind:     hidden_remainder_z
      - .offset:         152
        .size:           8
        .value_kind:     hidden_global_offset_x
      - .offset:         160
        .size:           8
        .value_kind:     hidden_global_offset_y
      - .offset:         168
        .size:           8
        .value_kind:     hidden_global_offset_z
      - .offset:         176
        .size:           2
        .value_kind:     hidden_grid_dims
    .group_segment_fixed_size: 4800
    .kernarg_segment_align: 8
    .kernarg_segment_size: 368
    .language:       OpenCL C
    .language_version:
      - 2
      - 0
    .max_flat_workgroup_size: 256
    .name:           _ZL26rocblas_hemvn_kernel_lowerILb0ELi64ELi4ELi33ELi32ELi16ElfPKPKfPfEviT6_lT7_lT5_lS6_lS7_lS5_lT8_i
    .private_segment_fixed_size: 0
    .sgpr_count:     54
    .sgpr_spill_count: 0
    .symbol:         _ZL26rocblas_hemvn_kernel_lowerILb0ELi64ELi4ELi33ELi32ELi16ElfPKPKfPfEviT6_lT7_lT5_lS6_lS7_lS5_lT8_i.kd
    .uniform_work_group_size: 1
    .uses_dynamic_stack: false
    .vgpr_count:     84
    .vgpr_spill_count: 0
    .wavefront_size: 64
  - .agpr_count:     0
    .args:
      - .offset:         0
        .size:           4
        .value_kind:     by_value
      - .offset:         4
        .size:           4
        .value_kind:     by_value
      - .offset:         8
        .size:           8
        .value_kind:     by_value
      - .offset:         16
        .size:           4
        .value_kind:     by_value
      - .offset:         24
        .size:           8
        .value_kind:     by_value
      - .actual_access:  read_only
        .address_space:  global
        .offset:         32
        .size:           8
        .value_kind:     global_buffer
      - .offset:         40
        .size:           8
        .value_kind:     by_value
      - .offset:         48
        .size:           8
        .value_kind:     by_value
      - .offset:         56
        .size:           8
        .value_kind:     by_value
      - .actual_access:  read_only
        .address_space:  global
        .offset:         64
        .size:           8
        .value_kind:     global_buffer
      - .offset:         72
        .size:           4
        .value_kind:     by_value
      - .offset:         80
        .size:           4
        .value_kind:     hidden_block_count_x
      - .offset:         84
        .size:           4
        .value_kind:     hidden_block_count_y
      - .offset:         88
        .size:           4
        .value_kind:     hidden_block_count_z
      - .offset:         92
        .size:           2
        .value_kind:     hidden_group_size_x
      - .offset:         94
        .size:           2
        .value_kind:     hidden_group_size_y
      - .offset:         96
        .size:           2
        .value_kind:     hidden_group_size_z
      - .offset:         98
        .size:           2
        .value_kind:     hidden_remainder_x
      - .offset:         100
        .size:           2
        .value_kind:     hidden_remainder_y
      - .offset:         102
        .size:           2
        .value_kind:     hidden_remainder_z
      - .offset:         120
        .size:           8
        .value_kind:     hidden_global_offset_x
      - .offset:         128
        .size:           8
        .value_kind:     hidden_global_offset_y
      - .offset:         136
        .size:           8
        .value_kind:     hidden_global_offset_z
      - .offset:         144
        .size:           2
        .value_kind:     hidden_grid_dims
    .group_segment_fixed_size: 0
    .kernarg_segment_align: 8
    .kernarg_segment_size: 336
    .language:       OpenCL C
    .language_version:
      - 2
      - 0
    .max_flat_workgroup_size: 64
    .name:           _ZL36rocblas_hemvn_kernel_lower_block_sumILi64ElfPKPffEviT1_lS3_lT2_lT0_lPT3_i
    .private_segment_fixed_size: 0
    .sgpr_count:     26
    .sgpr_spill_count: 0
    .symbol:         _ZL36rocblas_hemvn_kernel_lower_block_sumILi64ElfPKPffEviT1_lS3_lT2_lT0_lPT3_i.kd
    .uniform_work_group_size: 1
    .uses_dynamic_stack: false
    .vgpr_count:     7
    .vgpr_spill_count: 0
    .wavefront_size: 64
  - .agpr_count:     0
    .args:
      - .offset:         0
        .size:           4
        .value_kind:     by_value
      - .offset:         4
        .size:           4
        .value_kind:     by_value
      - .offset:         8
        .size:           8
        .value_kind:     by_value
      - .address_space:  global
        .offset:         16
        .size:           8
        .value_kind:     global_buffer
      - .offset:         24
        .size:           8
        .value_kind:     by_value
      - .offset:         32
        .size:           4
        .value_kind:     by_value
      - .offset:         40
        .size:           8
        .value_kind:     by_value
      - .address_space:  global
        .offset:         48
        .size:           8
        .value_kind:     global_buffer
      - .offset:         56
        .size:           8
        .value_kind:     by_value
      - .offset:         64
        .size:           4
        .value_kind:     by_value
      - .offset:         72
        .size:           8
        .value_kind:     by_value
      - .offset:         80
        .size:           4
        .value_kind:     by_value
      - .offset:         88
        .size:           8
        .value_kind:     by_value
      - .address_space:  global
        .offset:         96
        .size:           8
        .value_kind:     global_buffer
      - .offset:         104
        .size:           4
        .value_kind:     by_value
      - .offset:         112
        .size:           4
        .value_kind:     hidden_block_count_x
      - .offset:         116
        .size:           4
        .value_kind:     hidden_block_count_y
      - .offset:         120
        .size:           4
        .value_kind:     hidden_block_count_z
      - .offset:         124
        .size:           2
        .value_kind:     hidden_group_size_x
      - .offset:         126
        .size:           2
        .value_kind:     hidden_group_size_y
      - .offset:         128
        .size:           2
        .value_kind:     hidden_group_size_z
      - .offset:         130
        .size:           2
        .value_kind:     hidden_remainder_x
      - .offset:         132
        .size:           2
        .value_kind:     hidden_remainder_y
      - .offset:         134
        .size:           2
        .value_kind:     hidden_remainder_z
      - .offset:         152
        .size:           8
        .value_kind:     hidden_global_offset_x
      - .offset:         160
        .size:           8
        .value_kind:     hidden_global_offset_y
      - .offset:         168
        .size:           8
        .value_kind:     hidden_global_offset_z
      - .offset:         176
        .size:           2
        .value_kind:     hidden_grid_dims
    .group_segment_fixed_size: 4800
    .kernarg_segment_align: 8
    .kernarg_segment_size: 368
    .language:       OpenCL C
    .language_version:
      - 2
      - 0
    .max_flat_workgroup_size: 256
    .name:           _ZL26rocblas_hemvn_kernel_lowerILb0ELi64ELi4ELi33ELi32ELi16EifPKPKfPfEviT6_lT7_lT5_lS6_lS7_lS5_lT8_i
    .private_segment_fixed_size: 0
    .sgpr_count:     50
    .sgpr_spill_count: 0
    .symbol:         _ZL26rocblas_hemvn_kernel_lowerILb0ELi64ELi4ELi33ELi32ELi16EifPKPKfPfEviT6_lT7_lT5_lS6_lS7_lS5_lT8_i.kd
    .uniform_work_group_size: 1
    .uses_dynamic_stack: false
    .vgpr_count:     82
    .vgpr_spill_count: 0
    .wavefront_size: 64
  - .agpr_count:     0
    .args:
      - .offset:         0
        .size:           4
        .value_kind:     by_value
      - .offset:         4
        .size:           4
        .value_kind:     by_value
      - .offset:         8
        .size:           8
        .value_kind:     by_value
      - .offset:         16
        .size:           4
        .value_kind:     by_value
      - .offset:         24
        .size:           8
        .value_kind:     by_value
      - .actual_access:  read_only
        .address_space:  global
        .offset:         32
        .size:           8
        .value_kind:     global_buffer
      - .offset:         40
        .size:           8
        .value_kind:     by_value
      - .offset:         48
        .size:           4
        .value_kind:     by_value
      - .offset:         56
        .size:           8
        .value_kind:     by_value
      - .actual_access:  read_only
        .address_space:  global
        .offset:         64
        .size:           8
        .value_kind:     global_buffer
      - .offset:         72
        .size:           4
        .value_kind:     by_value
      - .offset:         80
        .size:           4
        .value_kind:     hidden_block_count_x
      - .offset:         84
        .size:           4
        .value_kind:     hidden_block_count_y
      - .offset:         88
        .size:           4
        .value_kind:     hidden_block_count_z
      - .offset:         92
        .size:           2
        .value_kind:     hidden_group_size_x
      - .offset:         94
        .size:           2
        .value_kind:     hidden_group_size_y
      - .offset:         96
        .size:           2
        .value_kind:     hidden_group_size_z
      - .offset:         98
        .size:           2
        .value_kind:     hidden_remainder_x
      - .offset:         100
        .size:           2
        .value_kind:     hidden_remainder_y
      - .offset:         102
        .size:           2
        .value_kind:     hidden_remainder_z
      - .offset:         120
        .size:           8
        .value_kind:     hidden_global_offset_x
      - .offset:         128
        .size:           8
        .value_kind:     hidden_global_offset_y
      - .offset:         136
        .size:           8
        .value_kind:     hidden_global_offset_z
      - .offset:         144
        .size:           2
        .value_kind:     hidden_grid_dims
    .group_segment_fixed_size: 0
    .kernarg_segment_align: 8
    .kernarg_segment_size: 336
    .language:       OpenCL C
    .language_version:
      - 2
      - 0
    .max_flat_workgroup_size: 64
    .name:           _ZL36rocblas_hemvn_kernel_lower_block_sumILi64EifPKPffEviT1_lS3_lT2_lT0_lPT3_i
    .private_segment_fixed_size: 0
    .sgpr_count:     24
    .sgpr_spill_count: 0
    .symbol:         _ZL36rocblas_hemvn_kernel_lower_block_sumILi64EifPKPffEviT1_lS3_lT2_lT0_lPT3_i.kd
    .uniform_work_group_size: 1
    .uses_dynamic_stack: false
    .vgpr_count:     6
    .vgpr_spill_count: 0
    .wavefront_size: 64
  - .agpr_count:     0
    .args:
      - .offset:         0
        .size:           1
        .value_kind:     by_value
      - .offset:         4
        .size:           4
        .value_kind:     by_value
      - .offset:         8
        .size:           8
        .value_kind:     by_value
      - .offset:         16
        .size:           8
        .value_kind:     by_value
      - .address_space:  global
        .offset:         24
        .size:           8
        .value_kind:     global_buffer
      - .offset:         32
        .size:           8
        .value_kind:     by_value
      - .offset:         40
        .size:           8
        .value_kind:     by_value
      - .offset:         48
        .size:           8
        .value_kind:     by_value
      - .address_space:  global
        .offset:         56
        .size:           8
        .value_kind:     global_buffer
      - .offset:         64
        .size:           8
        .value_kind:     by_value
      - .offset:         72
        .size:           8
        .value_kind:     by_value
      - .offset:         80
        .size:           8
        .value_kind:     by_value
      - .offset:         88
        .size:           8
        .value_kind:     by_value
      - .offset:         96
        .size:           8
        .value_kind:     by_value
      - .actual_access:  read_only
        .address_space:  global
        .offset:         104
        .size:           8
        .value_kind:     global_buffer
      - .offset:         112
        .size:           8
        .value_kind:     by_value
      - .offset:         120
        .size:           8
        .value_kind:     by_value
      - .offset:         128
        .size:           8
        .value_kind:     by_value
      - .offset:         136
        .size:           4
        .value_kind:     by_value
    .group_segment_fixed_size: 10496
    .kernarg_segment_align: 8
    .kernarg_segment_size: 140
    .language:       OpenCL C
    .language_version:
      - 2
      - 0
    .max_flat_workgroup_size: 128
    .name:           _ZL50rocblas_symv_kernel_upper_double_buffered_diagonalILi32ELi4E24rocblas_internal_val_ptrIdEPKPKdPKPdEvbiT1_lT2_lllSA_lllS9_lT3_llli
    .private_segment_fixed_size: 0
    .sgpr_count:     28
    .sgpr_spill_count: 0
    .symbol:         _ZL50rocblas_symv_kernel_upper_double_buffered_diagonalILi32ELi4E24rocblas_internal_val_ptrIdEPKPKdPKPdEvbiT1_lT2_lllSA_lllS9_lT3_llli.kd
    .uniform_work_group_size: 1
    .uses_dynamic_stack: false
    .vgpr_count:     36
    .vgpr_spill_count: 0
    .wavefront_size: 64
  - .agpr_count:     0
    .args:
      - .offset:         0
        .size:           1
        .value_kind:     by_value
      - .offset:         4
        .size:           4
        .value_kind:     by_value
      - .offset:         8
        .size:           8
        .value_kind:     by_value
      - .offset:         16
        .size:           8
        .value_kind:     by_value
      - .address_space:  global
        .offset:         24
        .size:           8
        .value_kind:     global_buffer
      - .offset:         32
        .size:           8
        .value_kind:     by_value
      - .offset:         40
        .size:           8
        .value_kind:     by_value
      - .offset:         48
        .size:           8
        .value_kind:     by_value
      - .address_space:  global
        .offset:         56
        .size:           8
        .value_kind:     global_buffer
      - .offset:         64
        .size:           8
        .value_kind:     by_value
      - .offset:         72
        .size:           8
        .value_kind:     by_value
      - .offset:         80
        .size:           8
        .value_kind:     by_value
      - .actual_access:  read_only
        .address_space:  global
        .offset:         88
        .size:           8
        .value_kind:     global_buffer
      - .offset:         96
        .size:           8
        .value_kind:     by_value
      - .offset:         104
        .size:           8
        .value_kind:     by_value
      - .offset:         112
        .size:           8
        .value_kind:     by_value
      - .offset:         120
        .size:           4
        .value_kind:     by_value
      - .offset:         128
        .size:           4
        .value_kind:     hidden_block_count_x
      - .offset:         132
        .size:           4
        .value_kind:     hidden_block_count_y
      - .offset:         136
        .size:           4
        .value_kind:     hidden_block_count_z
      - .offset:         140
        .size:           2
        .value_kind:     hidden_group_size_x
      - .offset:         142
        .size:           2
        .value_kind:     hidden_group_size_y
      - .offset:         144
        .size:           2
        .value_kind:     hidden_group_size_z
      - .offset:         146
        .size:           2
        .value_kind:     hidden_remainder_x
      - .offset:         148
        .size:           2
        .value_kind:     hidden_remainder_y
      - .offset:         150
        .size:           2
        .value_kind:     hidden_remainder_z
      - .offset:         168
        .size:           8
        .value_kind:     hidden_global_offset_x
      - .offset:         176
        .size:           8
        .value_kind:     hidden_global_offset_y
      - .offset:         184
        .size:           8
        .value_kind:     hidden_global_offset_z
      - .offset:         192
        .size:           2
        .value_kind:     hidden_grid_dims
    .group_segment_fixed_size: 6400
    .kernarg_segment_align: 8
    .kernarg_segment_size: 384
    .language:       OpenCL C
    .language_version:
      - 2
      - 0
    .max_flat_workgroup_size: 128
    .name:           _ZL54rocblas_symv_kernel_upper_double_buffered_non_diagonalILi32ELi4ELi4E24rocblas_internal_val_ptrIdEPKPKdPKPdEvbiT2_lT3_lllSA_lllT4_llli
    .private_segment_fixed_size: 0
    .sgpr_count:     32
    .sgpr_spill_count: 0
    .symbol:         _ZL54rocblas_symv_kernel_upper_double_buffered_non_diagonalILi32ELi4ELi4E24rocblas_internal_val_ptrIdEPKPKdPKPdEvbiT2_lT3_lllSA_lllT4_llli.kd
    .uniform_work_group_size: 1
    .uses_dynamic_stack: false
    .vgpr_count:     78
    .vgpr_spill_count: 0
    .wavefront_size: 64
  - .agpr_count:     0
    .args:
      - .offset:         0
        .size:           1
        .value_kind:     by_value
      - .offset:         4
        .size:           4
        .value_kind:     by_value
      - .offset:         8
        .size:           8
        .value_kind:     by_value
      - .offset:         16
        .size:           8
        .value_kind:     by_value
      - .address_space:  global
        .offset:         24
        .size:           8
        .value_kind:     global_buffer
      - .offset:         32
        .size:           8
        .value_kind:     by_value
      - .offset:         40
        .size:           8
        .value_kind:     by_value
      - .offset:         48
        .size:           8
        .value_kind:     by_value
      - .address_space:  global
        .offset:         56
        .size:           8
        .value_kind:     global_buffer
      - .offset:         64
        .size:           8
        .value_kind:     by_value
      - .offset:         72
        .size:           8
        .value_kind:     by_value
      - .offset:         80
        .size:           8
        .value_kind:     by_value
      - .offset:         88
        .size:           8
        .value_kind:     by_value
      - .offset:         96
        .size:           8
        .value_kind:     by_value
      - .actual_access:  read_only
        .address_space:  global
        .offset:         104
        .size:           8
        .value_kind:     global_buffer
      - .offset:         112
        .size:           8
        .value_kind:     by_value
      - .offset:         120
        .size:           8
        .value_kind:     by_value
      - .offset:         128
        .size:           8
        .value_kind:     by_value
      - .offset:         136
        .size:           4
        .value_kind:     by_value
      - .offset:         140
        .size:           4
        .value_kind:     by_value
      - .offset:         144
        .size:           4
        .value_kind:     hidden_block_count_x
      - .offset:         148
        .size:           4
        .value_kind:     hidden_block_count_y
      - .offset:         152
        .size:           4
        .value_kind:     hidden_block_count_z
      - .offset:         156
        .size:           2
        .value_kind:     hidden_group_size_x
      - .offset:         158
        .size:           2
        .value_kind:     hidden_group_size_y
      - .offset:         160
        .size:           2
        .value_kind:     hidden_group_size_z
      - .offset:         162
        .size:           2
        .value_kind:     hidden_remainder_x
      - .offset:         164
        .size:           2
        .value_kind:     hidden_remainder_y
      - .offset:         166
        .size:           2
        .value_kind:     hidden_remainder_z
      - .offset:         184
        .size:           8
        .value_kind:     hidden_global_offset_x
      - .offset:         192
        .size:           8
        .value_kind:     hidden_global_offset_y
      - .offset:         200
        .size:           8
        .value_kind:     hidden_global_offset_z
      - .offset:         208
        .size:           2
        .value_kind:     hidden_grid_dims
    .group_segment_fixed_size: 12544
    .kernarg_segment_align: 8
    .kernarg_segment_size: 400
    .language:       OpenCL C
    .language_version:
      - 2
      - 0
    .max_flat_workgroup_size: 256
    .name:           _ZL58rocblas_symv_kernel_upper_double_buffered_diagonal_genericILi32ELi8E24rocblas_internal_val_ptrIdEPKPKdPKPdEvbiT1_lT2_lllSA_lllS9_lT3_lllii
    .private_segment_fixed_size: 0
    .sgpr_count:     30
    .sgpr_spill_count: 0
    .symbol:         _ZL58rocblas_symv_kernel_upper_double_buffered_diagonal_genericILi32ELi8E24rocblas_internal_val_ptrIdEPKPKdPKPdEvbiT1_lT2_lllSA_lllS9_lT3_lllii.kd
    .uniform_work_group_size: 1
    .uses_dynamic_stack: false
    .vgpr_count:     32
    .vgpr_spill_count: 0
    .wavefront_size: 64
  - .agpr_count:     0
    .args:
      - .offset:         0
        .size:           1
        .value_kind:     by_value
      - .offset:         4
        .size:           4
        .value_kind:     by_value
      - .offset:         8
        .size:           8
        .value_kind:     by_value
      - .offset:         16
        .size:           8
        .value_kind:     by_value
      - .address_space:  global
        .offset:         24
        .size:           8
        .value_kind:     global_buffer
      - .offset:         32
        .size:           8
        .value_kind:     by_value
      - .offset:         40
        .size:           8
        .value_kind:     by_value
      - .offset:         48
        .size:           8
        .value_kind:     by_value
      - .address_space:  global
        .offset:         56
        .size:           8
        .value_kind:     global_buffer
      - .offset:         64
        .size:           8
        .value_kind:     by_value
      - .offset:         72
        .size:           8
        .value_kind:     by_value
      - .offset:         80
        .size:           8
        .value_kind:     by_value
      - .actual_access:  read_only
        .address_space:  global
        .offset:         88
        .size:           8
        .value_kind:     global_buffer
      - .offset:         96
        .size:           8
        .value_kind:     by_value
      - .offset:         104
        .size:           8
        .value_kind:     by_value
      - .offset:         112
        .size:           8
        .value_kind:     by_value
      - .offset:         120
        .size:           4
        .value_kind:     by_value
      - .offset:         124
        .size:           4
        .value_kind:     by_value
      - .offset:         128
        .size:           4
        .value_kind:     hidden_block_count_x
      - .offset:         132
        .size:           4
        .value_kind:     hidden_block_count_y
      - .offset:         136
        .size:           4
        .value_kind:     hidden_block_count_z
      - .offset:         140
        .size:           2
        .value_kind:     hidden_group_size_x
      - .offset:         142
        .size:           2
        .value_kind:     hidden_group_size_y
      - .offset:         144
        .size:           2
        .value_kind:     hidden_group_size_z
      - .offset:         146
        .size:           2
        .value_kind:     hidden_remainder_x
      - .offset:         148
        .size:           2
        .value_kind:     hidden_remainder_y
      - .offset:         150
        .size:           2
        .value_kind:     hidden_remainder_z
      - .offset:         168
        .size:           8
        .value_kind:     hidden_global_offset_x
      - .offset:         176
        .size:           8
        .value_kind:     hidden_global_offset_y
      - .offset:         184
        .size:           8
        .value_kind:     hidden_global_offset_z
      - .offset:         192
        .size:           2
        .value_kind:     hidden_grid_dims
    .group_segment_fixed_size: 8448
    .kernarg_segment_align: 8
    .kernarg_segment_size: 384
    .language:       OpenCL C
    .language_version:
      - 2
      - 0
    .max_flat_workgroup_size: 256
    .name:           _ZL62rocblas_symv_kernel_upper_double_buffered_non_diagonal_genericILi32ELi8ELi2ELi0E24rocblas_internal_val_ptrIdEPKPKdPKPdEvbiT3_lT4_lllSA_lllT5_lllii
    .private_segment_fixed_size: 0
    .sgpr_count:     40
    .sgpr_spill_count: 0
    .symbol:         _ZL62rocblas_symv_kernel_upper_double_buffered_non_diagonal_genericILi32ELi8ELi2ELi0E24rocblas_internal_val_ptrIdEPKPKdPKPdEvbiT3_lT4_lllSA_lllT5_lllii.kd
    .uniform_work_group_size: 1
    .uses_dynamic_stack: false
    .vgpr_count:     64
    .vgpr_spill_count: 0
    .wavefront_size: 64
  - .agpr_count:     0
    .args:
      - .offset:         0
        .size:           1
        .value_kind:     by_value
      - .offset:         4
        .size:           4
        .value_kind:     by_value
      - .offset:         8
        .size:           8
        .value_kind:     by_value
      - .offset:         16
        .size:           8
        .value_kind:     by_value
      - .address_space:  global
        .offset:         24
        .size:           8
        .value_kind:     global_buffer
      - .offset:         32
        .size:           8
        .value_kind:     by_value
      - .offset:         40
        .size:           8
        .value_kind:     by_value
      - .offset:         48
        .size:           8
        .value_kind:     by_value
      - .address_space:  global
        .offset:         56
        .size:           8
        .value_kind:     global_buffer
      - .offset:         64
        .size:           8
        .value_kind:     by_value
      - .offset:         72
        .size:           8
        .value_kind:     by_value
      - .offset:         80
        .size:           8
        .value_kind:     by_value
      - .actual_access:  read_only
        .address_space:  global
        .offset:         88
        .size:           8
        .value_kind:     global_buffer
      - .offset:         96
        .size:           8
        .value_kind:     by_value
      - .offset:         104
        .size:           8
        .value_kind:     by_value
      - .offset:         112
        .size:           8
        .value_kind:     by_value
      - .offset:         120
        .size:           4
        .value_kind:     by_value
      - .offset:         124
        .size:           4
        .value_kind:     by_value
      - .offset:         128
        .size:           4
        .value_kind:     hidden_block_count_x
      - .offset:         132
        .size:           4
        .value_kind:     hidden_block_count_y
      - .offset:         136
        .size:           4
        .value_kind:     hidden_block_count_z
      - .offset:         140
        .size:           2
        .value_kind:     hidden_group_size_x
      - .offset:         142
        .size:           2
        .value_kind:     hidden_group_size_y
      - .offset:         144
        .size:           2
        .value_kind:     hidden_group_size_z
      - .offset:         146
        .size:           2
        .value_kind:     hidden_remainder_x
      - .offset:         148
        .size:           2
        .value_kind:     hidden_remainder_y
      - .offset:         150
        .size:           2
        .value_kind:     hidden_remainder_z
      - .offset:         168
        .size:           8
        .value_kind:     hidden_global_offset_x
      - .offset:         176
        .size:           8
        .value_kind:     hidden_global_offset_y
      - .offset:         184
        .size:           8
        .value_kind:     hidden_global_offset_z
      - .offset:         192
        .size:           2
        .value_kind:     hidden_grid_dims
    .group_segment_fixed_size: 8448
    .kernarg_segment_align: 8
    .kernarg_segment_size: 384
    .language:       OpenCL C
    .language_version:
      - 2
      - 0
    .max_flat_workgroup_size: 256
    .name:           _ZL62rocblas_symv_kernel_upper_double_buffered_non_diagonal_genericILi32ELi8ELi2ELi1E24rocblas_internal_val_ptrIdEPKPKdPKPdEvbiT3_lT4_lllSA_lllT5_lllii
    .private_segment_fixed_size: 0
    .sgpr_count:     44
    .sgpr_spill_count: 0
    .symbol:         _ZL62rocblas_symv_kernel_upper_double_buffered_non_diagonal_genericILi32ELi8ELi2ELi1E24rocblas_internal_val_ptrIdEPKPKdPKPdEvbiT3_lT4_lllSA_lllT5_lllii.kd
    .uniform_work_group_size: 1
    .uses_dynamic_stack: false
    .vgpr_count:     62
    .vgpr_spill_count: 0
    .wavefront_size: 64
  - .agpr_count:     0
    .args:
      - .offset:         0
        .size:           4
        .value_kind:     by_value
      - .address_space:  global
        .offset:         8
        .size:           8
        .value_kind:     global_buffer
      - .offset:         16
        .size:           8
        .value_kind:     by_value
      - .address_space:  global
        .offset:         24
        .size:           8
        .value_kind:     global_buffer
      - .offset:         32
        .size:           8
        .value_kind:     by_value
      - .offset:         40
        .size:           8
        .value_kind:     by_value
      - .offset:         48
        .size:           8
        .value_kind:     by_value
      - .address_space:  global
        .offset:         56
        .size:           8
        .value_kind:     global_buffer
      - .offset:         64
        .size:           8
        .value_kind:     by_value
      - .offset:         72
        .size:           8
        .value_kind:     by_value
      - .offset:         80
        .size:           8
        .value_kind:     by_value
      - .address_space:  global
        .offset:         88
        .size:           8
        .value_kind:     global_buffer
      - .offset:         96
        .size:           8
        .value_kind:     by_value
      - .address_space:  global
        .offset:         104
        .size:           8
        .value_kind:     global_buffer
      - .offset:         112
        .size:           4
        .value_kind:     by_value
      - .offset:         120
        .size:           4
        .value_kind:     hidden_block_count_x
      - .offset:         124
        .size:           4
        .value_kind:     hidden_block_count_y
      - .offset:         128
        .size:           4
        .value_kind:     hidden_block_count_z
      - .offset:         132
        .size:           2
        .value_kind:     hidden_group_size_x
      - .offset:         134
        .size:           2
        .value_kind:     hidden_group_size_y
      - .offset:         136
        .size:           2
        .value_kind:     hidden_group_size_z
      - .offset:         138
        .size:           2
        .value_kind:     hidden_remainder_x
      - .offset:         140
        .size:           2
        .value_kind:     hidden_remainder_y
      - .offset:         142
        .size:           2
        .value_kind:     hidden_remainder_z
      - .offset:         160
        .size:           8
        .value_kind:     hidden_global_offset_x
      - .offset:         168
        .size:           8
        .value_kind:     hidden_global_offset_y
      - .offset:         176
        .size:           8
        .value_kind:     hidden_global_offset_z
      - .offset:         184
        .size:           2
        .value_kind:     hidden_grid_dims
    .group_segment_fixed_size: 9600
    .kernarg_segment_align: 8
    .kernarg_segment_size: 376
    .language:       OpenCL C
    .language_version:
      - 2
      - 0
    .max_flat_workgroup_size: 256
    .name:           _ZL26rocblas_hemvn_kernel_upperILb0ELi64ELi4ELi33ELi32ELi16ElPKdPKS1_PdEviT6_lT7_lT5_lS6_lS7_lS5_lT8_i
    .private_segment_fixed_size: 0
    .sgpr_count:     46
    .sgpr_spill_count: 0
    .symbol:         _ZL26rocblas_hemvn_kernel_upperILb0ELi64ELi4ELi33ELi32ELi16ElPKdPKS1_PdEviT6_lT7_lT5_lS6_lS7_lS5_lT8_i.kd
    .uniform_work_group_size: 1
    .uses_dynamic_stack: false
    .vgpr_count:     152
    .vgpr_spill_count: 0
    .wavefront_size: 64
  - .agpr_count:     0
    .args:
      - .offset:         0
        .size:           4
        .value_kind:     by_value
      - .address_space:  global
        .offset:         8
        .size:           8
        .value_kind:     global_buffer
      - .offset:         16
        .size:           8
        .value_kind:     by_value
      - .address_space:  global
        .offset:         24
        .size:           8
        .value_kind:     global_buffer
      - .offset:         32
        .size:           8
        .value_kind:     by_value
      - .actual_access:  read_only
        .address_space:  global
        .offset:         40
        .size:           8
        .value_kind:     global_buffer
      - .offset:         48
        .size:           8
        .value_kind:     by_value
      - .offset:         56
        .size:           8
        .value_kind:     by_value
      - .offset:         64
        .size:           8
        .value_kind:     by_value
      - .address_space:  global
        .offset:         72
        .size:           8
        .value_kind:     global_buffer
      - .offset:         80
        .size:           4
        .value_kind:     by_value
      - .offset:         88
        .size:           4
        .value_kind:     hidden_block_count_x
      - .offset:         92
        .size:           4
        .value_kind:     hidden_block_count_y
      - .offset:         96
        .size:           4
        .value_kind:     hidden_block_count_z
      - .offset:         100
        .size:           2
        .value_kind:     hidden_group_size_x
      - .offset:         102
        .size:           2
        .value_kind:     hidden_group_size_y
      - .offset:         104
        .size:           2
        .value_kind:     hidden_group_size_z
      - .offset:         106
        .size:           2
        .value_kind:     hidden_remainder_x
      - .offset:         108
        .size:           2
        .value_kind:     hidden_remainder_y
      - .offset:         110
        .size:           2
        .value_kind:     hidden_remainder_z
      - .offset:         128
        .size:           8
        .value_kind:     hidden_global_offset_x
      - .offset:         136
        .size:           8
        .value_kind:     hidden_global_offset_y
      - .offset:         144
        .size:           8
        .value_kind:     hidden_global_offset_z
      - .offset:         152
        .size:           2
        .value_kind:     hidden_grid_dims
    .group_segment_fixed_size: 0
    .kernarg_segment_align: 8
    .kernarg_segment_size: 344
    .language:       OpenCL C
    .language_version:
      - 2
      - 0
    .max_flat_workgroup_size: 64
    .name:           _ZL36rocblas_hemvn_kernel_upper_block_sumILi64ElPKdPKPddEviT1_lS5_lT2_lT0_lPT3_i
    .private_segment_fixed_size: 0
    .sgpr_count:     28
    .sgpr_spill_count: 0
    .symbol:         _ZL36rocblas_hemvn_kernel_upper_block_sumILi64ElPKdPKPddEviT1_lS5_lT2_lT0_lPT3_i.kd
    .uniform_work_group_size: 1
    .uses_dynamic_stack: false
    .vgpr_count:     10
    .vgpr_spill_count: 0
    .wavefront_size: 64
  - .agpr_count:     0
    .args:
      - .offset:         0
        .size:           4
        .value_kind:     by_value
      - .address_space:  global
        .offset:         8
        .size:           8
        .value_kind:     global_buffer
      - .offset:         16
        .size:           8
        .value_kind:     by_value
      - .address_space:  global
        .offset:         24
        .size:           8
        .value_kind:     global_buffer
      - .offset:         32
        .size:           8
        .value_kind:     by_value
      - .offset:         40
        .size:           4
        .value_kind:     by_value
      - .offset:         48
        .size:           8
        .value_kind:     by_value
      - .address_space:  global
        .offset:         56
        .size:           8
        .value_kind:     global_buffer
      - .offset:         64
        .size:           8
        .value_kind:     by_value
      - .offset:         72
        .size:           4
        .value_kind:     by_value
      - .offset:         80
        .size:           8
        .value_kind:     by_value
      - .address_space:  global
        .offset:         88
        .size:           8
        .value_kind:     global_buffer
      - .offset:         96
        .size:           8
        .value_kind:     by_value
      - .address_space:  global
        .offset:         104
        .size:           8
        .value_kind:     global_buffer
      - .offset:         112
        .size:           4
        .value_kind:     by_value
      - .offset:         120
        .size:           4
        .value_kind:     hidden_block_count_x
      - .offset:         124
        .size:           4
        .value_kind:     hidden_block_count_y
      - .offset:         128
        .size:           4
        .value_kind:     hidden_block_count_z
      - .offset:         132
        .size:           2
        .value_kind:     hidden_group_size_x
      - .offset:         134
        .size:           2
        .value_kind:     hidden_group_size_y
      - .offset:         136
        .size:           2
        .value_kind:     hidden_group_size_z
      - .offset:         138
        .size:           2
        .value_kind:     hidden_remainder_x
      - .offset:         140
        .size:           2
        .value_kind:     hidden_remainder_y
      - .offset:         142
        .size:           2
        .value_kind:     hidden_remainder_z
      - .offset:         160
        .size:           8
        .value_kind:     hidden_global_offset_x
      - .offset:         168
        .size:           8
        .value_kind:     hidden_global_offset_y
      - .offset:         176
        .size:           8
        .value_kind:     hidden_global_offset_z
      - .offset:         184
        .size:           2
        .value_kind:     hidden_grid_dims
    .group_segment_fixed_size: 9600
    .kernarg_segment_align: 8
    .kernarg_segment_size: 376
    .language:       OpenCL C
    .language_version:
      - 2
      - 0
    .max_flat_workgroup_size: 256
    .name:           _ZL26rocblas_hemvn_kernel_upperILb0ELi64ELi4ELi33ELi32ELi16EiPKdPKS1_PdEviT6_lT7_lT5_lS6_lS7_lS5_lT8_i
    .private_segment_fixed_size: 0
    .sgpr_count:     48
    .sgpr_spill_count: 0
    .symbol:         _ZL26rocblas_hemvn_kernel_upperILb0ELi64ELi4ELi33ELi32ELi16EiPKdPKS1_PdEviT6_lT7_lT5_lS6_lS7_lS5_lT8_i.kd
    .uniform_work_group_size: 1
    .uses_dynamic_stack: false
    .vgpr_count:     172
    .vgpr_spill_count: 0
    .wavefront_size: 64
  - .agpr_count:     0
    .args:
      - .offset:         0
        .size:           4
        .value_kind:     by_value
      - .address_space:  global
        .offset:         8
        .size:           8
        .value_kind:     global_buffer
      - .offset:         16
        .size:           8
        .value_kind:     by_value
      - .address_space:  global
        .offset:         24
        .size:           8
        .value_kind:     global_buffer
      - .offset:         32
        .size:           8
        .value_kind:     by_value
      - .actual_access:  read_only
        .address_space:  global
        .offset:         40
        .size:           8
        .value_kind:     global_buffer
      - .offset:         48
        .size:           8
        .value_kind:     by_value
      - .offset:         56
        .size:           4
        .value_kind:     by_value
      - .offset:         64
        .size:           8
        .value_kind:     by_value
      - .address_space:  global
        .offset:         72
        .size:           8
        .value_kind:     global_buffer
      - .offset:         80
        .size:           4
        .value_kind:     by_value
      - .offset:         88
        .size:           4
        .value_kind:     hidden_block_count_x
      - .offset:         92
        .size:           4
        .value_kind:     hidden_block_count_y
      - .offset:         96
        .size:           4
        .value_kind:     hidden_block_count_z
      - .offset:         100
        .size:           2
        .value_kind:     hidden_group_size_x
      - .offset:         102
        .size:           2
        .value_kind:     hidden_group_size_y
      - .offset:         104
        .size:           2
        .value_kind:     hidden_group_size_z
      - .offset:         106
        .size:           2
        .value_kind:     hidden_remainder_x
      - .offset:         108
        .size:           2
        .value_kind:     hidden_remainder_y
      - .offset:         110
        .size:           2
        .value_kind:     hidden_remainder_z
      - .offset:         128
        .size:           8
        .value_kind:     hidden_global_offset_x
      - .offset:         136
        .size:           8
        .value_kind:     hidden_global_offset_y
      - .offset:         144
        .size:           8
        .value_kind:     hidden_global_offset_z
      - .offset:         152
        .size:           2
        .value_kind:     hidden_grid_dims
    .group_segment_fixed_size: 0
    .kernarg_segment_align: 8
    .kernarg_segment_size: 344
    .language:       OpenCL C
    .language_version:
      - 2
      - 0
    .max_flat_workgroup_size: 64
    .name:           _ZL36rocblas_hemvn_kernel_upper_block_sumILi64EiPKdPKPddEviT1_lS5_lT2_lT0_lPT3_i
    .private_segment_fixed_size: 0
    .sgpr_count:     28
    .sgpr_spill_count: 0
    .symbol:         _ZL36rocblas_hemvn_kernel_upper_block_sumILi64EiPKdPKPddEviT1_lS5_lT2_lT0_lPT3_i.kd
    .uniform_work_group_size: 1
    .uses_dynamic_stack: false
    .vgpr_count:     8
    .vgpr_spill_count: 0
    .wavefront_size: 64
  - .agpr_count:     0
    .args:
      - .offset:         0
        .size:           4
        .value_kind:     by_value
      - .offset:         8
        .size:           8
        .value_kind:     by_value
      - .offset:         16
        .size:           8
        .value_kind:     by_value
      - .address_space:  global
        .offset:         24
        .size:           8
        .value_kind:     global_buffer
      - .offset:         32
        .size:           8
        .value_kind:     by_value
      - .offset:         40
        .size:           8
        .value_kind:     by_value
      - .offset:         48
        .size:           8
        .value_kind:     by_value
      - .address_space:  global
        .offset:         56
        .size:           8
        .value_kind:     global_buffer
      - .offset:         64
        .size:           8
        .value_kind:     by_value
      - .offset:         72
        .size:           8
        .value_kind:     by_value
      - .offset:         80
        .size:           8
        .value_kind:     by_value
      - .offset:         88
        .size:           8
        .value_kind:     by_value
      - .offset:         96
        .size:           8
        .value_kind:     by_value
      - .address_space:  global
        .offset:         104
        .size:           8
        .value_kind:     global_buffer
      - .offset:         112
        .size:           4
        .value_kind:     by_value
      - .offset:         120
        .size:           4
        .value_kind:     hidden_block_count_x
      - .offset:         124
        .size:           4
        .value_kind:     hidden_block_count_y
      - .offset:         128
        .size:           4
        .value_kind:     hidden_block_count_z
      - .offset:         132
        .size:           2
        .value_kind:     hidden_group_size_x
      - .offset:         134
        .size:           2
        .value_kind:     hidden_group_size_y
      - .offset:         136
        .size:           2
        .value_kind:     hidden_group_size_z
      - .offset:         138
        .size:           2
        .value_kind:     hidden_remainder_x
      - .offset:         140
        .size:           2
        .value_kind:     hidden_remainder_y
      - .offset:         142
        .size:           2
        .value_kind:     hidden_remainder_z
      - .offset:         160
        .size:           8
        .value_kind:     hidden_global_offset_x
      - .offset:         168
        .size:           8
        .value_kind:     hidden_global_offset_y
      - .offset:         176
        .size:           8
        .value_kind:     hidden_global_offset_z
      - .offset:         184
        .size:           2
        .value_kind:     hidden_grid_dims
    .group_segment_fixed_size: 9600
    .kernarg_segment_align: 8
    .kernarg_segment_size: 376
    .language:       OpenCL C
    .language_version:
      - 2
      - 0
    .max_flat_workgroup_size: 256
    .name:           _ZL26rocblas_hemvn_kernel_upperILb0ELi64ELi4ELi33ELi32ELi16EldPKPKdPdEviT6_lT7_lT5_lS6_lS7_lS5_lT8_i
    .private_segment_fixed_size: 0
    .sgpr_count:     46
    .sgpr_spill_count: 0
    .symbol:         _ZL26rocblas_hemvn_kernel_upperILb0ELi64ELi4ELi33ELi32ELi16EldPKPKdPdEviT6_lT7_lT5_lS6_lS7_lS5_lT8_i.kd
    .uniform_work_group_size: 1
    .uses_dynamic_stack: false
    .vgpr_count:     152
    .vgpr_spill_count: 0
    .wavefront_size: 64
  - .agpr_count:     0
    .args:
      - .offset:         0
        .size:           4
        .value_kind:     by_value
      - .offset:         8
        .size:           8
        .value_kind:     by_value
      - .offset:         16
        .size:           8
        .value_kind:     by_value
      - .offset:         24
        .size:           8
        .value_kind:     by_value
      - .offset:         32
        .size:           8
        .value_kind:     by_value
      - .actual_access:  read_only
        .address_space:  global
        .offset:         40
        .size:           8
        .value_kind:     global_buffer
      - .offset:         48
        .size:           8
        .value_kind:     by_value
      - .offset:         56
        .size:           8
        .value_kind:     by_value
      - .offset:         64
        .size:           8
        .value_kind:     by_value
      - .address_space:  global
        .offset:         72
        .size:           8
        .value_kind:     global_buffer
      - .offset:         80
        .size:           4
        .value_kind:     by_value
      - .offset:         88
        .size:           4
        .value_kind:     hidden_block_count_x
      - .offset:         92
        .size:           4
        .value_kind:     hidden_block_count_y
      - .offset:         96
        .size:           4
        .value_kind:     hidden_block_count_z
      - .offset:         100
        .size:           2
        .value_kind:     hidden_group_size_x
      - .offset:         102
        .size:           2
        .value_kind:     hidden_group_size_y
      - .offset:         104
        .size:           2
        .value_kind:     hidden_group_size_z
      - .offset:         106
        .size:           2
        .value_kind:     hidden_remainder_x
      - .offset:         108
        .size:           2
        .value_kind:     hidden_remainder_y
      - .offset:         110
        .size:           2
        .value_kind:     hidden_remainder_z
      - .offset:         128
        .size:           8
        .value_kind:     hidden_global_offset_x
      - .offset:         136
        .size:           8
        .value_kind:     hidden_global_offset_y
      - .offset:         144
        .size:           8
        .value_kind:     hidden_global_offset_z
      - .offset:         152
        .size:           2
        .value_kind:     hidden_grid_dims
    .group_segment_fixed_size: 0
    .kernarg_segment_align: 8
    .kernarg_segment_size: 344
    .language:       OpenCL C
    .language_version:
      - 2
      - 0
    .max_flat_workgroup_size: 64
    .name:           _ZL36rocblas_hemvn_kernel_upper_block_sumILi64EldPKPddEviT1_lS3_lT2_lT0_lPT3_i
    .private_segment_fixed_size: 0
    .sgpr_count:     26
    .sgpr_spill_count: 0
    .symbol:         _ZL36rocblas_hemvn_kernel_upper_block_sumILi64EldPKPddEviT1_lS3_lT2_lT0_lPT3_i.kd
    .uniform_work_group_size: 1
    .uses_dynamic_stack: false
    .vgpr_count:     10
    .vgpr_spill_count: 0
    .wavefront_size: 64
  - .agpr_count:     0
    .args:
      - .offset:         0
        .size:           4
        .value_kind:     by_value
      - .offset:         8
        .size:           8
        .value_kind:     by_value
      - .offset:         16
        .size:           8
        .value_kind:     by_value
      - .address_space:  global
        .offset:         24
        .size:           8
        .value_kind:     global_buffer
      - .offset:         32
        .size:           8
        .value_kind:     by_value
      - .offset:         40
        .size:           4
        .value_kind:     by_value
      - .offset:         48
        .size:           8
        .value_kind:     by_value
      - .address_space:  global
        .offset:         56
        .size:           8
        .value_kind:     global_buffer
      - .offset:         64
        .size:           8
        .value_kind:     by_value
      - .offset:         72
        .size:           4
        .value_kind:     by_value
      - .offset:         80
        .size:           8
        .value_kind:     by_value
      - .offset:         88
        .size:           8
        .value_kind:     by_value
      - .offset:         96
        .size:           8
        .value_kind:     by_value
      - .address_space:  global
        .offset:         104
        .size:           8
        .value_kind:     global_buffer
      - .offset:         112
        .size:           4
        .value_kind:     by_value
      - .offset:         120
        .size:           4
        .value_kind:     hidden_block_count_x
      - .offset:         124
        .size:           4
        .value_kind:     hidden_block_count_y
      - .offset:         128
        .size:           4
        .value_kind:     hidden_block_count_z
      - .offset:         132
        .size:           2
        .value_kind:     hidden_group_size_x
      - .offset:         134
        .size:           2
        .value_kind:     hidden_group_size_y
      - .offset:         136
        .size:           2
        .value_kind:     hidden_group_size_z
      - .offset:         138
        .size:           2
        .value_kind:     hidden_remainder_x
      - .offset:         140
        .size:           2
        .value_kind:     hidden_remainder_y
      - .offset:         142
        .size:           2
        .value_kind:     hidden_remainder_z
      - .offset:         160
        .size:           8
        .value_kind:     hidden_global_offset_x
      - .offset:         168
        .size:           8
        .value_kind:     hidden_global_offset_y
      - .offset:         176
        .size:           8
        .value_kind:     hidden_global_offset_z
      - .offset:         184
        .size:           2
        .value_kind:     hidden_grid_dims
    .group_segment_fixed_size: 9600
    .kernarg_segment_align: 8
    .kernarg_segment_size: 376
    .language:       OpenCL C
    .language_version:
      - 2
      - 0
    .max_flat_workgroup_size: 256
    .name:           _ZL26rocblas_hemvn_kernel_upperILb0ELi64ELi4ELi33ELi32ELi16EidPKPKdPdEviT6_lT7_lT5_lS6_lS7_lS5_lT8_i
    .private_segment_fixed_size: 0
    .sgpr_count:     48
    .sgpr_spill_count: 0
    .symbol:         _ZL26rocblas_hemvn_kernel_upperILb0ELi64ELi4ELi33ELi32ELi16EidPKPKdPdEviT6_lT7_lT5_lS6_lS7_lS5_lT8_i.kd
    .uniform_work_group_size: 1
    .uses_dynamic_stack: false
    .vgpr_count:     172
    .vgpr_spill_count: 0
    .wavefront_size: 64
  - .agpr_count:     0
    .args:
      - .offset:         0
        .size:           4
        .value_kind:     by_value
      - .offset:         8
        .size:           8
        .value_kind:     by_value
      - .offset:         16
        .size:           8
        .value_kind:     by_value
      - .offset:         24
        .size:           8
        .value_kind:     by_value
      - .offset:         32
        .size:           8
        .value_kind:     by_value
      - .actual_access:  read_only
        .address_space:  global
        .offset:         40
        .size:           8
        .value_kind:     global_buffer
      - .offset:         48
        .size:           8
        .value_kind:     by_value
      - .offset:         56
        .size:           4
        .value_kind:     by_value
      - .offset:         64
        .size:           8
        .value_kind:     by_value
      - .address_space:  global
        .offset:         72
        .size:           8
        .value_kind:     global_buffer
      - .offset:         80
        .size:           4
        .value_kind:     by_value
      - .offset:         88
        .size:           4
        .value_kind:     hidden_block_count_x
      - .offset:         92
        .size:           4
        .value_kind:     hidden_block_count_y
      - .offset:         96
        .size:           4
        .value_kind:     hidden_block_count_z
      - .offset:         100
        .size:           2
        .value_kind:     hidden_group_size_x
      - .offset:         102
        .size:           2
        .value_kind:     hidden_group_size_y
      - .offset:         104
        .size:           2
        .value_kind:     hidden_group_size_z
      - .offset:         106
        .size:           2
        .value_kind:     hidden_remainder_x
      - .offset:         108
        .size:           2
        .value_kind:     hidden_remainder_y
      - .offset:         110
        .size:           2
        .value_kind:     hidden_remainder_z
      - .offset:         128
        .size:           8
        .value_kind:     hidden_global_offset_x
      - .offset:         136
        .size:           8
        .value_kind:     hidden_global_offset_y
      - .offset:         144
        .size:           8
        .value_kind:     hidden_global_offset_z
      - .offset:         152
        .size:           2
        .value_kind:     hidden_grid_dims
    .group_segment_fixed_size: 0
    .kernarg_segment_align: 8
    .kernarg_segment_size: 344
    .language:       OpenCL C
    .language_version:
      - 2
      - 0
    .max_flat_workgroup_size: 64
    .name:           _ZL36rocblas_hemvn_kernel_upper_block_sumILi64EidPKPddEviT1_lS3_lT2_lT0_lPT3_i
    .private_segment_fixed_size: 0
    .sgpr_count:     25
    .sgpr_spill_count: 0
    .symbol:         _ZL36rocblas_hemvn_kernel_upper_block_sumILi64EidPKPddEviT1_lS3_lT2_lT0_lPT3_i.kd
    .uniform_work_group_size: 1
    .uses_dynamic_stack: false
    .vgpr_count:     8
    .vgpr_spill_count: 0
    .wavefront_size: 64
  - .agpr_count:     0
    .args:
      - .offset:         0
        .size:           1
        .value_kind:     by_value
      - .offset:         4
        .size:           4
        .value_kind:     by_value
      - .offset:         8
        .size:           8
        .value_kind:     by_value
      - .offset:         16
        .size:           8
        .value_kind:     by_value
      - .address_space:  global
        .offset:         24
        .size:           8
        .value_kind:     global_buffer
      - .offset:         32
        .size:           8
        .value_kind:     by_value
      - .offset:         40
        .size:           8
        .value_kind:     by_value
      - .offset:         48
        .size:           8
        .value_kind:     by_value
      - .address_space:  global
        .offset:         56
        .size:           8
        .value_kind:     global_buffer
      - .offset:         64
        .size:           8
        .value_kind:     by_value
      - .offset:         72
        .size:           8
        .value_kind:     by_value
      - .offset:         80
        .size:           8
        .value_kind:     by_value
      - .offset:         88
        .size:           8
        .value_kind:     by_value
      - .offset:         96
        .size:           8
        .value_kind:     by_value
      - .actual_access:  read_only
        .address_space:  global
        .offset:         104
        .size:           8
        .value_kind:     global_buffer
      - .offset:         112
        .size:           8
        .value_kind:     by_value
      - .offset:         120
        .size:           8
        .value_kind:     by_value
      - .offset:         128
        .size:           8
        .value_kind:     by_value
      - .offset:         136
        .size:           4
        .value_kind:     by_value
    .group_segment_fixed_size: 10496
    .kernarg_segment_align: 8
    .kernarg_segment_size: 140
    .language:       OpenCL C
    .language_version:
      - 2
      - 0
    .max_flat_workgroup_size: 128
    .name:           _ZL50rocblas_symv_kernel_lower_double_buffered_diagonalILi32ELi4E24rocblas_internal_val_ptrIdEPKPKdPKPdEvbiT1_lT2_lllSA_lllS9_lT3_llli
    .private_segment_fixed_size: 0
    .sgpr_count:     28
    .sgpr_spill_count: 0
    .symbol:         _ZL50rocblas_symv_kernel_lower_double_buffered_diagonalILi32ELi4E24rocblas_internal_val_ptrIdEPKPKdPKPdEvbiT1_lT2_lllSA_lllS9_lT3_llli.kd
    .uniform_work_group_size: 1
    .uses_dynamic_stack: false
    .vgpr_count:     38
    .vgpr_spill_count: 0
    .wavefront_size: 64
  - .agpr_count:     0
    .args:
      - .offset:         0
        .size:           1
        .value_kind:     by_value
      - .offset:         4
        .size:           4
        .value_kind:     by_value
      - .offset:         8
        .size:           8
        .value_kind:     by_value
      - .offset:         16
        .size:           8
        .value_kind:     by_value
      - .address_space:  global
        .offset:         24
        .size:           8
        .value_kind:     global_buffer
      - .offset:         32
        .size:           8
        .value_kind:     by_value
      - .offset:         40
        .size:           8
        .value_kind:     by_value
      - .offset:         48
        .size:           8
        .value_kind:     by_value
      - .address_space:  global
        .offset:         56
        .size:           8
        .value_kind:     global_buffer
      - .offset:         64
        .size:           8
        .value_kind:     by_value
      - .offset:         72
        .size:           8
        .value_kind:     by_value
      - .offset:         80
        .size:           8
        .value_kind:     by_value
      - .actual_access:  read_only
        .address_space:  global
        .offset:         88
        .size:           8
        .value_kind:     global_buffer
      - .offset:         96
        .size:           8
        .value_kind:     by_value
      - .offset:         104
        .size:           8
        .value_kind:     by_value
      - .offset:         112
        .size:           8
        .value_kind:     by_value
      - .offset:         120
        .size:           4
        .value_kind:     by_value
      - .offset:         128
        .size:           4
        .value_kind:     hidden_block_count_x
      - .offset:         132
        .size:           4
        .value_kind:     hidden_block_count_y
      - .offset:         136
        .size:           4
        .value_kind:     hidden_block_count_z
      - .offset:         140
        .size:           2
        .value_kind:     hidden_group_size_x
      - .offset:         142
        .size:           2
        .value_kind:     hidden_group_size_y
      - .offset:         144
        .size:           2
        .value_kind:     hidden_group_size_z
      - .offset:         146
        .size:           2
        .value_kind:     hidden_remainder_x
      - .offset:         148
        .size:           2
        .value_kind:     hidden_remainder_y
      - .offset:         150
        .size:           2
        .value_kind:     hidden_remainder_z
      - .offset:         168
        .size:           8
        .value_kind:     hidden_global_offset_x
      - .offset:         176
        .size:           8
        .value_kind:     hidden_global_offset_y
      - .offset:         184
        .size:           8
        .value_kind:     hidden_global_offset_z
      - .offset:         192
        .size:           2
        .value_kind:     hidden_grid_dims
    .group_segment_fixed_size: 6400
    .kernarg_segment_align: 8
    .kernarg_segment_size: 384
    .language:       OpenCL C
    .language_version:
      - 2
      - 0
    .max_flat_workgroup_size: 128
    .name:           _ZL54rocblas_symv_kernel_lower_double_buffered_non_diagonalILi32ELi4ELi4E24rocblas_internal_val_ptrIdEPKPKdPKPdEvbiT2_lT3_lllSA_lllT4_llli
    .private_segment_fixed_size: 0
    .sgpr_count:     32
    .sgpr_spill_count: 0
    .symbol:         _ZL54rocblas_symv_kernel_lower_double_buffered_non_diagonalILi32ELi4ELi4E24rocblas_internal_val_ptrIdEPKPKdPKPdEvbiT2_lT3_lllSA_lllT4_llli.kd
    .uniform_work_group_size: 1
    .uses_dynamic_stack: false
    .vgpr_count:     76
    .vgpr_spill_count: 0
    .wavefront_size: 64
  - .agpr_count:     0
    .args:
      - .offset:         0
        .size:           1
        .value_kind:     by_value
      - .offset:         4
        .size:           4
        .value_kind:     by_value
      - .offset:         8
        .size:           8
        .value_kind:     by_value
      - .offset:         16
        .size:           8
        .value_kind:     by_value
      - .address_space:  global
        .offset:         24
        .size:           8
        .value_kind:     global_buffer
      - .offset:         32
        .size:           8
        .value_kind:     by_value
      - .offset:         40
        .size:           8
        .value_kind:     by_value
      - .offset:         48
        .size:           8
        .value_kind:     by_value
      - .address_space:  global
        .offset:         56
        .size:           8
        .value_kind:     global_buffer
      - .offset:         64
        .size:           8
        .value_kind:     by_value
      - .offset:         72
        .size:           8
        .value_kind:     by_value
      - .offset:         80
        .size:           8
        .value_kind:     by_value
      - .offset:         88
        .size:           8
        .value_kind:     by_value
      - .offset:         96
        .size:           8
        .value_kind:     by_value
      - .actual_access:  read_only
        .address_space:  global
        .offset:         104
        .size:           8
        .value_kind:     global_buffer
      - .offset:         112
        .size:           8
        .value_kind:     by_value
      - .offset:         120
        .size:           8
        .value_kind:     by_value
      - .offset:         128
        .size:           8
        .value_kind:     by_value
      - .offset:         136
        .size:           4
        .value_kind:     by_value
      - .offset:         140
        .size:           4
        .value_kind:     by_value
      - .offset:         144
        .size:           4
        .value_kind:     hidden_block_count_x
      - .offset:         148
        .size:           4
        .value_kind:     hidden_block_count_y
      - .offset:         152
        .size:           4
        .value_kind:     hidden_block_count_z
      - .offset:         156
        .size:           2
        .value_kind:     hidden_group_size_x
      - .offset:         158
        .size:           2
        .value_kind:     hidden_group_size_y
      - .offset:         160
        .size:           2
        .value_kind:     hidden_group_size_z
      - .offset:         162
        .size:           2
        .value_kind:     hidden_remainder_x
      - .offset:         164
        .size:           2
        .value_kind:     hidden_remainder_y
      - .offset:         166
        .size:           2
        .value_kind:     hidden_remainder_z
      - .offset:         184
        .size:           8
        .value_kind:     hidden_global_offset_x
      - .offset:         192
        .size:           8
        .value_kind:     hidden_global_offset_y
      - .offset:         200
        .size:           8
        .value_kind:     hidden_global_offset_z
      - .offset:         208
        .size:           2
        .value_kind:     hidden_grid_dims
    .group_segment_fixed_size: 10496
    .kernarg_segment_align: 8
    .kernarg_segment_size: 400
    .language:       OpenCL C
    .language_version:
      - 2
      - 0
    .max_flat_workgroup_size: 128
    .name:           _ZL58rocblas_symv_kernel_lower_double_buffered_diagonal_genericILi32ELi4E24rocblas_internal_val_ptrIdEPKPKdPKPdEvbiT1_lT2_lllSA_lllS9_lT3_lllii
    .private_segment_fixed_size: 0
    .sgpr_count:     28
    .sgpr_spill_count: 0
    .symbol:         _ZL58rocblas_symv_kernel_lower_double_buffered_diagonal_genericILi32ELi4E24rocblas_internal_val_ptrIdEPKPKdPKPdEvbiT1_lT2_lllSA_lllS9_lT3_lllii.kd
    .uniform_work_group_size: 1
    .uses_dynamic_stack: false
    .vgpr_count:     40
    .vgpr_spill_count: 0
    .wavefront_size: 64
  - .agpr_count:     0
    .args:
      - .offset:         0
        .size:           1
        .value_kind:     by_value
      - .offset:         4
        .size:           4
        .value_kind:     by_value
      - .offset:         8
        .size:           8
        .value_kind:     by_value
      - .offset:         16
        .size:           8
        .value_kind:     by_value
      - .address_space:  global
        .offset:         24
        .size:           8
        .value_kind:     global_buffer
      - .offset:         32
        .size:           8
        .value_kind:     by_value
      - .offset:         40
        .size:           8
        .value_kind:     by_value
      - .offset:         48
        .size:           8
        .value_kind:     by_value
      - .address_space:  global
        .offset:         56
        .size:           8
        .value_kind:     global_buffer
      - .offset:         64
        .size:           8
        .value_kind:     by_value
      - .offset:         72
        .size:           8
        .value_kind:     by_value
      - .offset:         80
        .size:           8
        .value_kind:     by_value
      - .actual_access:  read_only
        .address_space:  global
        .offset:         88
        .size:           8
        .value_kind:     global_buffer
      - .offset:         96
        .size:           8
        .value_kind:     by_value
      - .offset:         104
        .size:           8
        .value_kind:     by_value
      - .offset:         112
        .size:           8
        .value_kind:     by_value
      - .offset:         120
        .size:           4
        .value_kind:     by_value
      - .offset:         124
        .size:           4
        .value_kind:     by_value
      - .offset:         128
        .size:           4
        .value_kind:     hidden_block_count_x
      - .offset:         132
        .size:           4
        .value_kind:     hidden_block_count_y
      - .offset:         136
        .size:           4
        .value_kind:     hidden_block_count_z
      - .offset:         140
        .size:           2
        .value_kind:     hidden_group_size_x
      - .offset:         142
        .size:           2
        .value_kind:     hidden_group_size_y
      - .offset:         144
        .size:           2
        .value_kind:     hidden_group_size_z
      - .offset:         146
        .size:           2
        .value_kind:     hidden_remainder_x
      - .offset:         148
        .size:           2
        .value_kind:     hidden_remainder_y
      - .offset:         150
        .size:           2
        .value_kind:     hidden_remainder_z
      - .offset:         168
        .size:           8
        .value_kind:     hidden_global_offset_x
      - .offset:         176
        .size:           8
        .value_kind:     hidden_global_offset_y
      - .offset:         184
        .size:           8
        .value_kind:     hidden_global_offset_z
      - .offset:         192
        .size:           2
        .value_kind:     hidden_grid_dims
    .group_segment_fixed_size: 6400
    .kernarg_segment_align: 8
    .kernarg_segment_size: 384
    .language:       OpenCL C
    .language_version:
      - 2
      - 0
    .max_flat_workgroup_size: 128
    .name:           _ZL62rocblas_symv_kernel_lower_double_buffered_non_diagonal_genericILi32ELi4ELi4E24rocblas_internal_val_ptrIdEPKPKdPKPdEvbiT2_lT3_lllSA_lllT4_lllii
    .private_segment_fixed_size: 0
    .sgpr_count:     40
    .sgpr_spill_count: 0
    .symbol:         _ZL62rocblas_symv_kernel_lower_double_buffered_non_diagonal_genericILi32ELi4ELi4E24rocblas_internal_val_ptrIdEPKPKdPKPdEvbiT2_lT3_lllSA_lllT4_lllii.kd
    .uniform_work_group_size: 1
    .uses_dynamic_stack: false
    .vgpr_count:     82
    .vgpr_spill_count: 0
    .wavefront_size: 64
  - .agpr_count:     0
    .args:
      - .offset:         0
        .size:           4
        .value_kind:     by_value
      - .address_space:  global
        .offset:         8
        .size:           8
        .value_kind:     global_buffer
      - .offset:         16
        .size:           8
        .value_kind:     by_value
      - .address_space:  global
        .offset:         24
        .size:           8
        .value_kind:     global_buffer
      - .offset:         32
        .size:           8
        .value_kind:     by_value
      - .offset:         40
        .size:           8
        .value_kind:     by_value
      - .offset:         48
        .size:           8
        .value_kind:     by_value
      - .address_space:  global
        .offset:         56
        .size:           8
        .value_kind:     global_buffer
      - .offset:         64
        .size:           8
        .value_kind:     by_value
      - .offset:         72
        .size:           8
        .value_kind:     by_value
      - .offset:         80
        .size:           8
        .value_kind:     by_value
      - .address_space:  global
        .offset:         88
        .size:           8
        .value_kind:     global_buffer
      - .offset:         96
        .size:           8
        .value_kind:     by_value
      - .address_space:  global
        .offset:         104
        .size:           8
        .value_kind:     global_buffer
      - .offset:         112
        .size:           4
        .value_kind:     by_value
      - .offset:         120
        .size:           4
        .value_kind:     hidden_block_count_x
      - .offset:         124
        .size:           4
        .value_kind:     hidden_block_count_y
      - .offset:         128
        .size:           4
        .value_kind:     hidden_block_count_z
      - .offset:         132
        .size:           2
        .value_kind:     hidden_group_size_x
      - .offset:         134
        .size:           2
        .value_kind:     hidden_group_size_y
      - .offset:         136
        .size:           2
        .value_kind:     hidden_group_size_z
      - .offset:         138
        .size:           2
        .value_kind:     hidden_remainder_x
      - .offset:         140
        .size:           2
        .value_kind:     hidden_remainder_y
      - .offset:         142
        .size:           2
        .value_kind:     hidden_remainder_z
      - .offset:         160
        .size:           8
        .value_kind:     hidden_global_offset_x
      - .offset:         168
        .size:           8
        .value_kind:     hidden_global_offset_y
      - .offset:         176
        .size:           8
        .value_kind:     hidden_global_offset_z
      - .offset:         184
        .size:           2
        .value_kind:     hidden_grid_dims
    .group_segment_fixed_size: 9600
    .kernarg_segment_align: 8
    .kernarg_segment_size: 376
    .language:       OpenCL C
    .language_version:
      - 2
      - 0
    .max_flat_workgroup_size: 256
    .name:           _ZL26rocblas_hemvn_kernel_lowerILb0ELi64ELi4ELi33ELi32ELi16ElPKdPKS1_PdEviT6_lT7_lT5_lS6_lS7_lS5_lT8_i
    .private_segment_fixed_size: 0
    .sgpr_count:     50
    .sgpr_spill_count: 0
    .symbol:         _ZL26rocblas_hemvn_kernel_lowerILb0ELi64ELi4ELi33ELi32ELi16ElPKdPKS1_PdEviT6_lT7_lT5_lS6_lS7_lS5_lT8_i.kd
    .uniform_work_group_size: 1
    .uses_dynamic_stack: false
    .vgpr_count:     124
    .vgpr_spill_count: 0
    .wavefront_size: 64
  - .agpr_count:     0
    .args:
      - .offset:         0
        .size:           4
        .value_kind:     by_value
      - .address_space:  global
        .offset:         8
        .size:           8
        .value_kind:     global_buffer
      - .offset:         16
        .size:           8
        .value_kind:     by_value
      - .address_space:  global
        .offset:         24
        .size:           8
        .value_kind:     global_buffer
      - .offset:         32
        .size:           8
        .value_kind:     by_value
      - .actual_access:  read_only
        .address_space:  global
        .offset:         40
        .size:           8
        .value_kind:     global_buffer
      - .offset:         48
        .size:           8
        .value_kind:     by_value
      - .offset:         56
        .size:           8
        .value_kind:     by_value
      - .offset:         64
        .size:           8
        .value_kind:     by_value
      - .actual_access:  read_only
        .address_space:  global
        .offset:         72
        .size:           8
        .value_kind:     global_buffer
      - .offset:         80
        .size:           4
        .value_kind:     by_value
      - .offset:         88
        .size:           4
        .value_kind:     hidden_block_count_x
      - .offset:         92
        .size:           4
        .value_kind:     hidden_block_count_y
      - .offset:         96
        .size:           4
        .value_kind:     hidden_block_count_z
      - .offset:         100
        .size:           2
        .value_kind:     hidden_group_size_x
      - .offset:         102
        .size:           2
        .value_kind:     hidden_group_size_y
      - .offset:         104
        .size:           2
        .value_kind:     hidden_group_size_z
      - .offset:         106
        .size:           2
        .value_kind:     hidden_remainder_x
      - .offset:         108
        .size:           2
        .value_kind:     hidden_remainder_y
      - .offset:         110
        .size:           2
        .value_kind:     hidden_remainder_z
      - .offset:         128
        .size:           8
        .value_kind:     hidden_global_offset_x
      - .offset:         136
        .size:           8
        .value_kind:     hidden_global_offset_y
      - .offset:         144
        .size:           8
        .value_kind:     hidden_global_offset_z
      - .offset:         152
        .size:           2
        .value_kind:     hidden_grid_dims
    .group_segment_fixed_size: 0
    .kernarg_segment_align: 8
    .kernarg_segment_size: 344
    .language:       OpenCL C
    .language_version:
      - 2
      - 0
    .max_flat_workgroup_size: 64
    .name:           _ZL36rocblas_hemvn_kernel_lower_block_sumILi64ElPKdPKPddEviT1_lS5_lT2_lT0_lPT3_i
    .private_segment_fixed_size: 0
    .sgpr_count:     28
    .sgpr_spill_count: 0
    .symbol:         _ZL36rocblas_hemvn_kernel_lower_block_sumILi64ElPKdPKPddEviT1_lS5_lT2_lT0_lPT3_i.kd
    .uniform_work_group_size: 1
    .uses_dynamic_stack: false
    .vgpr_count:     10
    .vgpr_spill_count: 0
    .wavefront_size: 64
  - .agpr_count:     0
    .args:
      - .offset:         0
        .size:           4
        .value_kind:     by_value
      - .address_space:  global
        .offset:         8
        .size:           8
        .value_kind:     global_buffer
      - .offset:         16
        .size:           8
        .value_kind:     by_value
      - .address_space:  global
        .offset:         24
        .size:           8
        .value_kind:     global_buffer
      - .offset:         32
        .size:           8
        .value_kind:     by_value
      - .offset:         40
        .size:           4
        .value_kind:     by_value
      - .offset:         48
        .size:           8
        .value_kind:     by_value
      - .address_space:  global
        .offset:         56
        .size:           8
        .value_kind:     global_buffer
      - .offset:         64
        .size:           8
        .value_kind:     by_value
      - .offset:         72
        .size:           4
        .value_kind:     by_value
      - .offset:         80
        .size:           8
        .value_kind:     by_value
      - .address_space:  global
        .offset:         88
        .size:           8
        .value_kind:     global_buffer
      - .offset:         96
        .size:           8
        .value_kind:     by_value
      - .address_space:  global
        .offset:         104
        .size:           8
        .value_kind:     global_buffer
      - .offset:         112
        .size:           4
        .value_kind:     by_value
      - .offset:         120
        .size:           4
        .value_kind:     hidden_block_count_x
      - .offset:         124
        .size:           4
        .value_kind:     hidden_block_count_y
      - .offset:         128
        .size:           4
        .value_kind:     hidden_block_count_z
      - .offset:         132
        .size:           2
        .value_kind:     hidden_group_size_x
      - .offset:         134
        .size:           2
        .value_kind:     hidden_group_size_y
      - .offset:         136
        .size:           2
        .value_kind:     hidden_group_size_z
      - .offset:         138
        .size:           2
        .value_kind:     hidden_remainder_x
      - .offset:         140
        .size:           2
        .value_kind:     hidden_remainder_y
      - .offset:         142
        .size:           2
        .value_kind:     hidden_remainder_z
      - .offset:         160
        .size:           8
        .value_kind:     hidden_global_offset_x
      - .offset:         168
        .size:           8
        .value_kind:     hidden_global_offset_y
      - .offset:         176
        .size:           8
        .value_kind:     hidden_global_offset_z
      - .offset:         184
        .size:           2
        .value_kind:     hidden_grid_dims
    .group_segment_fixed_size: 9600
    .kernarg_segment_align: 8
    .kernarg_segment_size: 376
    .language:       OpenCL C
    .language_version:
      - 2
      - 0
    .max_flat_workgroup_size: 256
    .name:           _ZL26rocblas_hemvn_kernel_lowerILb0ELi64ELi4ELi33ELi32ELi16EiPKdPKS1_PdEviT6_lT7_lT5_lS6_lS7_lS5_lT8_i
    .private_segment_fixed_size: 0
    .sgpr_count:     50
    .sgpr_spill_count: 0
    .symbol:         _ZL26rocblas_hemvn_kernel_lowerILb0ELi64ELi4ELi33ELi32ELi16EiPKdPKS1_PdEviT6_lT7_lT5_lS6_lS7_lS5_lT8_i.kd
    .uniform_work_group_size: 1
    .uses_dynamic_stack: false
    .vgpr_count:     122
    .vgpr_spill_count: 0
    .wavefront_size: 64
  - .agpr_count:     0
    .args:
      - .offset:         0
        .size:           4
        .value_kind:     by_value
      - .address_space:  global
        .offset:         8
        .size:           8
        .value_kind:     global_buffer
      - .offset:         16
        .size:           8
        .value_kind:     by_value
      - .address_space:  global
        .offset:         24
        .size:           8
        .value_kind:     global_buffer
      - .offset:         32
        .size:           8
        .value_kind:     by_value
      - .actual_access:  read_only
        .address_space:  global
        .offset:         40
        .size:           8
        .value_kind:     global_buffer
      - .offset:         48
        .size:           8
        .value_kind:     by_value
      - .offset:         56
        .size:           4
        .value_kind:     by_value
      - .offset:         64
        .size:           8
        .value_kind:     by_value
      - .actual_access:  read_only
        .address_space:  global
        .offset:         72
        .size:           8
        .value_kind:     global_buffer
      - .offset:         80
        .size:           4
        .value_kind:     by_value
      - .offset:         88
        .size:           4
        .value_kind:     hidden_block_count_x
      - .offset:         92
        .size:           4
        .value_kind:     hidden_block_count_y
      - .offset:         96
        .size:           4
        .value_kind:     hidden_block_count_z
      - .offset:         100
        .size:           2
        .value_kind:     hidden_group_size_x
      - .offset:         102
        .size:           2
        .value_kind:     hidden_group_size_y
      - .offset:         104
        .size:           2
        .value_kind:     hidden_group_size_z
      - .offset:         106
        .size:           2
        .value_kind:     hidden_remainder_x
      - .offset:         108
        .size:           2
        .value_kind:     hidden_remainder_y
      - .offset:         110
        .size:           2
        .value_kind:     hidden_remainder_z
      - .offset:         128
        .size:           8
        .value_kind:     hidden_global_offset_x
      - .offset:         136
        .size:           8
        .value_kind:     hidden_global_offset_y
      - .offset:         144
        .size:           8
        .value_kind:     hidden_global_offset_z
      - .offset:         152
        .size:           2
        .value_kind:     hidden_grid_dims
    .group_segment_fixed_size: 0
    .kernarg_segment_align: 8
    .kernarg_segment_size: 344
    .language:       OpenCL C
    .language_version:
      - 2
      - 0
    .max_flat_workgroup_size: 64
    .name:           _ZL36rocblas_hemvn_kernel_lower_block_sumILi64EiPKdPKPddEviT1_lS5_lT2_lT0_lPT3_i
    .private_segment_fixed_size: 0
    .sgpr_count:     28
    .sgpr_spill_count: 0
    .symbol:         _ZL36rocblas_hemvn_kernel_lower_block_sumILi64EiPKdPKPddEviT1_lS5_lT2_lT0_lPT3_i.kd
    .uniform_work_group_size: 1
    .uses_dynamic_stack: false
    .vgpr_count:     10
    .vgpr_spill_count: 0
    .wavefront_size: 64
  - .agpr_count:     0
    .args:
      - .offset:         0
        .size:           4
        .value_kind:     by_value
      - .offset:         8
        .size:           8
        .value_kind:     by_value
      - .offset:         16
        .size:           8
        .value_kind:     by_value
      - .address_space:  global
        .offset:         24
        .size:           8
        .value_kind:     global_buffer
      - .offset:         32
        .size:           8
        .value_kind:     by_value
      - .offset:         40
        .size:           8
        .value_kind:     by_value
      - .offset:         48
        .size:           8
        .value_kind:     by_value
      - .address_space:  global
        .offset:         56
        .size:           8
        .value_kind:     global_buffer
      - .offset:         64
        .size:           8
        .value_kind:     by_value
      - .offset:         72
        .size:           8
        .value_kind:     by_value
      - .offset:         80
        .size:           8
        .value_kind:     by_value
      - .offset:         88
        .size:           8
        .value_kind:     by_value
      - .offset:         96
        .size:           8
        .value_kind:     by_value
      - .address_space:  global
        .offset:         104
        .size:           8
        .value_kind:     global_buffer
      - .offset:         112
        .size:           4
        .value_kind:     by_value
      - .offset:         120
        .size:           4
        .value_kind:     hidden_block_count_x
      - .offset:         124
        .size:           4
        .value_kind:     hidden_block_count_y
      - .offset:         128
        .size:           4
        .value_kind:     hidden_block_count_z
      - .offset:         132
        .size:           2
        .value_kind:     hidden_group_size_x
      - .offset:         134
        .size:           2
        .value_kind:     hidden_group_size_y
      - .offset:         136
        .size:           2
        .value_kind:     hidden_group_size_z
      - .offset:         138
        .size:           2
        .value_kind:     hidden_remainder_x
      - .offset:         140
        .size:           2
        .value_kind:     hidden_remainder_y
      - .offset:         142
        .size:           2
        .value_kind:     hidden_remainder_z
      - .offset:         160
        .size:           8
        .value_kind:     hidden_global_offset_x
      - .offset:         168
        .size:           8
        .value_kind:     hidden_global_offset_y
      - .offset:         176
        .size:           8
        .value_kind:     hidden_global_offset_z
      - .offset:         184
        .size:           2
        .value_kind:     hidden_grid_dims
    .group_segment_fixed_size: 9600
    .kernarg_segment_align: 8
    .kernarg_segment_size: 376
    .language:       OpenCL C
    .language_version:
      - 2
      - 0
    .max_flat_workgroup_size: 256
    .name:           _ZL26rocblas_hemvn_kernel_lowerILb0ELi64ELi4ELi33ELi32ELi16EldPKPKdPdEviT6_lT7_lT5_lS6_lS7_lS5_lT8_i
    .private_segment_fixed_size: 0
    .sgpr_count:     50
    .sgpr_spill_count: 0
    .symbol:         _ZL26rocblas_hemvn_kernel_lowerILb0ELi64ELi4ELi33ELi32ELi16EldPKPKdPdEviT6_lT7_lT5_lS6_lS7_lS5_lT8_i.kd
    .uniform_work_group_size: 1
    .uses_dynamic_stack: false
    .vgpr_count:     124
    .vgpr_spill_count: 0
    .wavefront_size: 64
  - .agpr_count:     0
    .args:
      - .offset:         0
        .size:           4
        .value_kind:     by_value
      - .offset:         8
        .size:           8
        .value_kind:     by_value
      - .offset:         16
        .size:           8
        .value_kind:     by_value
      - .offset:         24
        .size:           8
        .value_kind:     by_value
      - .offset:         32
        .size:           8
        .value_kind:     by_value
      - .actual_access:  read_only
        .address_space:  global
        .offset:         40
        .size:           8
        .value_kind:     global_buffer
      - .offset:         48
        .size:           8
        .value_kind:     by_value
      - .offset:         56
        .size:           8
        .value_kind:     by_value
      - .offset:         64
        .size:           8
        .value_kind:     by_value
      - .actual_access:  read_only
        .address_space:  global
        .offset:         72
        .size:           8
        .value_kind:     global_buffer
      - .offset:         80
        .size:           4
        .value_kind:     by_value
      - .offset:         88
        .size:           4
        .value_kind:     hidden_block_count_x
      - .offset:         92
        .size:           4
        .value_kind:     hidden_block_count_y
      - .offset:         96
        .size:           4
        .value_kind:     hidden_block_count_z
      - .offset:         100
        .size:           2
        .value_kind:     hidden_group_size_x
      - .offset:         102
        .size:           2
        .value_kind:     hidden_group_size_y
      - .offset:         104
        .size:           2
        .value_kind:     hidden_group_size_z
      - .offset:         106
        .size:           2
        .value_kind:     hidden_remainder_x
      - .offset:         108
        .size:           2
        .value_kind:     hidden_remainder_y
      - .offset:         110
        .size:           2
        .value_kind:     hidden_remainder_z
      - .offset:         128
        .size:           8
        .value_kind:     hidden_global_offset_x
      - .offset:         136
        .size:           8
        .value_kind:     hidden_global_offset_y
      - .offset:         144
        .size:           8
        .value_kind:     hidden_global_offset_z
      - .offset:         152
        .size:           2
        .value_kind:     hidden_grid_dims
    .group_segment_fixed_size: 0
    .kernarg_segment_align: 8
    .kernarg_segment_size: 344
    .language:       OpenCL C
    .language_version:
      - 2
      - 0
    .max_flat_workgroup_size: 64
    .name:           _ZL36rocblas_hemvn_kernel_lower_block_sumILi64EldPKPddEviT1_lS3_lT2_lT0_lPT3_i
    .private_segment_fixed_size: 0
    .sgpr_count:     26
    .sgpr_spill_count: 0
    .symbol:         _ZL36rocblas_hemvn_kernel_lower_block_sumILi64EldPKPddEviT1_lS3_lT2_lT0_lPT3_i.kd
    .uniform_work_group_size: 1
    .uses_dynamic_stack: false
    .vgpr_count:     10
    .vgpr_spill_count: 0
    .wavefront_size: 64
  - .agpr_count:     0
    .args:
      - .offset:         0
        .size:           4
        .value_kind:     by_value
      - .offset:         8
        .size:           8
        .value_kind:     by_value
      - .offset:         16
        .size:           8
        .value_kind:     by_value
      - .address_space:  global
        .offset:         24
        .size:           8
        .value_kind:     global_buffer
      - .offset:         32
        .size:           8
        .value_kind:     by_value
      - .offset:         40
        .size:           4
        .value_kind:     by_value
      - .offset:         48
        .size:           8
        .value_kind:     by_value
      - .address_space:  global
        .offset:         56
        .size:           8
        .value_kind:     global_buffer
      - .offset:         64
        .size:           8
        .value_kind:     by_value
      - .offset:         72
        .size:           4
        .value_kind:     by_value
      - .offset:         80
        .size:           8
        .value_kind:     by_value
      - .offset:         88
        .size:           8
        .value_kind:     by_value
      - .offset:         96
        .size:           8
        .value_kind:     by_value
      - .address_space:  global
        .offset:         104
        .size:           8
        .value_kind:     global_buffer
      - .offset:         112
        .size:           4
        .value_kind:     by_value
      - .offset:         120
        .size:           4
        .value_kind:     hidden_block_count_x
      - .offset:         124
        .size:           4
        .value_kind:     hidden_block_count_y
      - .offset:         128
        .size:           4
        .value_kind:     hidden_block_count_z
      - .offset:         132
        .size:           2
        .value_kind:     hidden_group_size_x
      - .offset:         134
        .size:           2
        .value_kind:     hidden_group_size_y
      - .offset:         136
        .size:           2
        .value_kind:     hidden_group_size_z
      - .offset:         138
        .size:           2
        .value_kind:     hidden_remainder_x
      - .offset:         140
        .size:           2
        .value_kind:     hidden_remainder_y
      - .offset:         142
        .size:           2
        .value_kind:     hidden_remainder_z
      - .offset:         160
        .size:           8
        .value_kind:     hidden_global_offset_x
      - .offset:         168
        .size:           8
        .value_kind:     hidden_global_offset_y
      - .offset:         176
        .size:           8
        .value_kind:     hidden_global_offset_z
      - .offset:         184
        .size:           2
        .value_kind:     hidden_grid_dims
    .group_segment_fixed_size: 9600
    .kernarg_segment_align: 8
    .kernarg_segment_size: 376
    .language:       OpenCL C
    .language_version:
      - 2
      - 0
    .max_flat_workgroup_size: 256
    .name:           _ZL26rocblas_hemvn_kernel_lowerILb0ELi64ELi4ELi33ELi32ELi16EidPKPKdPdEviT6_lT7_lT5_lS6_lS7_lS5_lT8_i
    .private_segment_fixed_size: 0
    .sgpr_count:     50
    .sgpr_spill_count: 0
    .symbol:         _ZL26rocblas_hemvn_kernel_lowerILb0ELi64ELi4ELi33ELi32ELi16EidPKPKdPdEviT6_lT7_lT5_lS6_lS7_lS5_lT8_i.kd
    .uniform_work_group_size: 1
    .uses_dynamic_stack: false
    .vgpr_count:     122
    .vgpr_spill_count: 0
    .wavefront_size: 64
  - .agpr_count:     0
    .args:
      - .offset:         0
        .size:           4
        .value_kind:     by_value
      - .offset:         8
        .size:           8
        .value_kind:     by_value
      - .offset:         16
        .size:           8
        .value_kind:     by_value
      - .offset:         24
        .size:           8
        .value_kind:     by_value
      - .offset:         32
        .size:           8
        .value_kind:     by_value
      - .actual_access:  read_only
        .address_space:  global
        .offset:         40
        .size:           8
        .value_kind:     global_buffer
      - .offset:         48
        .size:           8
        .value_kind:     by_value
      - .offset:         56
        .size:           4
        .value_kind:     by_value
      - .offset:         64
        .size:           8
        .value_kind:     by_value
      - .actual_access:  read_only
        .address_space:  global
        .offset:         72
        .size:           8
        .value_kind:     global_buffer
      - .offset:         80
        .size:           4
        .value_kind:     by_value
      - .offset:         88
        .size:           4
        .value_kind:     hidden_block_count_x
      - .offset:         92
        .size:           4
        .value_kind:     hidden_block_count_y
      - .offset:         96
        .size:           4
        .value_kind:     hidden_block_count_z
      - .offset:         100
        .size:           2
        .value_kind:     hidden_group_size_x
      - .offset:         102
        .size:           2
        .value_kind:     hidden_group_size_y
      - .offset:         104
        .size:           2
        .value_kind:     hidden_group_size_z
      - .offset:         106
        .size:           2
        .value_kind:     hidden_remainder_x
      - .offset:         108
        .size:           2
        .value_kind:     hidden_remainder_y
      - .offset:         110
        .size:           2
        .value_kind:     hidden_remainder_z
      - .offset:         128
        .size:           8
        .value_kind:     hidden_global_offset_x
      - .offset:         136
        .size:           8
        .value_kind:     hidden_global_offset_y
      - .offset:         144
        .size:           8
        .value_kind:     hidden_global_offset_z
      - .offset:         152
        .size:           2
        .value_kind:     hidden_grid_dims
    .group_segment_fixed_size: 0
    .kernarg_segment_align: 8
    .kernarg_segment_size: 344
    .language:       OpenCL C
    .language_version:
      - 2
      - 0
    .max_flat_workgroup_size: 64
    .name:           _ZL36rocblas_hemvn_kernel_lower_block_sumILi64EidPKPddEviT1_lS3_lT2_lT0_lPT3_i
    .private_segment_fixed_size: 0
    .sgpr_count:     25
    .sgpr_spill_count: 0
    .symbol:         _ZL36rocblas_hemvn_kernel_lower_block_sumILi64EidPKPddEviT1_lS3_lT2_lT0_lPT3_i.kd
    .uniform_work_group_size: 1
    .uses_dynamic_stack: false
    .vgpr_count:     10
    .vgpr_spill_count: 0
    .wavefront_size: 64
  - .agpr_count:     0
    .args:
      - .offset:         0
        .size:           4
        .value_kind:     by_value
      - .address_space:  global
        .offset:         8
        .size:           8
        .value_kind:     global_buffer
      - .offset:         16
        .size:           8
        .value_kind:     by_value
      - .address_space:  global
        .offset:         24
        .size:           8
        .value_kind:     global_buffer
      - .offset:         32
        .size:           8
        .value_kind:     by_value
      - .offset:         40
        .size:           8
        .value_kind:     by_value
      - .offset:         48
        .size:           8
        .value_kind:     by_value
      - .address_space:  global
        .offset:         56
        .size:           8
        .value_kind:     global_buffer
      - .offset:         64
        .size:           8
        .value_kind:     by_value
      - .offset:         72
        .size:           8
        .value_kind:     by_value
      - .offset:         80
        .size:           8
        .value_kind:     by_value
      - .address_space:  global
        .offset:         88
        .size:           8
        .value_kind:     global_buffer
      - .offset:         96
        .size:           8
        .value_kind:     by_value
      - .address_space:  global
        .offset:         104
        .size:           8
        .value_kind:     global_buffer
      - .offset:         112
        .size:           4
        .value_kind:     by_value
      - .offset:         120
        .size:           4
        .value_kind:     hidden_block_count_x
      - .offset:         124
        .size:           4
        .value_kind:     hidden_block_count_y
      - .offset:         128
        .size:           4
        .value_kind:     hidden_block_count_z
      - .offset:         132
        .size:           2
        .value_kind:     hidden_group_size_x
      - .offset:         134
        .size:           2
        .value_kind:     hidden_group_size_y
      - .offset:         136
        .size:           2
        .value_kind:     hidden_group_size_z
      - .offset:         138
        .size:           2
        .value_kind:     hidden_remainder_x
      - .offset:         140
        .size:           2
        .value_kind:     hidden_remainder_y
      - .offset:         142
        .size:           2
        .value_kind:     hidden_remainder_z
      - .offset:         160
        .size:           8
        .value_kind:     hidden_global_offset_x
      - .offset:         168
        .size:           8
        .value_kind:     hidden_global_offset_y
      - .offset:         176
        .size:           8
        .value_kind:     hidden_global_offset_z
      - .offset:         184
        .size:           2
        .value_kind:     hidden_grid_dims
    .group_segment_fixed_size: 9600
    .kernarg_segment_align: 8
    .kernarg_segment_size: 376
    .language:       OpenCL C
    .language_version:
      - 2
      - 0
    .max_flat_workgroup_size: 256
    .name:           _ZL26rocblas_hemvn_kernel_upperILb0ELi64ELi4ELi33ELi32ELi16ElPK19rocblas_complex_numIfEPKS3_PS1_EviT6_lT7_lT5_lS8_lS9_lS7_lT8_i
    .private_segment_fixed_size: 0
    .sgpr_count:     46
    .sgpr_spill_count: 0
    .symbol:         _ZL26rocblas_hemvn_kernel_upperILb0ELi64ELi4ELi33ELi32ELi16ElPK19rocblas_complex_numIfEPKS3_PS1_EviT6_lT7_lT5_lS8_lS9_lS7_lT8_i.kd
    .uniform_work_group_size: 1
    .uses_dynamic_stack: false
    .vgpr_count:     150
    .vgpr_spill_count: 0
    .wavefront_size: 64
  - .agpr_count:     0
    .args:
      - .offset:         0
        .size:           4
        .value_kind:     by_value
      - .address_space:  global
        .offset:         8
        .size:           8
        .value_kind:     global_buffer
      - .offset:         16
        .size:           8
        .value_kind:     by_value
      - .address_space:  global
        .offset:         24
        .size:           8
        .value_kind:     global_buffer
      - .offset:         32
        .size:           8
        .value_kind:     by_value
      - .offset:         40
        .size:           4
        .value_kind:     by_value
      - .offset:         48
        .size:           8
        .value_kind:     by_value
      - .address_space:  global
        .offset:         56
        .size:           8
        .value_kind:     global_buffer
      - .offset:         64
        .size:           8
        .value_kind:     by_value
      - .offset:         72
        .size:           4
        .value_kind:     by_value
      - .offset:         80
        .size:           8
        .value_kind:     by_value
      - .address_space:  global
        .offset:         88
        .size:           8
        .value_kind:     global_buffer
      - .offset:         96
        .size:           8
        .value_kind:     by_value
      - .address_space:  global
        .offset:         104
        .size:           8
        .value_kind:     global_buffer
      - .offset:         112
        .size:           4
        .value_kind:     by_value
      - .offset:         120
        .size:           4
        .value_kind:     hidden_block_count_x
      - .offset:         124
        .size:           4
        .value_kind:     hidden_block_count_y
      - .offset:         128
        .size:           4
        .value_kind:     hidden_block_count_z
      - .offset:         132
        .size:           2
        .value_kind:     hidden_group_size_x
      - .offset:         134
        .size:           2
        .value_kind:     hidden_group_size_y
      - .offset:         136
        .size:           2
        .value_kind:     hidden_group_size_z
      - .offset:         138
        .size:           2
        .value_kind:     hidden_remainder_x
      - .offset:         140
        .size:           2
        .value_kind:     hidden_remainder_y
      - .offset:         142
        .size:           2
        .value_kind:     hidden_remainder_z
      - .offset:         160
        .size:           8
        .value_kind:     hidden_global_offset_x
      - .offset:         168
        .size:           8
        .value_kind:     hidden_global_offset_y
      - .offset:         176
        .size:           8
        .value_kind:     hidden_global_offset_z
      - .offset:         184
        .size:           2
        .value_kind:     hidden_grid_dims
    .group_segment_fixed_size: 9600
    .kernarg_segment_align: 8
    .kernarg_segment_size: 376
    .language:       OpenCL C
    .language_version:
      - 2
      - 0
    .max_flat_workgroup_size: 256
    .name:           _ZL26rocblas_hemvn_kernel_upperILb0ELi64ELi4ELi33ELi32ELi16EiPK19rocblas_complex_numIfEPKS3_PS1_EviT6_lT7_lT5_lS8_lS9_lS7_lT8_i
    .private_segment_fixed_size: 0
    .sgpr_count:     48
    .sgpr_spill_count: 0
    .symbol:         _ZL26rocblas_hemvn_kernel_upperILb0ELi64ELi4ELi33ELi32ELi16EiPK19rocblas_complex_numIfEPKS3_PS1_EviT6_lT7_lT5_lS8_lS9_lS7_lT8_i.kd
    .uniform_work_group_size: 1
    .uses_dynamic_stack: false
    .vgpr_count:     160
    .vgpr_spill_count: 0
    .wavefront_size: 64
  - .agpr_count:     0
    .args:
      - .offset:         0
        .size:           4
        .value_kind:     by_value
      - .offset:         4
        .size:           8
        .value_kind:     by_value
      - .offset:         16
        .size:           8
        .value_kind:     by_value
      - .address_space:  global
        .offset:         24
        .size:           8
        .value_kind:     global_buffer
      - .offset:         32
        .size:           8
        .value_kind:     by_value
      - .offset:         40
        .size:           8
        .value_kind:     by_value
      - .offset:         48
        .size:           8
        .value_kind:     by_value
      - .address_space:  global
        .offset:         56
        .size:           8
        .value_kind:     global_buffer
      - .offset:         64
        .size:           8
        .value_kind:     by_value
      - .offset:         72
        .size:           8
        .value_kind:     by_value
      - .offset:         80
        .size:           8
        .value_kind:     by_value
      - .offset:         88
        .size:           8
        .value_kind:     by_value
      - .offset:         96
        .size:           8
        .value_kind:     by_value
      - .address_space:  global
        .offset:         104
        .size:           8
        .value_kind:     global_buffer
      - .offset:         112
        .size:           4
        .value_kind:     by_value
      - .offset:         120
        .size:           4
        .value_kind:     hidden_block_count_x
      - .offset:         124
        .size:           4
        .value_kind:     hidden_block_count_y
      - .offset:         128
        .size:           4
        .value_kind:     hidden_block_count_z
      - .offset:         132
        .size:           2
        .value_kind:     hidden_group_size_x
      - .offset:         134
        .size:           2
        .value_kind:     hidden_group_size_y
      - .offset:         136
        .size:           2
        .value_kind:     hidden_group_size_z
      - .offset:         138
        .size:           2
        .value_kind:     hidden_remainder_x
      - .offset:         140
        .size:           2
        .value_kind:     hidden_remainder_y
      - .offset:         142
        .size:           2
        .value_kind:     hidden_remainder_z
      - .offset:         160
        .size:           8
        .value_kind:     hidden_global_offset_x
      - .offset:         168
        .size:           8
        .value_kind:     hidden_global_offset_y
      - .offset:         176
        .size:           8
        .value_kind:     hidden_global_offset_z
      - .offset:         184
        .size:           2
        .value_kind:     hidden_grid_dims
    .group_segment_fixed_size: 9600
    .kernarg_segment_align: 8
    .kernarg_segment_size: 376
    .language:       OpenCL C
    .language_version:
      - 2
      - 0
    .max_flat_workgroup_size: 256
    .name:           _ZL26rocblas_hemvn_kernel_upperILb0ELi64ELi4ELi33ELi32ELi16El19rocblas_complex_numIfEPKPKS1_PS1_EviT6_lT7_lT5_lS8_lS9_lS7_lT8_i
    .private_segment_fixed_size: 0
    .sgpr_count:     46
    .sgpr_spill_count: 0
    .symbol:         _ZL26rocblas_hemvn_kernel_upperILb0ELi64ELi4ELi33ELi32ELi16El19rocblas_complex_numIfEPKPKS1_PS1_EviT6_lT7_lT5_lS8_lS9_lS7_lT8_i.kd
    .uniform_work_group_size: 1
    .uses_dynamic_stack: false
    .vgpr_count:     150
    .vgpr_spill_count: 0
    .wavefront_size: 64
  - .agpr_count:     0
    .args:
      - .offset:         0
        .size:           4
        .value_kind:     by_value
      - .offset:         4
        .size:           8
        .value_kind:     by_value
      - .offset:         16
        .size:           8
        .value_kind:     by_value
      - .address_space:  global
        .offset:         24
        .size:           8
        .value_kind:     global_buffer
      - .offset:         32
        .size:           8
        .value_kind:     by_value
      - .offset:         40
        .size:           4
        .value_kind:     by_value
      - .offset:         48
        .size:           8
        .value_kind:     by_value
      - .address_space:  global
        .offset:         56
        .size:           8
        .value_kind:     global_buffer
      - .offset:         64
        .size:           8
        .value_kind:     by_value
      - .offset:         72
        .size:           4
        .value_kind:     by_value
      - .offset:         80
        .size:           8
        .value_kind:     by_value
      - .offset:         88
        .size:           8
        .value_kind:     by_value
      - .offset:         96
        .size:           8
        .value_kind:     by_value
      - .address_space:  global
        .offset:         104
        .size:           8
        .value_kind:     global_buffer
      - .offset:         112
        .size:           4
        .value_kind:     by_value
      - .offset:         120
        .size:           4
        .value_kind:     hidden_block_count_x
      - .offset:         124
        .size:           4
        .value_kind:     hidden_block_count_y
      - .offset:         128
        .size:           4
        .value_kind:     hidden_block_count_z
      - .offset:         132
        .size:           2
        .value_kind:     hidden_group_size_x
      - .offset:         134
        .size:           2
        .value_kind:     hidden_group_size_y
      - .offset:         136
        .size:           2
        .value_kind:     hidden_group_size_z
      - .offset:         138
        .size:           2
        .value_kind:     hidden_remainder_x
      - .offset:         140
        .size:           2
        .value_kind:     hidden_remainder_y
      - .offset:         142
        .size:           2
        .value_kind:     hidden_remainder_z
      - .offset:         160
        .size:           8
        .value_kind:     hidden_global_offset_x
      - .offset:         168
        .size:           8
        .value_kind:     hidden_global_offset_y
      - .offset:         176
        .size:           8
        .value_kind:     hidden_global_offset_z
      - .offset:         184
        .size:           2
        .value_kind:     hidden_grid_dims
    .group_segment_fixed_size: 9600
    .kernarg_segment_align: 8
    .kernarg_segment_size: 376
    .language:       OpenCL C
    .language_version:
      - 2
      - 0
    .max_flat_workgroup_size: 256
    .name:           _ZL26rocblas_hemvn_kernel_upperILb0ELi64ELi4ELi33ELi32ELi16Ei19rocblas_complex_numIfEPKPKS1_PS1_EviT6_lT7_lT5_lS8_lS9_lS7_lT8_i
    .private_segment_fixed_size: 0
    .sgpr_count:     48
    .sgpr_spill_count: 0
    .symbol:         _ZL26rocblas_hemvn_kernel_upperILb0ELi64ELi4ELi33ELi32ELi16Ei19rocblas_complex_numIfEPKPKS1_PS1_EviT6_lT7_lT5_lS8_lS9_lS7_lT8_i.kd
    .uniform_work_group_size: 1
    .uses_dynamic_stack: false
    .vgpr_count:     160
    .vgpr_spill_count: 0
    .wavefront_size: 64
  - .agpr_count:     0
    .args:
      - .offset:         0
        .size:           4
        .value_kind:     by_value
      - .address_space:  global
        .offset:         8
        .size:           8
        .value_kind:     global_buffer
      - .offset:         16
        .size:           8
        .value_kind:     by_value
      - .address_space:  global
        .offset:         24
        .size:           8
        .value_kind:     global_buffer
      - .offset:         32
        .size:           8
        .value_kind:     by_value
      - .offset:         40
        .size:           8
        .value_kind:     by_value
      - .offset:         48
        .size:           8
        .value_kind:     by_value
      - .address_space:  global
        .offset:         56
        .size:           8
        .value_kind:     global_buffer
      - .offset:         64
        .size:           8
        .value_kind:     by_value
      - .offset:         72
        .size:           8
        .value_kind:     by_value
      - .offset:         80
        .size:           8
        .value_kind:     by_value
      - .address_space:  global
        .offset:         88
        .size:           8
        .value_kind:     global_buffer
      - .offset:         96
        .size:           8
        .value_kind:     by_value
      - .address_space:  global
        .offset:         104
        .size:           8
        .value_kind:     global_buffer
      - .offset:         112
        .size:           4
        .value_kind:     by_value
      - .offset:         120
        .size:           4
        .value_kind:     hidden_block_count_x
      - .offset:         124
        .size:           4
        .value_kind:     hidden_block_count_y
      - .offset:         128
        .size:           4
        .value_kind:     hidden_block_count_z
      - .offset:         132
        .size:           2
        .value_kind:     hidden_group_size_x
      - .offset:         134
        .size:           2
        .value_kind:     hidden_group_size_y
      - .offset:         136
        .size:           2
        .value_kind:     hidden_group_size_z
      - .offset:         138
        .size:           2
        .value_kind:     hidden_remainder_x
      - .offset:         140
        .size:           2
        .value_kind:     hidden_remainder_y
      - .offset:         142
        .size:           2
        .value_kind:     hidden_remainder_z
      - .offset:         160
        .size:           8
        .value_kind:     hidden_global_offset_x
      - .offset:         168
        .size:           8
        .value_kind:     hidden_global_offset_y
      - .offset:         176
        .size:           8
        .value_kind:     hidden_global_offset_z
      - .offset:         184
        .size:           2
        .value_kind:     hidden_grid_dims
    .group_segment_fixed_size: 9600
    .kernarg_segment_align: 8
    .kernarg_segment_size: 376
    .language:       OpenCL C
    .language_version:
      - 2
      - 0
    .max_flat_workgroup_size: 256
    .name:           _ZL26rocblas_hemvn_kernel_lowerILb0ELi64ELi4ELi33ELi32ELi16ElPK19rocblas_complex_numIfEPKS3_PS1_EviT6_lT7_lT5_lS8_lS9_lS7_lT8_i
    .private_segment_fixed_size: 0
    .sgpr_count:     50
    .sgpr_spill_count: 0
    .symbol:         _ZL26rocblas_hemvn_kernel_lowerILb0ELi64ELi4ELi33ELi32ELi16ElPK19rocblas_complex_numIfEPKS3_PS1_EviT6_lT7_lT5_lS8_lS9_lS7_lT8_i.kd
    .uniform_work_group_size: 1
    .uses_dynamic_stack: false
    .vgpr_count:     120
    .vgpr_spill_count: 0
    .wavefront_size: 64
  - .agpr_count:     0
    .args:
      - .offset:         0
        .size:           4
        .value_kind:     by_value
      - .address_space:  global
        .offset:         8
        .size:           8
        .value_kind:     global_buffer
      - .offset:         16
        .size:           8
        .value_kind:     by_value
      - .address_space:  global
        .offset:         24
        .size:           8
        .value_kind:     global_buffer
      - .offset:         32
        .size:           8
        .value_kind:     by_value
      - .offset:         40
        .size:           4
        .value_kind:     by_value
      - .offset:         48
        .size:           8
        .value_kind:     by_value
      - .address_space:  global
        .offset:         56
        .size:           8
        .value_kind:     global_buffer
      - .offset:         64
        .size:           8
        .value_kind:     by_value
      - .offset:         72
        .size:           4
        .value_kind:     by_value
      - .offset:         80
        .size:           8
        .value_kind:     by_value
      - .address_space:  global
        .offset:         88
        .size:           8
        .value_kind:     global_buffer
      - .offset:         96
        .size:           8
        .value_kind:     by_value
      - .address_space:  global
        .offset:         104
        .size:           8
        .value_kind:     global_buffer
      - .offset:         112
        .size:           4
        .value_kind:     by_value
      - .offset:         120
        .size:           4
        .value_kind:     hidden_block_count_x
      - .offset:         124
        .size:           4
        .value_kind:     hidden_block_count_y
      - .offset:         128
        .size:           4
        .value_kind:     hidden_block_count_z
      - .offset:         132
        .size:           2
        .value_kind:     hidden_group_size_x
      - .offset:         134
        .size:           2
        .value_kind:     hidden_group_size_y
      - .offset:         136
        .size:           2
        .value_kind:     hidden_group_size_z
      - .offset:         138
        .size:           2
        .value_kind:     hidden_remainder_x
      - .offset:         140
        .size:           2
        .value_kind:     hidden_remainder_y
      - .offset:         142
        .size:           2
        .value_kind:     hidden_remainder_z
      - .offset:         160
        .size:           8
        .value_kind:     hidden_global_offset_x
      - .offset:         168
        .size:           8
        .value_kind:     hidden_global_offset_y
      - .offset:         176
        .size:           8
        .value_kind:     hidden_global_offset_z
      - .offset:         184
        .size:           2
        .value_kind:     hidden_grid_dims
    .group_segment_fixed_size: 9600
    .kernarg_segment_align: 8
    .kernarg_segment_size: 376
    .language:       OpenCL C
    .language_version:
      - 2
      - 0
    .max_flat_workgroup_size: 256
    .name:           _ZL26rocblas_hemvn_kernel_lowerILb0ELi64ELi4ELi33ELi32ELi16EiPK19rocblas_complex_numIfEPKS3_PS1_EviT6_lT7_lT5_lS8_lS9_lS7_lT8_i
    .private_segment_fixed_size: 0
    .sgpr_count:     50
    .sgpr_spill_count: 0
    .symbol:         _ZL26rocblas_hemvn_kernel_lowerILb0ELi64ELi4ELi33ELi32ELi16EiPK19rocblas_complex_numIfEPKS3_PS1_EviT6_lT7_lT5_lS8_lS9_lS7_lT8_i.kd
    .uniform_work_group_size: 1
    .uses_dynamic_stack: false
    .vgpr_count:     118
    .vgpr_spill_count: 0
    .wavefront_size: 64
  - .agpr_count:     0
    .args:
      - .offset:         0
        .size:           4
        .value_kind:     by_value
      - .offset:         4
        .size:           8
        .value_kind:     by_value
      - .offset:         16
        .size:           8
        .value_kind:     by_value
      - .address_space:  global
        .offset:         24
        .size:           8
        .value_kind:     global_buffer
      - .offset:         32
        .size:           8
        .value_kind:     by_value
      - .offset:         40
        .size:           8
        .value_kind:     by_value
      - .offset:         48
        .size:           8
        .value_kind:     by_value
      - .address_space:  global
        .offset:         56
        .size:           8
        .value_kind:     global_buffer
      - .offset:         64
        .size:           8
        .value_kind:     by_value
      - .offset:         72
        .size:           8
        .value_kind:     by_value
      - .offset:         80
        .size:           8
        .value_kind:     by_value
      - .offset:         88
        .size:           8
        .value_kind:     by_value
      - .offset:         96
        .size:           8
        .value_kind:     by_value
      - .address_space:  global
        .offset:         104
        .size:           8
        .value_kind:     global_buffer
      - .offset:         112
        .size:           4
        .value_kind:     by_value
      - .offset:         120
        .size:           4
        .value_kind:     hidden_block_count_x
      - .offset:         124
        .size:           4
        .value_kind:     hidden_block_count_y
      - .offset:         128
        .size:           4
        .value_kind:     hidden_block_count_z
      - .offset:         132
        .size:           2
        .value_kind:     hidden_group_size_x
      - .offset:         134
        .size:           2
        .value_kind:     hidden_group_size_y
      - .offset:         136
        .size:           2
        .value_kind:     hidden_group_size_z
      - .offset:         138
        .size:           2
        .value_kind:     hidden_remainder_x
      - .offset:         140
        .size:           2
        .value_kind:     hidden_remainder_y
      - .offset:         142
        .size:           2
        .value_kind:     hidden_remainder_z
      - .offset:         160
        .size:           8
        .value_kind:     hidden_global_offset_x
      - .offset:         168
        .size:           8
        .value_kind:     hidden_global_offset_y
      - .offset:         176
        .size:           8
        .value_kind:     hidden_global_offset_z
      - .offset:         184
        .size:           2
        .value_kind:     hidden_grid_dims
    .group_segment_fixed_size: 9600
    .kernarg_segment_align: 8
    .kernarg_segment_size: 376
    .language:       OpenCL C
    .language_version:
      - 2
      - 0
    .max_flat_workgroup_size: 256
    .name:           _ZL26rocblas_hemvn_kernel_lowerILb0ELi64ELi4ELi33ELi32ELi16El19rocblas_complex_numIfEPKPKS1_PS1_EviT6_lT7_lT5_lS8_lS9_lS7_lT8_i
    .private_segment_fixed_size: 0
    .sgpr_count:     50
    .sgpr_spill_count: 0
    .symbol:         _ZL26rocblas_hemvn_kernel_lowerILb0ELi64ELi4ELi33ELi32ELi16El19rocblas_complex_numIfEPKPKS1_PS1_EviT6_lT7_lT5_lS8_lS9_lS7_lT8_i.kd
    .uniform_work_group_size: 1
    .uses_dynamic_stack: false
    .vgpr_count:     120
    .vgpr_spill_count: 0
    .wavefront_size: 64
  - .agpr_count:     0
    .args:
      - .offset:         0
        .size:           4
        .value_kind:     by_value
      - .offset:         4
        .size:           8
        .value_kind:     by_value
      - .offset:         16
        .size:           8
        .value_kind:     by_value
      - .address_space:  global
        .offset:         24
        .size:           8
        .value_kind:     global_buffer
      - .offset:         32
        .size:           8
        .value_kind:     by_value
      - .offset:         40
        .size:           4
        .value_kind:     by_value
      - .offset:         48
        .size:           8
        .value_kind:     by_value
      - .address_space:  global
        .offset:         56
        .size:           8
        .value_kind:     global_buffer
      - .offset:         64
        .size:           8
        .value_kind:     by_value
      - .offset:         72
        .size:           4
        .value_kind:     by_value
      - .offset:         80
        .size:           8
        .value_kind:     by_value
      - .offset:         88
        .size:           8
        .value_kind:     by_value
      - .offset:         96
        .size:           8
        .value_kind:     by_value
      - .address_space:  global
        .offset:         104
        .size:           8
        .value_kind:     global_buffer
      - .offset:         112
        .size:           4
        .value_kind:     by_value
      - .offset:         120
        .size:           4
        .value_kind:     hidden_block_count_x
      - .offset:         124
        .size:           4
        .value_kind:     hidden_block_count_y
      - .offset:         128
        .size:           4
        .value_kind:     hidden_block_count_z
      - .offset:         132
        .size:           2
        .value_kind:     hidden_group_size_x
      - .offset:         134
        .size:           2
        .value_kind:     hidden_group_size_y
      - .offset:         136
        .size:           2
        .value_kind:     hidden_group_size_z
      - .offset:         138
        .size:           2
        .value_kind:     hidden_remainder_x
      - .offset:         140
        .size:           2
        .value_kind:     hidden_remainder_y
      - .offset:         142
        .size:           2
        .value_kind:     hidden_remainder_z
      - .offset:         160
        .size:           8
        .value_kind:     hidden_global_offset_x
      - .offset:         168
        .size:           8
        .value_kind:     hidden_global_offset_y
      - .offset:         176
        .size:           8
        .value_kind:     hidden_global_offset_z
      - .offset:         184
        .size:           2
        .value_kind:     hidden_grid_dims
    .group_segment_fixed_size: 9600
    .kernarg_segment_align: 8
    .kernarg_segment_size: 376
    .language:       OpenCL C
    .language_version:
      - 2
      - 0
    .max_flat_workgroup_size: 256
    .name:           _ZL26rocblas_hemvn_kernel_lowerILb0ELi64ELi4ELi33ELi32ELi16Ei19rocblas_complex_numIfEPKPKS1_PS1_EviT6_lT7_lT5_lS8_lS9_lS7_lT8_i
    .private_segment_fixed_size: 0
    .sgpr_count:     50
    .sgpr_spill_count: 0
    .symbol:         _ZL26rocblas_hemvn_kernel_lowerILb0ELi64ELi4ELi33ELi32ELi16Ei19rocblas_complex_numIfEPKPKS1_PS1_EviT6_lT7_lT5_lS8_lS9_lS7_lT8_i.kd
    .uniform_work_group_size: 1
    .uses_dynamic_stack: false
    .vgpr_count:     118
    .vgpr_spill_count: 0
    .wavefront_size: 64
  - .agpr_count:     0
    .args:
      - .offset:         0
        .size:           4
        .value_kind:     by_value
      - .address_space:  global
        .offset:         8
        .size:           8
        .value_kind:     global_buffer
      - .offset:         16
        .size:           8
        .value_kind:     by_value
      - .address_space:  global
        .offset:         24
        .size:           8
        .value_kind:     global_buffer
      - .offset:         32
        .size:           8
        .value_kind:     by_value
      - .offset:         40
        .size:           8
        .value_kind:     by_value
      - .offset:         48
        .size:           8
        .value_kind:     by_value
      - .address_space:  global
        .offset:         56
        .size:           8
        .value_kind:     global_buffer
      - .offset:         64
        .size:           8
        .value_kind:     by_value
      - .offset:         72
        .size:           8
        .value_kind:     by_value
      - .offset:         80
        .size:           8
        .value_kind:     by_value
      - .address_space:  global
        .offset:         88
        .size:           8
        .value_kind:     global_buffer
      - .offset:         96
        .size:           8
        .value_kind:     by_value
      - .address_space:  global
        .offset:         104
        .size:           8
        .value_kind:     global_buffer
      - .offset:         112
        .size:           4
        .value_kind:     by_value
      - .offset:         120
        .size:           4
        .value_kind:     hidden_block_count_x
      - .offset:         124
        .size:           4
        .value_kind:     hidden_block_count_y
      - .offset:         128
        .size:           4
        .value_kind:     hidden_block_count_z
      - .offset:         132
        .size:           2
        .value_kind:     hidden_group_size_x
      - .offset:         134
        .size:           2
        .value_kind:     hidden_group_size_y
      - .offset:         136
        .size:           2
        .value_kind:     hidden_group_size_z
      - .offset:         138
        .size:           2
        .value_kind:     hidden_remainder_x
      - .offset:         140
        .size:           2
        .value_kind:     hidden_remainder_y
      - .offset:         142
        .size:           2
        .value_kind:     hidden_remainder_z
      - .offset:         160
        .size:           8
        .value_kind:     hidden_global_offset_x
      - .offset:         168
        .size:           8
        .value_kind:     hidden_global_offset_y
      - .offset:         176
        .size:           8
        .value_kind:     hidden_global_offset_z
      - .offset:         184
        .size:           2
        .value_kind:     hidden_grid_dims
    .group_segment_fixed_size: 19200
    .kernarg_segment_align: 8
    .kernarg_segment_size: 376
    .language:       OpenCL C
    .language_version:
      - 2
      - 0
    .max_flat_workgroup_size: 256
    .name:           _ZL26rocblas_hemvn_kernel_upperILb0ELi64ELi4ELi33ELi32ELi16ElPK19rocblas_complex_numIdEPKS3_PS1_EviT6_lT7_lT5_lS8_lS9_lS7_lT8_i
    .private_segment_fixed_size: 0
    .sgpr_count:     46
    .sgpr_spill_count: 0
    .symbol:         _ZL26rocblas_hemvn_kernel_upperILb0ELi64ELi4ELi33ELi32ELi16ElPK19rocblas_complex_numIdEPKS3_PS1_EviT6_lT7_lT5_lS8_lS9_lS7_lT8_i.kd
    .uniform_work_group_size: 1
    .uses_dynamic_stack: false
    .vgpr_count:     230
    .vgpr_spill_count: 0
    .wavefront_size: 64
  - .agpr_count:     0
    .args:
      - .offset:         0
        .size:           4
        .value_kind:     by_value
      - .address_space:  global
        .offset:         8
        .size:           8
        .value_kind:     global_buffer
      - .offset:         16
        .size:           8
        .value_kind:     by_value
      - .address_space:  global
        .offset:         24
        .size:           8
        .value_kind:     global_buffer
      - .offset:         32
        .size:           8
        .value_kind:     by_value
      - .offset:         40
        .size:           4
        .value_kind:     by_value
      - .offset:         48
        .size:           8
        .value_kind:     by_value
      - .address_space:  global
        .offset:         56
        .size:           8
        .value_kind:     global_buffer
      - .offset:         64
        .size:           8
        .value_kind:     by_value
      - .offset:         72
        .size:           4
        .value_kind:     by_value
      - .offset:         80
        .size:           8
        .value_kind:     by_value
      - .address_space:  global
        .offset:         88
        .size:           8
        .value_kind:     global_buffer
      - .offset:         96
        .size:           8
        .value_kind:     by_value
      - .address_space:  global
        .offset:         104
        .size:           8
        .value_kind:     global_buffer
      - .offset:         112
        .size:           4
        .value_kind:     by_value
      - .offset:         120
        .size:           4
        .value_kind:     hidden_block_count_x
      - .offset:         124
        .size:           4
        .value_kind:     hidden_block_count_y
      - .offset:         128
        .size:           4
        .value_kind:     hidden_block_count_z
      - .offset:         132
        .size:           2
        .value_kind:     hidden_group_size_x
      - .offset:         134
        .size:           2
        .value_kind:     hidden_group_size_y
      - .offset:         136
        .size:           2
        .value_kind:     hidden_group_size_z
      - .offset:         138
        .size:           2
        .value_kind:     hidden_remainder_x
      - .offset:         140
        .size:           2
        .value_kind:     hidden_remainder_y
      - .offset:         142
        .size:           2
        .value_kind:     hidden_remainder_z
      - .offset:         160
        .size:           8
        .value_kind:     hidden_global_offset_x
      - .offset:         168
        .size:           8
        .value_kind:     hidden_global_offset_y
      - .offset:         176
        .size:           8
        .value_kind:     hidden_global_offset_z
      - .offset:         184
        .size:           2
        .value_kind:     hidden_grid_dims
    .group_segment_fixed_size: 19200
    .kernarg_segment_align: 8
    .kernarg_segment_size: 376
    .language:       OpenCL C
    .language_version:
      - 2
      - 0
    .max_flat_workgroup_size: 256
    .name:           _ZL26rocblas_hemvn_kernel_upperILb0ELi64ELi4ELi33ELi32ELi16EiPK19rocblas_complex_numIdEPKS3_PS1_EviT6_lT7_lT5_lS8_lS9_lS7_lT8_i
    .private_segment_fixed_size: 0
    .sgpr_count:     48
    .sgpr_spill_count: 0
    .symbol:         _ZL26rocblas_hemvn_kernel_upperILb0ELi64ELi4ELi33ELi32ELi16EiPK19rocblas_complex_numIdEPKS3_PS1_EviT6_lT7_lT5_lS8_lS9_lS7_lT8_i.kd
    .uniform_work_group_size: 1
    .uses_dynamic_stack: false
    .vgpr_count:     240
    .vgpr_spill_count: 0
    .wavefront_size: 64
  - .agpr_count:     0
    .args:
      - .offset:         0
        .size:           4
        .value_kind:     by_value
      - .offset:         8
        .size:           16
        .value_kind:     by_value
      - .offset:         24
        .size:           8
        .value_kind:     by_value
      - .address_space:  global
        .offset:         32
        .size:           8
        .value_kind:     global_buffer
      - .offset:         40
        .size:           8
        .value_kind:     by_value
      - .offset:         48
        .size:           8
        .value_kind:     by_value
      - .offset:         56
        .size:           8
        .value_kind:     by_value
      - .address_space:  global
        .offset:         64
        .size:           8
        .value_kind:     global_buffer
      - .offset:         72
        .size:           8
        .value_kind:     by_value
      - .offset:         80
        .size:           8
        .value_kind:     by_value
      - .offset:         88
        .size:           8
        .value_kind:     by_value
      - .offset:         96
        .size:           16
        .value_kind:     by_value
      - .offset:         112
        .size:           8
        .value_kind:     by_value
      - .address_space:  global
        .offset:         120
        .size:           8
        .value_kind:     global_buffer
      - .offset:         128
        .size:           4
        .value_kind:     by_value
      - .offset:         136
        .size:           4
        .value_kind:     hidden_block_count_x
      - .offset:         140
        .size:           4
        .value_kind:     hidden_block_count_y
      - .offset:         144
        .size:           4
        .value_kind:     hidden_block_count_z
      - .offset:         148
        .size:           2
        .value_kind:     hidden_group_size_x
      - .offset:         150
        .size:           2
        .value_kind:     hidden_group_size_y
      - .offset:         152
        .size:           2
        .value_kind:     hidden_group_size_z
      - .offset:         154
        .size:           2
        .value_kind:     hidden_remainder_x
      - .offset:         156
        .size:           2
        .value_kind:     hidden_remainder_y
      - .offset:         158
        .size:           2
        .value_kind:     hidden_remainder_z
      - .offset:         176
        .size:           8
        .value_kind:     hidden_global_offset_x
      - .offset:         184
        .size:           8
        .value_kind:     hidden_global_offset_y
      - .offset:         192
        .size:           8
        .value_kind:     hidden_global_offset_z
      - .offset:         200
        .size:           2
        .value_kind:     hidden_grid_dims
    .group_segment_fixed_size: 19200
    .kernarg_segment_align: 8
    .kernarg_segment_size: 392
    .language:       OpenCL C
    .language_version:
      - 2
      - 0
    .max_flat_workgroup_size: 256
    .name:           _ZL26rocblas_hemvn_kernel_upperILb0ELi64ELi4ELi33ELi32ELi16El19rocblas_complex_numIdEPKPKS1_PS1_EviT6_lT7_lT5_lS8_lS9_lS7_lT8_i
    .private_segment_fixed_size: 0
    .sgpr_count:     46
    .sgpr_spill_count: 0
    .symbol:         _ZL26rocblas_hemvn_kernel_upperILb0ELi64ELi4ELi33ELi32ELi16El19rocblas_complex_numIdEPKPKS1_PS1_EviT6_lT7_lT5_lS8_lS9_lS7_lT8_i.kd
    .uniform_work_group_size: 1
    .uses_dynamic_stack: false
    .vgpr_count:     230
    .vgpr_spill_count: 0
    .wavefront_size: 64
  - .agpr_count:     0
    .args:
      - .offset:         0
        .size:           4
        .value_kind:     by_value
      - .offset:         8
        .size:           16
        .value_kind:     by_value
      - .offset:         24
        .size:           8
        .value_kind:     by_value
      - .address_space:  global
        .offset:         32
        .size:           8
        .value_kind:     global_buffer
      - .offset:         40
        .size:           8
        .value_kind:     by_value
      - .offset:         48
        .size:           4
        .value_kind:     by_value
      - .offset:         56
        .size:           8
        .value_kind:     by_value
      - .address_space:  global
        .offset:         64
        .size:           8
        .value_kind:     global_buffer
      - .offset:         72
        .size:           8
        .value_kind:     by_value
      - .offset:         80
        .size:           4
        .value_kind:     by_value
      - .offset:         88
        .size:           8
        .value_kind:     by_value
      - .offset:         96
        .size:           16
        .value_kind:     by_value
      - .offset:         112
        .size:           8
        .value_kind:     by_value
      - .address_space:  global
        .offset:         120
        .size:           8
        .value_kind:     global_buffer
      - .offset:         128
        .size:           4
        .value_kind:     by_value
      - .offset:         136
        .size:           4
        .value_kind:     hidden_block_count_x
      - .offset:         140
        .size:           4
        .value_kind:     hidden_block_count_y
      - .offset:         144
        .size:           4
        .value_kind:     hidden_block_count_z
      - .offset:         148
        .size:           2
        .value_kind:     hidden_group_size_x
      - .offset:         150
        .size:           2
        .value_kind:     hidden_group_size_y
      - .offset:         152
        .size:           2
        .value_kind:     hidden_group_size_z
      - .offset:         154
        .size:           2
        .value_kind:     hidden_remainder_x
      - .offset:         156
        .size:           2
        .value_kind:     hidden_remainder_y
      - .offset:         158
        .size:           2
        .value_kind:     hidden_remainder_z
      - .offset:         176
        .size:           8
        .value_kind:     hidden_global_offset_x
      - .offset:         184
        .size:           8
        .value_kind:     hidden_global_offset_y
      - .offset:         192
        .size:           8
        .value_kind:     hidden_global_offset_z
      - .offset:         200
        .size:           2
        .value_kind:     hidden_grid_dims
    .group_segment_fixed_size: 19200
    .kernarg_segment_align: 8
    .kernarg_segment_size: 392
    .language:       OpenCL C
    .language_version:
      - 2
      - 0
    .max_flat_workgroup_size: 256
    .name:           _ZL26rocblas_hemvn_kernel_upperILb0ELi64ELi4ELi33ELi32ELi16Ei19rocblas_complex_numIdEPKPKS1_PS1_EviT6_lT7_lT5_lS8_lS9_lS7_lT8_i
    .private_segment_fixed_size: 0
    .sgpr_count:     48
    .sgpr_spill_count: 0
    .symbol:         _ZL26rocblas_hemvn_kernel_upperILb0ELi64ELi4ELi33ELi32ELi16Ei19rocblas_complex_numIdEPKPKS1_PS1_EviT6_lT7_lT5_lS8_lS9_lS7_lT8_i.kd
    .uniform_work_group_size: 1
    .uses_dynamic_stack: false
    .vgpr_count:     240
    .vgpr_spill_count: 0
    .wavefront_size: 64
  - .agpr_count:     0
    .args:
      - .offset:         0
        .size:           4
        .value_kind:     by_value
      - .address_space:  global
        .offset:         8
        .size:           8
        .value_kind:     global_buffer
      - .offset:         16
        .size:           8
        .value_kind:     by_value
      - .address_space:  global
        .offset:         24
        .size:           8
        .value_kind:     global_buffer
      - .offset:         32
        .size:           8
        .value_kind:     by_value
      - .offset:         40
        .size:           8
        .value_kind:     by_value
      - .offset:         48
        .size:           8
        .value_kind:     by_value
      - .address_space:  global
        .offset:         56
        .size:           8
        .value_kind:     global_buffer
      - .offset:         64
        .size:           8
        .value_kind:     by_value
      - .offset:         72
        .size:           8
        .value_kind:     by_value
      - .offset:         80
        .size:           8
        .value_kind:     by_value
      - .address_space:  global
        .offset:         88
        .size:           8
        .value_kind:     global_buffer
      - .offset:         96
        .size:           8
        .value_kind:     by_value
      - .address_space:  global
        .offset:         104
        .size:           8
        .value_kind:     global_buffer
      - .offset:         112
        .size:           4
        .value_kind:     by_value
      - .offset:         120
        .size:           4
        .value_kind:     hidden_block_count_x
      - .offset:         124
        .size:           4
        .value_kind:     hidden_block_count_y
      - .offset:         128
        .size:           4
        .value_kind:     hidden_block_count_z
      - .offset:         132
        .size:           2
        .value_kind:     hidden_group_size_x
      - .offset:         134
        .size:           2
        .value_kind:     hidden_group_size_y
      - .offset:         136
        .size:           2
        .value_kind:     hidden_group_size_z
      - .offset:         138
        .size:           2
        .value_kind:     hidden_remainder_x
      - .offset:         140
        .size:           2
        .value_kind:     hidden_remainder_y
      - .offset:         142
        .size:           2
        .value_kind:     hidden_remainder_z
      - .offset:         160
        .size:           8
        .value_kind:     hidden_global_offset_x
      - .offset:         168
        .size:           8
        .value_kind:     hidden_global_offset_y
      - .offset:         176
        .size:           8
        .value_kind:     hidden_global_offset_z
      - .offset:         184
        .size:           2
        .value_kind:     hidden_grid_dims
    .group_segment_fixed_size: 19200
    .kernarg_segment_align: 8
    .kernarg_segment_size: 376
    .language:       OpenCL C
    .language_version:
      - 2
      - 0
    .max_flat_workgroup_size: 256
    .name:           _ZL26rocblas_hemvn_kernel_lowerILb0ELi64ELi4ELi33ELi32ELi16ElPK19rocblas_complex_numIdEPKS3_PS1_EviT6_lT7_lT5_lS8_lS9_lS7_lT8_i
    .private_segment_fixed_size: 0
    .sgpr_count:     48
    .sgpr_spill_count: 0
    .symbol:         _ZL26rocblas_hemvn_kernel_lowerILb0ELi64ELi4ELi33ELi32ELi16ElPK19rocblas_complex_numIdEPKS3_PS1_EviT6_lT7_lT5_lS8_lS9_lS7_lT8_i.kd
    .uniform_work_group_size: 1
    .uses_dynamic_stack: false
    .vgpr_count:     190
    .vgpr_spill_count: 0
    .wavefront_size: 64
  - .agpr_count:     0
    .args:
      - .offset:         0
        .size:           4
        .value_kind:     by_value
      - .address_space:  global
        .offset:         8
        .size:           8
        .value_kind:     global_buffer
      - .offset:         16
        .size:           8
        .value_kind:     by_value
      - .address_space:  global
        .offset:         24
        .size:           8
        .value_kind:     global_buffer
      - .offset:         32
        .size:           8
        .value_kind:     by_value
      - .offset:         40
        .size:           4
        .value_kind:     by_value
      - .offset:         48
        .size:           8
        .value_kind:     by_value
      - .address_space:  global
        .offset:         56
        .size:           8
        .value_kind:     global_buffer
      - .offset:         64
        .size:           8
        .value_kind:     by_value
      - .offset:         72
        .size:           4
        .value_kind:     by_value
      - .offset:         80
        .size:           8
        .value_kind:     by_value
      - .address_space:  global
        .offset:         88
        .size:           8
        .value_kind:     global_buffer
      - .offset:         96
        .size:           8
        .value_kind:     by_value
      - .address_space:  global
        .offset:         104
        .size:           8
        .value_kind:     global_buffer
      - .offset:         112
        .size:           4
        .value_kind:     by_value
      - .offset:         120
        .size:           4
        .value_kind:     hidden_block_count_x
      - .offset:         124
        .size:           4
        .value_kind:     hidden_block_count_y
      - .offset:         128
        .size:           4
        .value_kind:     hidden_block_count_z
      - .offset:         132
        .size:           2
        .value_kind:     hidden_group_size_x
      - .offset:         134
        .size:           2
        .value_kind:     hidden_group_size_y
      - .offset:         136
        .size:           2
        .value_kind:     hidden_group_size_z
      - .offset:         138
        .size:           2
        .value_kind:     hidden_remainder_x
      - .offset:         140
        .size:           2
        .value_kind:     hidden_remainder_y
      - .offset:         142
        .size:           2
        .value_kind:     hidden_remainder_z
      - .offset:         160
        .size:           8
        .value_kind:     hidden_global_offset_x
      - .offset:         168
        .size:           8
        .value_kind:     hidden_global_offset_y
      - .offset:         176
        .size:           8
        .value_kind:     hidden_global_offset_z
      - .offset:         184
        .size:           2
        .value_kind:     hidden_grid_dims
    .group_segment_fixed_size: 19200
    .kernarg_segment_align: 8
    .kernarg_segment_size: 376
    .language:       OpenCL C
    .language_version:
      - 2
      - 0
    .max_flat_workgroup_size: 256
    .name:           _ZL26rocblas_hemvn_kernel_lowerILb0ELi64ELi4ELi33ELi32ELi16EiPK19rocblas_complex_numIdEPKS3_PS1_EviT6_lT7_lT5_lS8_lS9_lS7_lT8_i
    .private_segment_fixed_size: 0
    .sgpr_count:     50
    .sgpr_spill_count: 0
    .symbol:         _ZL26rocblas_hemvn_kernel_lowerILb0ELi64ELi4ELi33ELi32ELi16EiPK19rocblas_complex_numIdEPKS3_PS1_EviT6_lT7_lT5_lS8_lS9_lS7_lT8_i.kd
    .uniform_work_group_size: 1
    .uses_dynamic_stack: false
    .vgpr_count:     188
    .vgpr_spill_count: 0
    .wavefront_size: 64
  - .agpr_count:     0
    .args:
      - .offset:         0
        .size:           4
        .value_kind:     by_value
      - .offset:         8
        .size:           16
        .value_kind:     by_value
      - .offset:         24
        .size:           8
        .value_kind:     by_value
      - .address_space:  global
        .offset:         32
        .size:           8
        .value_kind:     global_buffer
      - .offset:         40
        .size:           8
        .value_kind:     by_value
      - .offset:         48
        .size:           8
        .value_kind:     by_value
      - .offset:         56
        .size:           8
        .value_kind:     by_value
      - .address_space:  global
        .offset:         64
        .size:           8
        .value_kind:     global_buffer
      - .offset:         72
        .size:           8
        .value_kind:     by_value
      - .offset:         80
        .size:           8
        .value_kind:     by_value
      - .offset:         88
        .size:           8
        .value_kind:     by_value
      - .offset:         96
        .size:           16
        .value_kind:     by_value
      - .offset:         112
        .size:           8
        .value_kind:     by_value
      - .address_space:  global
        .offset:         120
        .size:           8
        .value_kind:     global_buffer
      - .offset:         128
        .size:           4
        .value_kind:     by_value
      - .offset:         136
        .size:           4
        .value_kind:     hidden_block_count_x
      - .offset:         140
        .size:           4
        .value_kind:     hidden_block_count_y
      - .offset:         144
        .size:           4
        .value_kind:     hidden_block_count_z
      - .offset:         148
        .size:           2
        .value_kind:     hidden_group_size_x
      - .offset:         150
        .size:           2
        .value_kind:     hidden_group_size_y
      - .offset:         152
        .size:           2
        .value_kind:     hidden_group_size_z
      - .offset:         154
        .size:           2
        .value_kind:     hidden_remainder_x
      - .offset:         156
        .size:           2
        .value_kind:     hidden_remainder_y
      - .offset:         158
        .size:           2
        .value_kind:     hidden_remainder_z
      - .offset:         176
        .size:           8
        .value_kind:     hidden_global_offset_x
      - .offset:         184
        .size:           8
        .value_kind:     hidden_global_offset_y
      - .offset:         192
        .size:           8
        .value_kind:     hidden_global_offset_z
      - .offset:         200
        .size:           2
        .value_kind:     hidden_grid_dims
    .group_segment_fixed_size: 19200
    .kernarg_segment_align: 8
    .kernarg_segment_size: 392
    .language:       OpenCL C
    .language_version:
      - 2
      - 0
    .max_flat_workgroup_size: 256
    .name:           _ZL26rocblas_hemvn_kernel_lowerILb0ELi64ELi4ELi33ELi32ELi16El19rocblas_complex_numIdEPKPKS1_PS1_EviT6_lT7_lT5_lS8_lS9_lS7_lT8_i
    .private_segment_fixed_size: 0
    .sgpr_count:     48
    .sgpr_spill_count: 0
    .symbol:         _ZL26rocblas_hemvn_kernel_lowerILb0ELi64ELi4ELi33ELi32ELi16El19rocblas_complex_numIdEPKPKS1_PS1_EviT6_lT7_lT5_lS8_lS9_lS7_lT8_i.kd
    .uniform_work_group_size: 1
    .uses_dynamic_stack: false
    .vgpr_count:     190
    .vgpr_spill_count: 0
    .wavefront_size: 64
  - .agpr_count:     0
    .args:
      - .offset:         0
        .size:           4
        .value_kind:     by_value
      - .offset:         8
        .size:           16
        .value_kind:     by_value
      - .offset:         24
        .size:           8
        .value_kind:     by_value
      - .address_space:  global
        .offset:         32
        .size:           8
        .value_kind:     global_buffer
      - .offset:         40
        .size:           8
        .value_kind:     by_value
      - .offset:         48
        .size:           4
        .value_kind:     by_value
      - .offset:         56
        .size:           8
        .value_kind:     by_value
      - .address_space:  global
        .offset:         64
        .size:           8
        .value_kind:     global_buffer
      - .offset:         72
        .size:           8
        .value_kind:     by_value
      - .offset:         80
        .size:           4
        .value_kind:     by_value
      - .offset:         88
        .size:           8
        .value_kind:     by_value
      - .offset:         96
        .size:           16
        .value_kind:     by_value
      - .offset:         112
        .size:           8
        .value_kind:     by_value
      - .address_space:  global
        .offset:         120
        .size:           8
        .value_kind:     global_buffer
      - .offset:         128
        .size:           4
        .value_kind:     by_value
      - .offset:         136
        .size:           4
        .value_kind:     hidden_block_count_x
      - .offset:         140
        .size:           4
        .value_kind:     hidden_block_count_y
      - .offset:         144
        .size:           4
        .value_kind:     hidden_block_count_z
      - .offset:         148
        .size:           2
        .value_kind:     hidden_group_size_x
      - .offset:         150
        .size:           2
        .value_kind:     hidden_group_size_y
      - .offset:         152
        .size:           2
        .value_kind:     hidden_group_size_z
      - .offset:         154
        .size:           2
        .value_kind:     hidden_remainder_x
      - .offset:         156
        .size:           2
        .value_kind:     hidden_remainder_y
      - .offset:         158
        .size:           2
        .value_kind:     hidden_remainder_z
      - .offset:         176
        .size:           8
        .value_kind:     hidden_global_offset_x
      - .offset:         184
        .size:           8
        .value_kind:     hidden_global_offset_y
      - .offset:         192
        .size:           8
        .value_kind:     hidden_global_offset_z
      - .offset:         200
        .size:           2
        .value_kind:     hidden_grid_dims
    .group_segment_fixed_size: 19200
    .kernarg_segment_align: 8
    .kernarg_segment_size: 392
    .language:       OpenCL C
    .language_version:
      - 2
      - 0
    .max_flat_workgroup_size: 256
    .name:           _ZL26rocblas_hemvn_kernel_lowerILb0ELi64ELi4ELi33ELi32ELi16Ei19rocblas_complex_numIdEPKPKS1_PS1_EviT6_lT7_lT5_lS8_lS9_lS7_lT8_i
    .private_segment_fixed_size: 0
    .sgpr_count:     50
    .sgpr_spill_count: 0
    .symbol:         _ZL26rocblas_hemvn_kernel_lowerILb0ELi64ELi4ELi33ELi32ELi16Ei19rocblas_complex_numIdEPKPKS1_PS1_EviT6_lT7_lT5_lS8_lS9_lS7_lT8_i.kd
    .uniform_work_group_size: 1
    .uses_dynamic_stack: false
    .vgpr_count:     188
    .vgpr_spill_count: 0
    .wavefront_size: 64
amdhsa.target:   amdgcn-amd-amdhsa--gfx90a
amdhsa.version:
  - 1
  - 2
...

	.end_amdgpu_metadata
